;; amdgpu-corpus repo=pytorch/pytorch kind=compiled arch=gfx1250 opt=O3
	.amdgcn_target "amdgcn-amd-amdhsa--gfx1250"
	.amdhsa_code_object_version 6
	.section	.text._ZN2at6native12_GLOBAL__N_125multi_tensor_apply_kernelINS1_18TensorListMetadataILi1EEENS0_12LpMaxFunctorIhLi1ELi1ELi0EEEJPhiEEEvT_T0_DpT1_,"axG",@progbits,_ZN2at6native12_GLOBAL__N_125multi_tensor_apply_kernelINS1_18TensorListMetadataILi1EEENS0_12LpMaxFunctorIhLi1ELi1ELi0EEEJPhiEEEvT_T0_DpT1_,comdat
	.globl	_ZN2at6native12_GLOBAL__N_125multi_tensor_apply_kernelINS1_18TensorListMetadataILi1EEENS0_12LpMaxFunctorIhLi1ELi1ELi0EEEJPhiEEEvT_T0_DpT1_ ; -- Begin function _ZN2at6native12_GLOBAL__N_125multi_tensor_apply_kernelINS1_18TensorListMetadataILi1EEENS0_12LpMaxFunctorIhLi1ELi1ELi0EEEJPhiEEEvT_T0_DpT1_
	.p2align	8
	.type	_ZN2at6native12_GLOBAL__N_125multi_tensor_apply_kernelINS1_18TensorListMetadataILi1EEENS0_12LpMaxFunctorIhLi1ELi1ELi0EEEJPhiEEEvT_T0_DpT1_,@function
_ZN2at6native12_GLOBAL__N_125multi_tensor_apply_kernelINS1_18TensorListMetadataILi1EEENS0_12LpMaxFunctorIhLi1ELi1ELi0EEEJPhiEEEvT_T0_DpT1_: ; @_ZN2at6native12_GLOBAL__N_125multi_tensor_apply_kernelINS1_18TensorListMetadataILi1EEENS0_12LpMaxFunctorIhLi1ELi1ELi0EEEJPhiEEEvT_T0_DpT1_
; %bb.0:
	s_bfe_u32 s2, ttmp6, 0x4000c
	s_and_b32 s3, ttmp6, 15
	s_add_co_i32 s2, s2, 1
	s_getreg_b32 s4, hwreg(HW_REG_IB_STS2, 6, 4)
	s_mul_i32 s2, ttmp9, s2
	s_delay_alu instid0(SALU_CYCLE_1)
	s_add_co_i32 s3, s3, s2
	s_cmp_eq_u32 s4, 0
	s_cselect_b32 s2, ttmp9, s3
	s_mov_b32 s3, 0
	v_mov_b32_e32 v1, s2
	s_add_nc_u64 s[4:5], s[0:1], s[2:3]
	s_mul_u64 s[2:3], s[2:3], 3
	s_delay_alu instid0(SALU_CYCLE_1)
	s_add_nc_u64 s[2:3], s[4:5], s[2:3]
	global_load_u8 v11, v1, s[0:1] offset:1760
	s_load_b32 s4, s[2:3], 0x820
	s_wait_loadcnt 0x0
	v_readfirstlane_b32 s6, v11
	s_and_b32 s5, s6, 0xff
	s_wait_xcnt 0x0
	s_clause 0x1
	s_load_b64 s[2:3], s[0:1], s5 offset:0x0 scale_offset
	s_load_b64 s[8:9], s[0:1], s5 offset:0x370 scale_offset
	s_wait_kmcnt 0x0
	s_ashr_i32 s5, s4, 31
	s_delay_alu instid0(SALU_CYCLE_1) | instskip(NEXT) | instid1(SALU_CYCLE_1)
	s_lshl_b64 s[10:11], s[4:5], 16
	s_add_nc_u64 s[6:7], s[2:3], s[10:11]
	s_delay_alu instid0(SALU_CYCLE_1) | instskip(SKIP_2) | instid1(SALU_CYCLE_1)
	s_or_b32 s2, s8, s6
	s_sub_nc_u64 s[8:9], s[8:9], s[10:11]
	s_and_b32 s2, s2, 3
	s_cmp_eq_u32 s2, 0
	s_cbranch_scc1 .LBB0_12
; %bb.1:
	v_cmp_lt_i64_e64 s2, s[8:9], 1
	s_and_b32 vcc_lo, exec_lo, s2
	s_cbranch_vccnz .LBB0_13
; %bb.2:
	s_load_b32 s2, s[0:1], 0xd4c
	v_min_i64 v[4:5], 0x10000, s[8:9]
	v_mov_b32_e32 v3, 0
	s_mov_b32 s11, 0
	s_mov_b64 s[12:13], 0
	s_wait_kmcnt 0x0
	s_and_b32 s2, s2, 0xffff
	s_delay_alu instid0(SALU_CYCLE_1)
	v_dual_mov_b32 v7, 0 :: v_dual_add_nc_u32 v10, s2, v0
	v_mad_u32 v2, s2, 3, v0
	v_lshl_add_u32 v8, s2, 1, v0
	s_lshl_b32 s10, s2, 2
	s_branch .LBB0_4
.LBB0_3:                                ;   in Loop: Header=BB0_4 Depth=1
	s_or_b32 exec_lo, exec_lo, s2
	s_add_nc_u64 s[12:13], s[12:13], s[10:11]
	s_delay_alu instid0(SALU_CYCLE_1)
	v_cmp_lt_i64_e32 vcc_lo, s[12:13], v[4:5]
	s_cbranch_vccz .LBB0_14
.LBB0_4:                                ; =>This Inner Loop Header: Depth=1
	v_add_nc_u32_e32 v6, s12, v0
	s_delay_alu instid0(VALU_DEP_1) | instskip(SKIP_2) | instid1(SALU_CYCLE_1)
	v_cmp_gt_i64_e32 vcc_lo, s[8:9], v[6:7]
	v_cmp_gt_u32_e64 s2, 0x10000, v6
	s_and_b32 s3, s2, vcc_lo
	s_and_saveexec_b32 s2, s3
	s_cbranch_execz .LBB0_6
; %bb.5:                                ;   in Loop: Header=BB0_4 Depth=1
	v_add_nc_u64_e32 v[12:13], s[6:7], v[6:7]
	v_and_b32_e32 v6, 0xff, v3
	global_load_u8 v1, v[12:13], off
	s_wait_loadcnt 0x0
	v_max_u16 v1, v6, v1
	s_delay_alu instid0(VALU_DEP_1) | instskip(NEXT) | instid1(VALU_DEP_1)
	v_bitop3_b16 v1, v1, v3, 0xff00 bitop3:0xf8
	v_and_b32_e32 v1, 0xffff, v1
	s_delay_alu instid0(VALU_DEP_1)
	v_and_or_b32 v3, 0xffff0000, v3, v1
.LBB0_6:                                ;   in Loop: Header=BB0_4 Depth=1
	s_or_b32 exec_lo, exec_lo, s2
	v_add_nc_u32_e32 v6, s12, v10
	s_delay_alu instid0(VALU_DEP_1) | instskip(SKIP_2) | instid1(SALU_CYCLE_1)
	v_cmp_gt_i64_e32 vcc_lo, s[8:9], v[6:7]
	v_cmp_gt_u32_e64 s2, 0x10000, v6
	s_and_b32 s3, s2, vcc_lo
	s_and_saveexec_b32 s2, s3
	s_cbranch_execz .LBB0_8
; %bb.7:                                ;   in Loop: Header=BB0_4 Depth=1
	v_add_nc_u64_e32 v[12:13], s[6:7], v[6:7]
	v_lshrrev_b32_e32 v6, 8, v3
	s_delay_alu instid0(VALU_DEP_1) | instskip(SKIP_3) | instid1(VALU_DEP_1)
	v_and_b32_e32 v6, 0xff, v6
	global_load_u8 v1, v[12:13], off
	s_wait_loadcnt 0x0
	v_max_u16 v1, v6, v1
	v_lshlrev_b16 v1, 8, v1
	s_delay_alu instid0(VALU_DEP_1) | instskip(NEXT) | instid1(VALU_DEP_1)
	v_bitop3_b16 v1, v3, v1, 0xff bitop3:0xec
	v_and_b32_e32 v1, 0xffff, v1
	s_delay_alu instid0(VALU_DEP_1)
	v_and_or_b32 v3, 0xffff0000, v3, v1
.LBB0_8:                                ;   in Loop: Header=BB0_4 Depth=1
	s_or_b32 exec_lo, exec_lo, s2
	v_add_nc_u32_e32 v6, s12, v8
	s_delay_alu instid0(VALU_DEP_1) | instskip(SKIP_2) | instid1(SALU_CYCLE_1)
	v_cmp_gt_i64_e32 vcc_lo, s[8:9], v[6:7]
	v_cmp_gt_u32_e64 s2, 0x10000, v6
	s_and_b32 s3, s2, vcc_lo
	s_and_saveexec_b32 s2, s3
	s_cbranch_execz .LBB0_10
; %bb.9:                                ;   in Loop: Header=BB0_4 Depth=1
	v_add_nc_u64_e32 v[12:13], s[6:7], v[6:7]
	v_lshrrev_b32_e32 v6, 16, v3
	s_delay_alu instid0(VALU_DEP_1) | instskip(SKIP_3) | instid1(VALU_DEP_1)
	v_and_b32_e32 v9, 0xff, v6
	global_load_u8 v1, v[12:13], off
	s_wait_loadcnt 0x0
	v_max_u16 v1, v9, v1
	v_bitop3_b16 v1, v1, v6, 0xff00 bitop3:0xf8
	s_delay_alu instid0(VALU_DEP_1) | instskip(NEXT) | instid1(VALU_DEP_1)
	v_lshlrev_b32_e32 v1, 16, v1
	v_and_or_b32 v3, 0xffff, v3, v1
.LBB0_10:                               ;   in Loop: Header=BB0_4 Depth=1
	s_or_b32 exec_lo, exec_lo, s2
	v_add_nc_u32_e32 v6, s12, v2
	s_delay_alu instid0(VALU_DEP_1) | instskip(SKIP_2) | instid1(SALU_CYCLE_1)
	v_cmp_gt_i64_e32 vcc_lo, s[8:9], v[6:7]
	v_cmp_gt_u32_e64 s2, 0x10000, v6
	s_and_b32 s3, s2, vcc_lo
	s_and_saveexec_b32 s2, s3
	s_cbranch_execz .LBB0_3
; %bb.11:                               ;   in Loop: Header=BB0_4 Depth=1
	v_add_nc_u64_e32 v[12:13], s[6:7], v[6:7]
	v_lshrrev_b32_e32 v6, 24, v3
	global_load_u8 v1, v[12:13], off
	s_wait_loadcnt 0x0
	v_max_u16 v1, v6, v1
	v_lshrrev_b32_e32 v6, 16, v3
	s_delay_alu instid0(VALU_DEP_2) | instskip(NEXT) | instid1(VALU_DEP_1)
	v_lshlrev_b16 v1, 8, v1
	v_bitop3_b16 v1, v6, v1, 0xff bitop3:0xec
	s_delay_alu instid0(VALU_DEP_1) | instskip(NEXT) | instid1(VALU_DEP_1)
	v_lshlrev_b32_e32 v1, 16, v1
	v_and_or_b32 v3, 0xffff, v3, v1
	s_branch .LBB0_3
.LBB0_12:
                                        ; implicit-def: $vgpr3
	s_branch .LBB0_15
.LBB0_13:
	v_mov_b32_e32 v3, 0
.LBB0_14:
	s_cbranch_execnz .LBB0_20
.LBB0_15:
	v_min_i64 v[4:5], 0x10000, s[8:9]
	v_dual_mov_b32 v3, 0 :: v_dual_lshlrev_b32 v2, 2, v0
	s_mov_b32 s5, exec_lo
	s_delay_alu instid0(VALU_DEP_1)
	v_cmpx_lt_i64_e64 v[2:3], v[4:5]
	s_cbranch_execz .LBB0_19
; %bb.16:
	s_load_b32 s2, s[0:1], 0xd4c
	v_mov_b32_e32 v1, v3
	v_add_nc_u64_e32 v[6:7], s[6:7], v[2:3]
	s_mov_b32 s3, 0
	s_delay_alu instid0(SALU_CYCLE_1) | instskip(NEXT) | instid1(VALU_DEP_2)
	s_mov_b32 s7, s3
	v_mov_b64_e32 v[8:9], v[0:1]
	s_mov_b32 s8, s3
	s_wait_kmcnt 0x0
	s_and_b32 s2, s2, 0xffff
	s_delay_alu instid0(SALU_CYCLE_1)
	s_lshl_b32 s6, s2, 2
.LBB0_17:                               ; =>This Inner Loop Header: Depth=1
	global_load_b32 v1, v[6:7], off
	v_dual_lshrrev_b32 v2, 16, v3 :: v_dual_lshrrev_b32 v10, 24, v3
	v_lshrrev_b16 v12, 8, v3
	v_and_b32_e32 v3, 0xff, v3
	v_add_nc_u64_e32 v[8:9], s[2:3], v[8:9]
	s_delay_alu instid0(VALU_DEP_4)
	v_and_b32_e32 v2, 0xff, v2
	s_wait_xcnt 0x0
	v_add_nc_u64_e32 v[6:7], s[6:7], v[6:7]
	s_wait_loadcnt 0x0
	v_dual_lshrrev_b32 v13, 16, v1 :: v_dual_lshrrev_b32 v15, 24, v1
	v_lshrrev_b16 v14, 8, v1
	v_and_b32_e32 v1, 0xff, v1
	s_delay_alu instid0(VALU_DEP_3) | instskip(NEXT) | instid1(VALU_DEP_4)
	v_and_b32_e32 v13, 0xff, v13
	v_max_u16 v10, v10, v15
	s_delay_alu instid0(VALU_DEP_4) | instskip(NEXT) | instid1(VALU_DEP_4)
	v_max_u16 v12, v12, v14
	v_max_u16 v1, v3, v1
	s_delay_alu instid0(VALU_DEP_4) | instskip(NEXT) | instid1(VALU_DEP_4)
	v_max_u16 v13, v2, v13
	v_lshlrev_b16 v10, 8, v10
	s_delay_alu instid0(VALU_DEP_4) | instskip(SKIP_1) | instid1(VALU_DEP_3)
	v_lshlrev_b16 v12, 8, v12
	v_lshlrev_b64_e32 v[2:3], 2, v[8:9]
	v_or_b32_e32 v10, v13, v10
	s_delay_alu instid0(VALU_DEP_3) | instskip(NEXT) | instid1(VALU_DEP_3)
	v_or_b32_e32 v1, v1, v12
	v_cmp_ge_i64_e32 vcc_lo, v[2:3], v[4:5]
	s_delay_alu instid0(VALU_DEP_3) | instskip(NEXT) | instid1(VALU_DEP_3)
	v_lshlrev_b32_e32 v2, 16, v10
	v_and_b32_e32 v1, 0xffff, v1
	s_or_b32 s8, vcc_lo, s8
	s_delay_alu instid0(VALU_DEP_1)
	v_or_b32_e32 v3, v1, v2
	s_and_not1_b32 exec_lo, exec_lo, s8
	s_cbranch_execnz .LBB0_17
; %bb.18:
	s_or_b32 exec_lo, exec_lo, s8
.LBB0_19:
	s_delay_alu instid0(SALU_CYCLE_1)
	s_or_b32 exec_lo, exec_lo, s5
.LBB0_20:
	s_delay_alu instid0(VALU_DEP_1) | instskip(SKIP_3) | instid1(VALU_DEP_4)
	v_dual_lshrrev_b32 v1, 8, v3 :: v_dual_lshrrev_b32 v2, 16, v3
	v_and_b32_e32 v4, 0xff, v3
	v_lshrrev_b32_e32 v3, 24, v3
	v_mbcnt_lo_u32_b32 v5, -1, 0
	v_and_b32_e32 v1, 0xff, v1
	v_and_b32_e32 v2, 0xff, v2
	s_mov_b32 s2, exec_lo
	s_delay_alu instid0(VALU_DEP_3) | instskip(NEXT) | instid1(VALU_DEP_3)
	v_cmp_gt_u32_e32 vcc_lo, 24, v5
	v_max_u16 v1, v4, v1
	s_barrier_signal -1
	s_barrier_wait -1
	v_cndmask_b32_e64 v4, 0, 8, vcc_lo
	s_delay_alu instid0(VALU_DEP_2) | instskip(SKIP_2) | instid1(VALU_DEP_3)
	v_max3_u16 v2, v1, v2, v3
	v_lshl_or_b32 v1, v5, 2, 64
	v_cmp_gt_u32_e32 vcc_lo, 28, v5
	v_and_b32_e32 v3, 0xffff, v2
	v_cndmask_b32_e64 v6, 0, 4, vcc_lo
	v_cmp_gt_u32_e32 vcc_lo, 30, v5
	ds_bpermute_b32 v3, v1, v3
	v_cndmask_b32_e64 v7, 0, 2, vcc_lo
	v_cmp_ne_u32_e32 vcc_lo, 31, v5
	s_wait_dscnt 0x0
	v_and_b32_e32 v3, 0xff, v3
	s_delay_alu instid0(VALU_DEP_1) | instskip(SKIP_1) | instid1(VALU_DEP_2)
	v_max_u16 v3, v2, v3
	v_add_lshl_u32 v2, v4, v5, 2
	v_and_b32_e32 v4, 0xffff, v3
	ds_bpermute_b32 v4, v2, v4
	s_wait_dscnt 0x0
	v_and_b32_e32 v4, 0xff, v4
	s_delay_alu instid0(VALU_DEP_1) | instskip(SKIP_1) | instid1(VALU_DEP_2)
	v_max_u16 v4, v3, v4
	v_add_lshl_u32 v3, v6, v5, 2
	v_and_b32_e32 v6, 0xffff, v4
	ds_bpermute_b32 v6, v3, v6
	s_wait_dscnt 0x0
	v_and_b32_e32 v6, 0xff, v6
	s_delay_alu instid0(VALU_DEP_1) | instskip(SKIP_2) | instid1(VALU_DEP_3)
	v_max_u16 v6, v4, v6
	v_add_lshl_u32 v4, v7, v5, 2
	v_add_co_ci_u32_e64 v5, null, 0, v5, vcc_lo
	v_and_b32_e32 v7, 0xffff, v6
	s_delay_alu instid0(VALU_DEP_2) | instskip(SKIP_3) | instid1(VALU_DEP_1)
	v_lshlrev_b32_e32 v5, 2, v5
	ds_bpermute_b32 v7, v4, v7
	s_wait_dscnt 0x0
	v_and_b32_e32 v7, 0xff, v7
	v_max_u16 v7, v6, v7
	s_delay_alu instid0(VALU_DEP_1) | instskip(SKIP_2) | instid1(VALU_DEP_1)
	v_and_b32_e32 v6, 0xffff, v7
	ds_bpermute_b32 v8, v5, v6
	v_and_b32_e32 v6, 31, v0
	v_cmpx_eq_u32_e32 0, v6
	s_cbranch_execz .LBB0_22
; %bb.21:
	s_wait_dscnt 0x0
	v_and_b32_e32 v8, 0xff, v8
	v_and_b32_e32 v7, 0xff, v7
	v_lshrrev_b32_e32 v9, 5, v0
	s_delay_alu instid0(VALU_DEP_2)
	v_max_u16 v7, v7, v8
	ds_store_b8 v9, v7
.LBB0_22:
	s_or_b32 exec_lo, exec_lo, s2
	s_wait_dscnt 0x0
	s_barrier_signal -1
	s_barrier_wait -1
	s_load_b32 s2, s[0:1], 0xd4c
	v_mov_b32_e32 v7, 0
	s_wait_kmcnt 0x0
	s_bfe_u32 s2, s2, 0xb0005
	s_delay_alu instid0(SALU_CYCLE_1)
	v_cmp_gt_u32_e32 vcc_lo, s2, v0
	s_and_saveexec_b32 s2, vcc_lo
; %bb.23:
	ds_load_u8 v7, v6
; %bb.24:
	s_or_b32 exec_lo, exec_lo, s2
	s_delay_alu instid0(SALU_CYCLE_1)
	s_mov_b32 s2, exec_lo
	v_cmpx_gt_u32_e32 32, v0
	s_cbranch_execz .LBB0_26
; %bb.25:
	s_wait_dscnt 0x0
	v_and_b32_e32 v6, 0xff, v7
	ds_bpermute_b32 v1, v1, v6
	s_wait_dscnt 0x0
	v_and_b32_e32 v1, 0xff, v1
	s_delay_alu instid0(VALU_DEP_1) | instskip(NEXT) | instid1(VALU_DEP_1)
	v_max_u16 v1, v6, v1
	v_and_b32_e32 v6, 0xffff, v1
	ds_bpermute_b32 v2, v2, v6
	s_wait_dscnt 0x0
	v_and_b32_e32 v2, 0xff, v2
	s_delay_alu instid0(VALU_DEP_1) | instskip(NEXT) | instid1(VALU_DEP_1)
	v_max_u16 v1, v1, v2
	;; [unrolled: 6-line block ×4, first 2 shown]
	v_and_b32_e32 v2, 0xffff, v1
	ds_bpermute_b32 v2, v5, v2
	s_wait_dscnt 0x0
	v_and_b32_e32 v2, 0xff, v2
	s_delay_alu instid0(VALU_DEP_1)
	v_max_u16 v7, v1, v2
.LBB0_26:
	s_or_b32 exec_lo, exec_lo, s2
	s_delay_alu instid0(SALU_CYCLE_1)
	s_mov_b32 s2, exec_lo
	v_cmpx_eq_u32_e32 0, v0
	s_cbranch_execz .LBB0_28
; %bb.27:
	s_clause 0x1
	s_load_b32 s2, s[0:1], 0xd20
	s_load_b96 s[8:10], s[0:1], 0xd30
	v_and_b32_e32 v0, 0xff, v11
	s_wait_kmcnt 0x0
	s_delay_alu instid0(VALU_DEP_1) | instskip(NEXT) | instid1(VALU_DEP_1)
	v_add_nc_u32_e32 v0, s2, v0
	v_mul_lo_u32 v0, v0, s10
	s_delay_alu instid0(VALU_DEP_1)
	v_add_nc_u32_e32 v0, s4, v0
	s_wait_dscnt 0x0
	global_store_b8 v0, v7, s[8:9]
.LBB0_28:
	s_endpgm
	.section	.rodata,"a",@progbits
	.p2align	6, 0x0
	.amdhsa_kernel _ZN2at6native12_GLOBAL__N_125multi_tensor_apply_kernelINS1_18TensorListMetadataILi1EEENS0_12LpMaxFunctorIhLi1ELi1ELi0EEEJPhiEEEvT_T0_DpT1_
		.amdhsa_group_segment_fixed_size 512
		.amdhsa_private_segment_fixed_size 0
		.amdhsa_kernarg_size 3648
		.amdhsa_user_sgpr_count 2
		.amdhsa_user_sgpr_dispatch_ptr 0
		.amdhsa_user_sgpr_queue_ptr 0
		.amdhsa_user_sgpr_kernarg_segment_ptr 1
		.amdhsa_user_sgpr_dispatch_id 0
		.amdhsa_user_sgpr_kernarg_preload_length 0
		.amdhsa_user_sgpr_kernarg_preload_offset 0
		.amdhsa_user_sgpr_private_segment_size 0
		.amdhsa_wavefront_size32 1
		.amdhsa_uses_dynamic_stack 0
		.amdhsa_enable_private_segment 0
		.amdhsa_system_sgpr_workgroup_id_x 1
		.amdhsa_system_sgpr_workgroup_id_y 0
		.amdhsa_system_sgpr_workgroup_id_z 0
		.amdhsa_system_sgpr_workgroup_info 0
		.amdhsa_system_vgpr_workitem_id 0
		.amdhsa_next_free_vgpr 16
		.amdhsa_next_free_sgpr 14
		.amdhsa_named_barrier_count 0
		.amdhsa_reserve_vcc 1
		.amdhsa_float_round_mode_32 0
		.amdhsa_float_round_mode_16_64 0
		.amdhsa_float_denorm_mode_32 3
		.amdhsa_float_denorm_mode_16_64 3
		.amdhsa_fp16_overflow 0
		.amdhsa_memory_ordered 1
		.amdhsa_forward_progress 1
		.amdhsa_inst_pref_size 15
		.amdhsa_round_robin_scheduling 0
		.amdhsa_exception_fp_ieee_invalid_op 0
		.amdhsa_exception_fp_denorm_src 0
		.amdhsa_exception_fp_ieee_div_zero 0
		.amdhsa_exception_fp_ieee_overflow 0
		.amdhsa_exception_fp_ieee_underflow 0
		.amdhsa_exception_fp_ieee_inexact 0
		.amdhsa_exception_int_div_zero 0
	.end_amdhsa_kernel
	.section	.text._ZN2at6native12_GLOBAL__N_125multi_tensor_apply_kernelINS1_18TensorListMetadataILi1EEENS0_12LpMaxFunctorIhLi1ELi1ELi0EEEJPhiEEEvT_T0_DpT1_,"axG",@progbits,_ZN2at6native12_GLOBAL__N_125multi_tensor_apply_kernelINS1_18TensorListMetadataILi1EEENS0_12LpMaxFunctorIhLi1ELi1ELi0EEEJPhiEEEvT_T0_DpT1_,comdat
.Lfunc_end0:
	.size	_ZN2at6native12_GLOBAL__N_125multi_tensor_apply_kernelINS1_18TensorListMetadataILi1EEENS0_12LpMaxFunctorIhLi1ELi1ELi0EEEJPhiEEEvT_T0_DpT1_, .Lfunc_end0-_ZN2at6native12_GLOBAL__N_125multi_tensor_apply_kernelINS1_18TensorListMetadataILi1EEENS0_12LpMaxFunctorIhLi1ELi1ELi0EEEJPhiEEEvT_T0_DpT1_
                                        ; -- End function
	.set _ZN2at6native12_GLOBAL__N_125multi_tensor_apply_kernelINS1_18TensorListMetadataILi1EEENS0_12LpMaxFunctorIhLi1ELi1ELi0EEEJPhiEEEvT_T0_DpT1_.num_vgpr, 16
	.set _ZN2at6native12_GLOBAL__N_125multi_tensor_apply_kernelINS1_18TensorListMetadataILi1EEENS0_12LpMaxFunctorIhLi1ELi1ELi0EEEJPhiEEEvT_T0_DpT1_.num_agpr, 0
	.set _ZN2at6native12_GLOBAL__N_125multi_tensor_apply_kernelINS1_18TensorListMetadataILi1EEENS0_12LpMaxFunctorIhLi1ELi1ELi0EEEJPhiEEEvT_T0_DpT1_.numbered_sgpr, 14
	.set _ZN2at6native12_GLOBAL__N_125multi_tensor_apply_kernelINS1_18TensorListMetadataILi1EEENS0_12LpMaxFunctorIhLi1ELi1ELi0EEEJPhiEEEvT_T0_DpT1_.num_named_barrier, 0
	.set _ZN2at6native12_GLOBAL__N_125multi_tensor_apply_kernelINS1_18TensorListMetadataILi1EEENS0_12LpMaxFunctorIhLi1ELi1ELi0EEEJPhiEEEvT_T0_DpT1_.private_seg_size, 0
	.set _ZN2at6native12_GLOBAL__N_125multi_tensor_apply_kernelINS1_18TensorListMetadataILi1EEENS0_12LpMaxFunctorIhLi1ELi1ELi0EEEJPhiEEEvT_T0_DpT1_.uses_vcc, 1
	.set _ZN2at6native12_GLOBAL__N_125multi_tensor_apply_kernelINS1_18TensorListMetadataILi1EEENS0_12LpMaxFunctorIhLi1ELi1ELi0EEEJPhiEEEvT_T0_DpT1_.uses_flat_scratch, 0
	.set _ZN2at6native12_GLOBAL__N_125multi_tensor_apply_kernelINS1_18TensorListMetadataILi1EEENS0_12LpMaxFunctorIhLi1ELi1ELi0EEEJPhiEEEvT_T0_DpT1_.has_dyn_sized_stack, 0
	.set _ZN2at6native12_GLOBAL__N_125multi_tensor_apply_kernelINS1_18TensorListMetadataILi1EEENS0_12LpMaxFunctorIhLi1ELi1ELi0EEEJPhiEEEvT_T0_DpT1_.has_recursion, 0
	.set _ZN2at6native12_GLOBAL__N_125multi_tensor_apply_kernelINS1_18TensorListMetadataILi1EEENS0_12LpMaxFunctorIhLi1ELi1ELi0EEEJPhiEEEvT_T0_DpT1_.has_indirect_call, 0
	.section	.AMDGPU.csdata,"",@progbits
; Kernel info:
; codeLenInByte = 1900
; TotalNumSgprs: 16
; NumVgprs: 16
; ScratchSize: 0
; MemoryBound: 0
; FloatMode: 240
; IeeeMode: 1
; LDSByteSize: 512 bytes/workgroup (compile time only)
; SGPRBlocks: 0
; VGPRBlocks: 0
; NumSGPRsForWavesPerEU: 16
; NumVGPRsForWavesPerEU: 16
; NamedBarCnt: 0
; Occupancy: 16
; WaveLimiterHint : 0
; COMPUTE_PGM_RSRC2:SCRATCH_EN: 0
; COMPUTE_PGM_RSRC2:USER_SGPR: 2
; COMPUTE_PGM_RSRC2:TRAP_HANDLER: 0
; COMPUTE_PGM_RSRC2:TGID_X_EN: 1
; COMPUTE_PGM_RSRC2:TGID_Y_EN: 0
; COMPUTE_PGM_RSRC2:TGID_Z_EN: 0
; COMPUTE_PGM_RSRC2:TIDIG_COMP_CNT: 0
	.section	.text._ZN2at6native13lpmax_cleanupIhEEvPKT_NS0_19TensorListAddressesEi,"axG",@progbits,_ZN2at6native13lpmax_cleanupIhEEvPKT_NS0_19TensorListAddressesEi,comdat
	.protected	_ZN2at6native13lpmax_cleanupIhEEvPKT_NS0_19TensorListAddressesEi ; -- Begin function _ZN2at6native13lpmax_cleanupIhEEvPKT_NS0_19TensorListAddressesEi
	.globl	_ZN2at6native13lpmax_cleanupIhEEvPKT_NS0_19TensorListAddressesEi
	.p2align	8
	.type	_ZN2at6native13lpmax_cleanupIhEEvPKT_NS0_19TensorListAddressesEi,@function
_ZN2at6native13lpmax_cleanupIhEEvPKT_NS0_19TensorListAddressesEi: ; @_ZN2at6native13lpmax_cleanupIhEEvPKT_NS0_19TensorListAddressesEi
; %bb.0:
	s_load_b32 s2, s[0:1], 0xc88
	s_bfe_u32 s3, ttmp6, 0x4000c
	s_and_b32 s4, ttmp6, 15
	s_add_co_i32 s3, s3, 1
	s_getreg_b32 s5, hwreg(HW_REG_IB_STS2, 6, 4)
	s_mul_i32 s3, ttmp9, s3
	v_mov_b32_e32 v1, 0
	s_add_co_i32 s4, s4, s3
	s_cmp_eq_u32 s5, 0
	s_mov_b32 s5, 0
	s_cselect_b32 s8, ttmp9, s4
	s_mov_b32 s9, exec_lo
	s_wait_kmcnt 0x0
	v_cmpx_gt_u32_e64 s2, v0
	s_cbranch_execz .LBB1_4
; %bb.1:
	s_clause 0x1
	s_load_b64 s[6:7], s[0:1], 0x0
	s_load_b32 s10, s[0:1], 0xc9c
	v_mov_b32_e32 v1, 0
	s_mul_i32 s4, s2, s8
	s_ashr_i32 s3, s2, 31
	s_delay_alu instid0(VALU_DEP_1)
	v_mov_b64_e32 v[2:3], v[0:1]
	s_wait_kmcnt 0x0
	s_add_nc_u64 s[6:7], s[6:7], s[4:5]
	s_and_b32 s4, s10, 0xffff
	s_mov_b32 s10, s5
.LBB1_2:                                ; =>This Inner Loop Header: Depth=1
	s_delay_alu instid0(VALU_DEP_1)
	v_add_nc_u64_e32 v[4:5], s[6:7], v[2:3]
	v_add_nc_u64_e32 v[2:3], s[4:5], v[2:3]
	v_and_b32_e32 v1, 0xff, v1
	global_load_u8 v4, v[4:5], off
	v_cmp_le_u64_e32 vcc_lo, s[2:3], v[2:3]
	s_or_b32 s10, vcc_lo, s10
	s_wait_loadcnt 0x0
	v_max_u16 v1, v1, v4
	s_and_not1_b32 exec_lo, exec_lo, s10
	s_cbranch_execnz .LBB1_2
; %bb.3:
	s_or_b32 exec_lo, exec_lo, s10
.LBB1_4:
	s_delay_alu instid0(SALU_CYCLE_1) | instskip(SKIP_4) | instid1(VALU_DEP_2)
	s_or_b32 exec_lo, exec_lo, s9
	v_mbcnt_lo_u32_b32 v5, -1, 0
	v_and_b32_e32 v3, 0xffff, v1
	s_mov_b32 s2, exec_lo
	s_barrier_signal -1
	v_lshl_or_b32 v2, v5, 2, 64
	v_cmp_gt_u32_e32 vcc_lo, 24, v5
	s_barrier_wait -1
	ds_bpermute_b32 v3, v2, v3
	v_cndmask_b32_e64 v4, 0, 8, vcc_lo
	v_cmp_gt_u32_e32 vcc_lo, 28, v5
	v_cndmask_b32_e64 v6, 0, 4, vcc_lo
	v_cmp_gt_u32_e32 vcc_lo, 30, v5
	v_cndmask_b32_e64 v7, 0, 2, vcc_lo
	v_cmp_ne_u32_e32 vcc_lo, 31, v5
	s_wait_dscnt 0x0
	v_and_b32_e32 v3, 0xff, v3
	s_delay_alu instid0(VALU_DEP_1) | instskip(SKIP_1) | instid1(VALU_DEP_2)
	v_max_u16 v3, v1, v3
	v_add_lshl_u32 v1, v4, v5, 2
	v_and_b32_e32 v4, 0xffff, v3
	ds_bpermute_b32 v4, v1, v4
	s_wait_dscnt 0x0
	v_and_b32_e32 v4, 0xff, v4
	s_delay_alu instid0(VALU_DEP_1) | instskip(SKIP_1) | instid1(VALU_DEP_2)
	v_max_u16 v4, v3, v4
	v_add_lshl_u32 v3, v6, v5, 2
	v_and_b32_e32 v6, 0xffff, v4
	ds_bpermute_b32 v6, v3, v6
	s_wait_dscnt 0x0
	v_and_b32_e32 v6, 0xff, v6
	s_delay_alu instid0(VALU_DEP_1) | instskip(SKIP_2) | instid1(VALU_DEP_3)
	v_max_u16 v6, v4, v6
	v_add_lshl_u32 v4, v7, v5, 2
	v_add_co_ci_u32_e64 v5, null, 0, v5, vcc_lo
	v_and_b32_e32 v7, 0xffff, v6
	s_delay_alu instid0(VALU_DEP_2) | instskip(SKIP_3) | instid1(VALU_DEP_1)
	v_lshlrev_b32_e32 v5, 2, v5
	ds_bpermute_b32 v7, v4, v7
	s_wait_dscnt 0x0
	v_and_b32_e32 v7, 0xff, v7
	v_max_u16 v7, v6, v7
	s_delay_alu instid0(VALU_DEP_1) | instskip(SKIP_2) | instid1(VALU_DEP_1)
	v_and_b32_e32 v6, 0xffff, v7
	ds_bpermute_b32 v8, v5, v6
	v_and_b32_e32 v6, 31, v0
	v_cmpx_eq_u32_e32 0, v6
	s_cbranch_execz .LBB1_6
; %bb.5:
	s_wait_dscnt 0x0
	v_and_b32_e32 v8, 0xff, v8
	s_delay_alu instid0(VALU_DEP_1)
	v_max_u16 v7, v7, v8
	v_lshrrev_b32_e32 v8, 5, v0
	ds_store_b8 v8, v7
.LBB1_6:
	s_or_b32 exec_lo, exec_lo, s2
	s_wait_dscnt 0x0
	s_barrier_signal -1
	s_barrier_wait -1
	s_load_b32 s2, s[0:1], 0xc9c
	v_mov_b32_e32 v7, 0
	s_wait_kmcnt 0x0
	s_bfe_u32 s2, s2, 0xb0005
	s_delay_alu instid0(SALU_CYCLE_1)
	v_cmp_gt_u32_e32 vcc_lo, s2, v0
	s_and_saveexec_b32 s2, vcc_lo
; %bb.7:
	ds_load_u8 v7, v6
; %bb.8:
	s_or_b32 exec_lo, exec_lo, s2
	s_delay_alu instid0(SALU_CYCLE_1)
	s_mov_b32 s2, exec_lo
	v_cmpx_gt_u32_e32 32, v0
	s_cbranch_execz .LBB1_10
; %bb.9:
	s_wait_dscnt 0x0
	v_and_b32_e32 v6, 0xff, v7
	ds_bpermute_b32 v2, v2, v6
	s_wait_dscnt 0x0
	v_and_b32_e32 v2, 0xff, v2
	s_delay_alu instid0(VALU_DEP_1) | instskip(NEXT) | instid1(VALU_DEP_1)
	v_max_u16 v2, v6, v2
	v_and_b32_e32 v6, 0xffff, v2
	ds_bpermute_b32 v1, v1, v6
	s_wait_dscnt 0x0
	v_and_b32_e32 v1, 0xff, v1
	s_delay_alu instid0(VALU_DEP_1) | instskip(NEXT) | instid1(VALU_DEP_1)
	v_max_u16 v1, v2, v1
	v_and_b32_e32 v2, 0xffff, v1
	ds_bpermute_b32 v2, v3, v2
	s_wait_dscnt 0x0
	v_and_b32_e32 v2, 0xff, v2
	s_delay_alu instid0(VALU_DEP_1) | instskip(NEXT) | instid1(VALU_DEP_1)
	v_max_u16 v1, v1, v2
	v_and_b32_e32 v2, 0xffff, v1
	ds_bpermute_b32 v2, v4, v2
	s_wait_dscnt 0x0
	v_and_b32_e32 v2, 0xff, v2
	s_delay_alu instid0(VALU_DEP_1) | instskip(NEXT) | instid1(VALU_DEP_1)
	v_max_u16 v1, v1, v2
	v_and_b32_e32 v2, 0xffff, v1
	ds_bpermute_b32 v2, v5, v2
	s_wait_dscnt 0x0
	v_and_b32_e32 v2, 0xff, v2
	s_delay_alu instid0(VALU_DEP_1)
	v_max_u16 v7, v1, v2
.LBB1_10:
	s_or_b32 exec_lo, exec_lo, s2
	s_delay_alu instid0(SALU_CYCLE_1)
	s_mov_b32 s2, exec_lo
	v_cmpx_eq_u32_e32 0, v0
	s_cbranch_execz .LBB1_12
; %bb.11:
	s_load_b64 s[0:1], s[0:1], s8 offset:0x8 scale_offset
	v_mov_b32_e32 v0, 0
	s_wait_dscnt 0x0
	s_wait_kmcnt 0x0
	global_store_b8 v0, v7, s[0:1]
.LBB1_12:
	s_endpgm
	.section	.rodata,"a",@progbits
	.p2align	6, 0x0
	.amdhsa_kernel _ZN2at6native13lpmax_cleanupIhEEvPKT_NS0_19TensorListAddressesEi
		.amdhsa_group_segment_fixed_size 512
		.amdhsa_private_segment_fixed_size 0
		.amdhsa_kernarg_size 3472
		.amdhsa_user_sgpr_count 2
		.amdhsa_user_sgpr_dispatch_ptr 0
		.amdhsa_user_sgpr_queue_ptr 0
		.amdhsa_user_sgpr_kernarg_segment_ptr 1
		.amdhsa_user_sgpr_dispatch_id 0
		.amdhsa_user_sgpr_kernarg_preload_length 0
		.amdhsa_user_sgpr_kernarg_preload_offset 0
		.amdhsa_user_sgpr_private_segment_size 0
		.amdhsa_wavefront_size32 1
		.amdhsa_uses_dynamic_stack 0
		.amdhsa_enable_private_segment 0
		.amdhsa_system_sgpr_workgroup_id_x 1
		.amdhsa_system_sgpr_workgroup_id_y 0
		.amdhsa_system_sgpr_workgroup_id_z 0
		.amdhsa_system_sgpr_workgroup_info 0
		.amdhsa_system_vgpr_workitem_id 0
		.amdhsa_next_free_vgpr 9
		.amdhsa_next_free_sgpr 11
		.amdhsa_named_barrier_count 0
		.amdhsa_reserve_vcc 1
		.amdhsa_float_round_mode_32 0
		.amdhsa_float_round_mode_16_64 0
		.amdhsa_float_denorm_mode_32 3
		.amdhsa_float_denorm_mode_16_64 3
		.amdhsa_fp16_overflow 0
		.amdhsa_memory_ordered 1
		.amdhsa_forward_progress 1
		.amdhsa_inst_pref_size 7
		.amdhsa_round_robin_scheduling 0
		.amdhsa_exception_fp_ieee_invalid_op 0
		.amdhsa_exception_fp_denorm_src 0
		.amdhsa_exception_fp_ieee_div_zero 0
		.amdhsa_exception_fp_ieee_overflow 0
		.amdhsa_exception_fp_ieee_underflow 0
		.amdhsa_exception_fp_ieee_inexact 0
		.amdhsa_exception_int_div_zero 0
	.end_amdhsa_kernel
	.section	.text._ZN2at6native13lpmax_cleanupIhEEvPKT_NS0_19TensorListAddressesEi,"axG",@progbits,_ZN2at6native13lpmax_cleanupIhEEvPKT_NS0_19TensorListAddressesEi,comdat
.Lfunc_end1:
	.size	_ZN2at6native13lpmax_cleanupIhEEvPKT_NS0_19TensorListAddressesEi, .Lfunc_end1-_ZN2at6native13lpmax_cleanupIhEEvPKT_NS0_19TensorListAddressesEi
                                        ; -- End function
	.set _ZN2at6native13lpmax_cleanupIhEEvPKT_NS0_19TensorListAddressesEi.num_vgpr, 9
	.set _ZN2at6native13lpmax_cleanupIhEEvPKT_NS0_19TensorListAddressesEi.num_agpr, 0
	.set _ZN2at6native13lpmax_cleanupIhEEvPKT_NS0_19TensorListAddressesEi.numbered_sgpr, 11
	.set _ZN2at6native13lpmax_cleanupIhEEvPKT_NS0_19TensorListAddressesEi.num_named_barrier, 0
	.set _ZN2at6native13lpmax_cleanupIhEEvPKT_NS0_19TensorListAddressesEi.private_seg_size, 0
	.set _ZN2at6native13lpmax_cleanupIhEEvPKT_NS0_19TensorListAddressesEi.uses_vcc, 1
	.set _ZN2at6native13lpmax_cleanupIhEEvPKT_NS0_19TensorListAddressesEi.uses_flat_scratch, 0
	.set _ZN2at6native13lpmax_cleanupIhEEvPKT_NS0_19TensorListAddressesEi.has_dyn_sized_stack, 0
	.set _ZN2at6native13lpmax_cleanupIhEEvPKT_NS0_19TensorListAddressesEi.has_recursion, 0
	.set _ZN2at6native13lpmax_cleanupIhEEvPKT_NS0_19TensorListAddressesEi.has_indirect_call, 0
	.section	.AMDGPU.csdata,"",@progbits
; Kernel info:
; codeLenInByte = 876
; TotalNumSgprs: 13
; NumVgprs: 9
; ScratchSize: 0
; MemoryBound: 0
; FloatMode: 240
; IeeeMode: 1
; LDSByteSize: 512 bytes/workgroup (compile time only)
; SGPRBlocks: 0
; VGPRBlocks: 0
; NumSGPRsForWavesPerEU: 13
; NumVGPRsForWavesPerEU: 9
; NamedBarCnt: 0
; Occupancy: 16
; WaveLimiterHint : 0
; COMPUTE_PGM_RSRC2:SCRATCH_EN: 0
; COMPUTE_PGM_RSRC2:USER_SGPR: 2
; COMPUTE_PGM_RSRC2:TRAP_HANDLER: 0
; COMPUTE_PGM_RSRC2:TGID_X_EN: 1
; COMPUTE_PGM_RSRC2:TGID_Y_EN: 0
; COMPUTE_PGM_RSRC2:TGID_Z_EN: 0
; COMPUTE_PGM_RSRC2:TIDIG_COMP_CNT: 0
	.section	.text._ZN2at6native12_GLOBAL__N_125multi_tensor_apply_kernelINS1_18TensorListMetadataILi1EEENS0_12LpMaxFunctorIaLi1ELi1ELi0EEEJPaiEEEvT_T0_DpT1_,"axG",@progbits,_ZN2at6native12_GLOBAL__N_125multi_tensor_apply_kernelINS1_18TensorListMetadataILi1EEENS0_12LpMaxFunctorIaLi1ELi1ELi0EEEJPaiEEEvT_T0_DpT1_,comdat
	.globl	_ZN2at6native12_GLOBAL__N_125multi_tensor_apply_kernelINS1_18TensorListMetadataILi1EEENS0_12LpMaxFunctorIaLi1ELi1ELi0EEEJPaiEEEvT_T0_DpT1_ ; -- Begin function _ZN2at6native12_GLOBAL__N_125multi_tensor_apply_kernelINS1_18TensorListMetadataILi1EEENS0_12LpMaxFunctorIaLi1ELi1ELi0EEEJPaiEEEvT_T0_DpT1_
	.p2align	8
	.type	_ZN2at6native12_GLOBAL__N_125multi_tensor_apply_kernelINS1_18TensorListMetadataILi1EEENS0_12LpMaxFunctorIaLi1ELi1ELi0EEEJPaiEEEvT_T0_DpT1_,@function
_ZN2at6native12_GLOBAL__N_125multi_tensor_apply_kernelINS1_18TensorListMetadataILi1EEENS0_12LpMaxFunctorIaLi1ELi1ELi0EEEJPaiEEEvT_T0_DpT1_: ; @_ZN2at6native12_GLOBAL__N_125multi_tensor_apply_kernelINS1_18TensorListMetadataILi1EEENS0_12LpMaxFunctorIaLi1ELi1ELi0EEEJPaiEEEvT_T0_DpT1_
; %bb.0:
	s_bfe_u32 s2, ttmp6, 0x4000c
	s_and_b32 s3, ttmp6, 15
	s_add_co_i32 s2, s2, 1
	s_getreg_b32 s4, hwreg(HW_REG_IB_STS2, 6, 4)
	s_mul_i32 s2, ttmp9, s2
	s_delay_alu instid0(SALU_CYCLE_1)
	s_add_co_i32 s3, s3, s2
	s_cmp_eq_u32 s4, 0
	s_cselect_b32 s2, ttmp9, s3
	s_mov_b32 s3, 0
	v_mov_b32_e32 v1, s2
	s_add_nc_u64 s[4:5], s[0:1], s[2:3]
	s_mul_u64 s[2:3], s[2:3], 3
	s_delay_alu instid0(SALU_CYCLE_1)
	s_add_nc_u64 s[2:3], s[4:5], s[2:3]
	global_load_u8 v9, v1, s[0:1] offset:1760
	s_load_b32 s4, s[2:3], 0x820
	s_wait_loadcnt 0x0
	v_readfirstlane_b32 s6, v9
	s_and_b32 s5, s6, 0xff
	s_wait_xcnt 0x0
	s_clause 0x1
	s_load_b64 s[2:3], s[0:1], s5 offset:0x0 scale_offset
	s_load_b64 s[8:9], s[0:1], s5 offset:0x370 scale_offset
	s_wait_kmcnt 0x0
	s_ashr_i32 s5, s4, 31
	s_delay_alu instid0(SALU_CYCLE_1) | instskip(NEXT) | instid1(SALU_CYCLE_1)
	s_lshl_b64 s[10:11], s[4:5], 16
	s_add_nc_u64 s[6:7], s[2:3], s[10:11]
	s_delay_alu instid0(SALU_CYCLE_1) | instskip(SKIP_2) | instid1(SALU_CYCLE_1)
	s_or_b32 s2, s8, s6
	s_sub_nc_u64 s[8:9], s[8:9], s[10:11]
	s_and_b32 s2, s2, 3
	s_cmp_eq_u32 s2, 0
	s_cbranch_scc1 .LBB2_12
; %bb.1:
	v_cmp_lt_i64_e64 s2, s[8:9], 1
	s_and_b32 vcc_lo, exec_lo, s2
	s_cbranch_vccnz .LBB2_13
; %bb.2:
	s_load_b32 s2, s[0:1], 0xd4c
	v_min_i64 v[2:3], 0x10000, s[8:9]
	v_dual_mov_b32 v12, 0x80 :: v_dual_mov_b32 v11, 0x80
	v_dual_mov_b32 v14, 0x80 :: v_dual_mov_b32 v13, 0x80
	s_mov_b32 s11, 0
	s_mov_b64 s[12:13], 0
	s_wait_kmcnt 0x0
	s_and_b32 s2, s2, 0xffff
	s_delay_alu instid0(SALU_CYCLE_1)
	v_dual_mov_b32 v5, 0 :: v_dual_add_nc_u32 v10, s2, v0
	v_mad_u32 v6, s2, 3, v0
	v_lshl_add_u32 v8, s2, 1, v0
	s_lshl_b32 s10, s2, 2
	s_branch .LBB2_4
.LBB2_3:                                ;   in Loop: Header=BB2_4 Depth=1
	s_or_b32 exec_lo, exec_lo, s2
	s_add_nc_u64 s[12:13], s[12:13], s[10:11]
	s_delay_alu instid0(SALU_CYCLE_1)
	v_cmp_lt_i64_e32 vcc_lo, s[12:13], v[2:3]
	s_cbranch_vccz .LBB2_14
.LBB2_4:                                ; =>This Inner Loop Header: Depth=1
	v_add_nc_u32_e32 v4, s12, v0
	s_delay_alu instid0(VALU_DEP_1) | instskip(SKIP_2) | instid1(SALU_CYCLE_1)
	v_cmp_gt_i64_e32 vcc_lo, s[8:9], v[4:5]
	v_cmp_gt_u32_e64 s2, 0x10000, v4
	s_and_b32 s3, s2, vcc_lo
	s_and_saveexec_b32 s2, s3
	s_cbranch_execz .LBB2_6
; %bb.5:                                ;   in Loop: Header=BB2_4 Depth=1
	v_add_nc_u64_e32 v[16:17], s[6:7], v[4:5]
	v_bfe_i32 v4, v11, 0, 8
	global_load_i8 v1, v[16:17], off
	s_wait_loadcnt 0x0
	v_max_i16 v11, v4, v1
.LBB2_6:                                ;   in Loop: Header=BB2_4 Depth=1
	s_or_b32 exec_lo, exec_lo, s2
	v_add_nc_u32_e32 v4, s12, v10
	s_delay_alu instid0(VALU_DEP_1) | instskip(SKIP_2) | instid1(SALU_CYCLE_1)
	v_cmp_gt_i64_e32 vcc_lo, s[8:9], v[4:5]
	v_cmp_gt_u32_e64 s2, 0x10000, v4
	s_and_b32 s3, s2, vcc_lo
	s_and_saveexec_b32 s2, s3
	s_cbranch_execz .LBB2_8
; %bb.7:                                ;   in Loop: Header=BB2_4 Depth=1
	v_add_nc_u64_e32 v[16:17], s[6:7], v[4:5]
	v_bfe_i32 v4, v14, 0, 8
	global_load_i8 v1, v[16:17], off
	s_wait_loadcnt 0x0
	v_max_i16 v14, v4, v1
.LBB2_8:                                ;   in Loop: Header=BB2_4 Depth=1
	s_or_b32 exec_lo, exec_lo, s2
	v_add_nc_u32_e32 v4, s12, v8
	s_delay_alu instid0(VALU_DEP_1) | instskip(SKIP_2) | instid1(SALU_CYCLE_1)
	v_cmp_gt_i64_e32 vcc_lo, s[8:9], v[4:5]
	v_cmp_gt_u32_e64 s2, 0x10000, v4
	s_and_b32 s3, s2, vcc_lo
	s_and_saveexec_b32 s2, s3
	s_cbranch_execz .LBB2_10
; %bb.9:                                ;   in Loop: Header=BB2_4 Depth=1
	v_add_nc_u64_e32 v[16:17], s[6:7], v[4:5]
	v_bfe_i32 v4, v13, 0, 8
	global_load_i8 v1, v[16:17], off
	s_wait_loadcnt 0x0
	v_max_i16 v13, v4, v1
.LBB2_10:                               ;   in Loop: Header=BB2_4 Depth=1
	s_or_b32 exec_lo, exec_lo, s2
	v_add_nc_u32_e32 v4, s12, v6
	s_delay_alu instid0(VALU_DEP_1) | instskip(SKIP_2) | instid1(SALU_CYCLE_1)
	v_cmp_gt_i64_e32 vcc_lo, s[8:9], v[4:5]
	v_cmp_gt_u32_e64 s2, 0x10000, v4
	s_and_b32 s3, s2, vcc_lo
	s_and_saveexec_b32 s2, s3
	s_cbranch_execz .LBB2_3
; %bb.11:                               ;   in Loop: Header=BB2_4 Depth=1
	v_add_nc_u64_e32 v[16:17], s[6:7], v[4:5]
	v_bfe_i32 v4, v12, 0, 8
	global_load_i8 v1, v[16:17], off
	s_wait_loadcnt 0x0
	v_max_i16 v12, v4, v1
	s_branch .LBB2_3
.LBB2_12:
                                        ; implicit-def: $vgpr11
                                        ; implicit-def: $vgpr14
                                        ; implicit-def: $vgpr13
                                        ; implicit-def: $vgpr12
	s_branch .LBB2_15
.LBB2_13:
	v_dual_mov_b32 v12, 0x80 :: v_dual_mov_b32 v11, 0x80
	v_dual_mov_b32 v14, 0x80 :: v_dual_mov_b32 v13, 0x80
.LBB2_14:
	s_cbranch_execnz .LBB2_20
.LBB2_15:
	v_min_i64 v[2:3], 0x10000, s[8:9]
	v_dual_mov_b32 v5, 0 :: v_dual_lshlrev_b32 v4, 2, v0
	v_dual_mov_b32 v12, 0x80 :: v_dual_mov_b32 v11, 0x80
	v_dual_mov_b32 v14, 0x80 :: v_dual_mov_b32 v13, 0x80
	s_mov_b32 s5, exec_lo
	s_delay_alu instid0(VALU_DEP_3)
	v_cmpx_lt_i64_e64 v[4:5], v[2:3]
	s_cbranch_execz .LBB2_19
; %bb.16:
	s_load_b32 s2, s[0:1], 0xd4c
	v_dual_mov_b32 v1, v5 :: v_dual_mov_b32 v12, 0x80
	v_add_nc_u64_e32 v[4:5], s[6:7], v[4:5]
	v_dual_mov_b32 v11, 0x80 :: v_dual_mov_b32 v14, 0x80
	s_delay_alu instid0(VALU_DEP_3) | instskip(SKIP_2) | instid1(SALU_CYCLE_1)
	v_mov_b64_e32 v[6:7], v[0:1]
	v_mov_b32_e32 v13, 0x80
	s_mov_b32 s3, 0
	s_mov_b32 s7, s3
	;; [unrolled: 1-line block ×3, first 2 shown]
	s_wait_kmcnt 0x0
	s_and_b32 s2, s2, 0xffff
	s_delay_alu instid0(SALU_CYCLE_1)
	s_lshl_b32 s6, s2, 2
.LBB2_17:                               ; =>This Inner Loop Header: Depth=1
	global_load_b32 v1, v[4:5], off
	v_bfe_i32 v8, v14, 0, 8
	v_bfe_i32 v10, v13, 0, 8
	;; [unrolled: 1-line block ×3, first 2 shown]
	v_add_nc_u64_e32 v[6:7], s[2:3], v[6:7]
	s_wait_xcnt 0x0
	v_add_nc_u64_e32 v[4:5], s[6:7], v[4:5]
	s_wait_loadcnt 0x0
	v_dual_lshrrev_b32 v13, 16, v1 :: v_dual_ashrrev_i32 v14, 24, v1
	v_ashrrev_i16 v15, 8, v1
	v_bfe_i32 v1, v1, 0, 8
	s_delay_alu instid0(VALU_DEP_3) | instskip(NEXT) | instid1(VALU_DEP_4)
	v_bfe_i32 v13, v13, 0, 8
	v_max_i16 v12, v12, v14
	s_delay_alu instid0(VALU_DEP_4) | instskip(SKIP_1) | instid1(VALU_DEP_4)
	v_max_i16 v8, v8, v15
	v_bfe_i32 v14, v11, 0, 8
	v_max_i16 v10, v10, v13
	s_delay_alu instid0(VALU_DEP_4) | instskip(NEXT) | instid1(VALU_DEP_4)
	v_lshlrev_b16 v12, 8, v12
	v_lshlrev_b16 v8, 8, v8
	s_delay_alu instid0(VALU_DEP_4) | instskip(NEXT) | instid1(VALU_DEP_3)
	v_max_i16 v1, v14, v1
	v_bitop3_b16 v13, v10, v12, 0xff bitop3:0xec
	v_lshlrev_b64_e32 v[10:11], 2, v[6:7]
	s_delay_alu instid0(VALU_DEP_4) | instskip(NEXT) | instid1(VALU_DEP_3)
	v_and_b32_e32 v12, 0xffff, v8
	v_lshlrev_b32_e32 v15, 16, v13
	s_delay_alu instid0(VALU_DEP_3) | instskip(SKIP_1) | instid1(VALU_DEP_3)
	v_cmp_ge_i64_e32 vcc_lo, v[10:11], v[2:3]
	v_bitop3_b16 v11, v1, v8, 0xff bitop3:0xec
	v_or_b32_e32 v10, v12, v15
	s_or_b32 s8, vcc_lo, s8
	s_delay_alu instid0(VALU_DEP_1)
	v_dual_lshrrev_b32 v14, 8, v10 :: v_dual_lshrrev_b32 v12, 24, v15
	s_and_not1_b32 exec_lo, exec_lo, s8
	s_cbranch_execnz .LBB2_17
; %bb.18:
	s_or_b32 exec_lo, exec_lo, s8
.LBB2_19:
	s_delay_alu instid0(SALU_CYCLE_1)
	s_or_b32 exec_lo, exec_lo, s5
.LBB2_20:
	s_delay_alu instid0(VALU_DEP_2) | instskip(NEXT) | instid1(VALU_DEP_2)
	v_bfe_i32 v1, v11, 0, 8
	v_bfe_i32 v2, v14, 0, 8
	s_delay_alu instid0(VALU_DEP_3)
	v_bfe_i32 v3, v13, 0, 8
	v_bfe_i32 v4, v12, 0, 8
	v_mbcnt_lo_u32_b32 v5, -1, 0
	s_mov_b32 s2, exec_lo
	v_max_i16 v1, v1, v2
	s_barrier_signal -1
	s_delay_alu instid0(VALU_DEP_2) | instskip(SKIP_1) | instid1(VALU_DEP_2)
	v_cmp_gt_u32_e32 vcc_lo, 24, v5
	s_barrier_wait -1
	v_max3_i16 v2, v1, v3, v4
	v_lshl_or_b32 v1, v5, 2, 64
	v_cndmask_b32_e64 v4, 0, 8, vcc_lo
	v_cmp_gt_u32_e32 vcc_lo, 28, v5
	s_delay_alu instid0(VALU_DEP_4)
	v_bfe_i32 v3, v2, 0, 16
	v_cndmask_b32_e64 v6, 0, 4, vcc_lo
	ds_bpermute_b32 v3, v1, v3
	v_cmp_gt_u32_e32 vcc_lo, 30, v5
	v_cndmask_b32_e64 v7, 0, 2, vcc_lo
	v_cmp_ne_u32_e32 vcc_lo, 31, v5
	s_wait_dscnt 0x0
	v_bfe_i32 v3, v3, 0, 8
	s_delay_alu instid0(VALU_DEP_1) | instskip(SKIP_1) | instid1(VALU_DEP_2)
	v_max_i16 v3, v2, v3
	v_add_lshl_u32 v2, v4, v5, 2
	v_bfe_i32 v4, v3, 0, 16
	ds_bpermute_b32 v4, v2, v4
	s_wait_dscnt 0x0
	v_bfe_i32 v4, v4, 0, 8
	s_delay_alu instid0(VALU_DEP_1) | instskip(SKIP_1) | instid1(VALU_DEP_2)
	v_max_i16 v4, v3, v4
	v_add_lshl_u32 v3, v6, v5, 2
	v_bfe_i32 v6, v4, 0, 16
	ds_bpermute_b32 v6, v3, v6
	s_wait_dscnt 0x0
	v_bfe_i32 v6, v6, 0, 8
	s_delay_alu instid0(VALU_DEP_1) | instskip(SKIP_2) | instid1(VALU_DEP_3)
	v_max_i16 v6, v4, v6
	v_add_lshl_u32 v4, v7, v5, 2
	v_add_co_ci_u32_e64 v5, null, 0, v5, vcc_lo
	v_bfe_i32 v7, v6, 0, 16
	s_delay_alu instid0(VALU_DEP_2) | instskip(SKIP_3) | instid1(VALU_DEP_1)
	v_lshlrev_b32_e32 v5, 2, v5
	ds_bpermute_b32 v7, v4, v7
	s_wait_dscnt 0x0
	v_bfe_i32 v7, v7, 0, 8
	v_max_i16 v7, v6, v7
	s_delay_alu instid0(VALU_DEP_1) | instskip(SKIP_2) | instid1(VALU_DEP_1)
	v_bfe_i32 v6, v7, 0, 16
	ds_bpermute_b32 v8, v5, v6
	v_and_b32_e32 v6, 31, v0
	v_cmpx_eq_u32_e32 0, v6
	s_cbranch_execz .LBB2_22
; %bb.21:
	s_wait_dscnt 0x0
	v_bfe_i32 v8, v8, 0, 8
	v_bfe_i32 v7, v7, 0, 8
	v_lshrrev_b32_e32 v10, 5, v0
	s_delay_alu instid0(VALU_DEP_2)
	v_max_i16 v7, v7, v8
	ds_store_b8 v10, v7
.LBB2_22:
	s_or_b32 exec_lo, exec_lo, s2
	s_wait_dscnt 0x0
	s_barrier_signal -1
	s_barrier_wait -1
	s_load_b32 s2, s[0:1], 0xd4c
	v_mov_b32_e32 v7, 0x80
	s_wait_kmcnt 0x0
	s_bfe_u32 s2, s2, 0xb0005
	s_delay_alu instid0(SALU_CYCLE_1)
	v_cmp_gt_u32_e32 vcc_lo, s2, v0
	s_and_saveexec_b32 s2, vcc_lo
; %bb.23:
	ds_load_u8 v7, v6
; %bb.24:
	s_or_b32 exec_lo, exec_lo, s2
	s_delay_alu instid0(SALU_CYCLE_1)
	s_mov_b32 s2, exec_lo
	v_cmpx_gt_u32_e32 32, v0
	s_cbranch_execz .LBB2_26
; %bb.25:
	s_wait_dscnt 0x0
	v_bfe_i32 v6, v7, 0, 8
	ds_bpermute_b32 v1, v1, v6
	s_wait_dscnt 0x0
	v_bfe_i32 v1, v1, 0, 8
	s_delay_alu instid0(VALU_DEP_1) | instskip(NEXT) | instid1(VALU_DEP_1)
	v_max_i16 v1, v6, v1
	v_bfe_i32 v6, v1, 0, 16
	ds_bpermute_b32 v2, v2, v6
	s_wait_dscnt 0x0
	v_bfe_i32 v2, v2, 0, 8
	s_delay_alu instid0(VALU_DEP_1) | instskip(NEXT) | instid1(VALU_DEP_1)
	v_max_i16 v1, v1, v2
	;; [unrolled: 6-line block ×4, first 2 shown]
	v_bfe_i32 v2, v1, 0, 16
	ds_bpermute_b32 v2, v5, v2
	s_wait_dscnt 0x0
	v_bfe_i32 v2, v2, 0, 8
	s_delay_alu instid0(VALU_DEP_1)
	v_max_i16 v7, v1, v2
.LBB2_26:
	s_or_b32 exec_lo, exec_lo, s2
	s_delay_alu instid0(SALU_CYCLE_1)
	s_mov_b32 s2, exec_lo
	v_cmpx_eq_u32_e32 0, v0
	s_cbranch_execz .LBB2_28
; %bb.27:
	s_clause 0x1
	s_load_b32 s2, s[0:1], 0xd20
	s_load_b96 s[8:10], s[0:1], 0xd30
	v_and_b32_e32 v0, 0xff, v9
	s_wait_kmcnt 0x0
	s_delay_alu instid0(VALU_DEP_1) | instskip(NEXT) | instid1(VALU_DEP_1)
	v_add_nc_u32_e32 v0, s2, v0
	v_mul_lo_u32 v0, v0, s10
	s_delay_alu instid0(VALU_DEP_1)
	v_add_nc_u32_e32 v0, s4, v0
	s_wait_dscnt 0x0
	global_store_b8 v0, v7, s[8:9]
.LBB2_28:
	s_endpgm
	.section	.rodata,"a",@progbits
	.p2align	6, 0x0
	.amdhsa_kernel _ZN2at6native12_GLOBAL__N_125multi_tensor_apply_kernelINS1_18TensorListMetadataILi1EEENS0_12LpMaxFunctorIaLi1ELi1ELi0EEEJPaiEEEvT_T0_DpT1_
		.amdhsa_group_segment_fixed_size 512
		.amdhsa_private_segment_fixed_size 0
		.amdhsa_kernarg_size 3648
		.amdhsa_user_sgpr_count 2
		.amdhsa_user_sgpr_dispatch_ptr 0
		.amdhsa_user_sgpr_queue_ptr 0
		.amdhsa_user_sgpr_kernarg_segment_ptr 1
		.amdhsa_user_sgpr_dispatch_id 0
		.amdhsa_user_sgpr_kernarg_preload_length 0
		.amdhsa_user_sgpr_kernarg_preload_offset 0
		.amdhsa_user_sgpr_private_segment_size 0
		.amdhsa_wavefront_size32 1
		.amdhsa_uses_dynamic_stack 0
		.amdhsa_enable_private_segment 0
		.amdhsa_system_sgpr_workgroup_id_x 1
		.amdhsa_system_sgpr_workgroup_id_y 0
		.amdhsa_system_sgpr_workgroup_id_z 0
		.amdhsa_system_sgpr_workgroup_info 0
		.amdhsa_system_vgpr_workitem_id 0
		.amdhsa_next_free_vgpr 18
		.amdhsa_next_free_sgpr 14
		.amdhsa_named_barrier_count 0
		.amdhsa_reserve_vcc 1
		.amdhsa_float_round_mode_32 0
		.amdhsa_float_round_mode_16_64 0
		.amdhsa_float_denorm_mode_32 3
		.amdhsa_float_denorm_mode_16_64 3
		.amdhsa_fp16_overflow 0
		.amdhsa_memory_ordered 1
		.amdhsa_forward_progress 1
		.amdhsa_inst_pref_size 15
		.amdhsa_round_robin_scheduling 0
		.amdhsa_exception_fp_ieee_invalid_op 0
		.amdhsa_exception_fp_denorm_src 0
		.amdhsa_exception_fp_ieee_div_zero 0
		.amdhsa_exception_fp_ieee_overflow 0
		.amdhsa_exception_fp_ieee_underflow 0
		.amdhsa_exception_fp_ieee_inexact 0
		.amdhsa_exception_int_div_zero 0
	.end_amdhsa_kernel
	.section	.text._ZN2at6native12_GLOBAL__N_125multi_tensor_apply_kernelINS1_18TensorListMetadataILi1EEENS0_12LpMaxFunctorIaLi1ELi1ELi0EEEJPaiEEEvT_T0_DpT1_,"axG",@progbits,_ZN2at6native12_GLOBAL__N_125multi_tensor_apply_kernelINS1_18TensorListMetadataILi1EEENS0_12LpMaxFunctorIaLi1ELi1ELi0EEEJPaiEEEvT_T0_DpT1_,comdat
.Lfunc_end2:
	.size	_ZN2at6native12_GLOBAL__N_125multi_tensor_apply_kernelINS1_18TensorListMetadataILi1EEENS0_12LpMaxFunctorIaLi1ELi1ELi0EEEJPaiEEEvT_T0_DpT1_, .Lfunc_end2-_ZN2at6native12_GLOBAL__N_125multi_tensor_apply_kernelINS1_18TensorListMetadataILi1EEENS0_12LpMaxFunctorIaLi1ELi1ELi0EEEJPaiEEEvT_T0_DpT1_
                                        ; -- End function
	.set _ZN2at6native12_GLOBAL__N_125multi_tensor_apply_kernelINS1_18TensorListMetadataILi1EEENS0_12LpMaxFunctorIaLi1ELi1ELi0EEEJPaiEEEvT_T0_DpT1_.num_vgpr, 18
	.set _ZN2at6native12_GLOBAL__N_125multi_tensor_apply_kernelINS1_18TensorListMetadataILi1EEENS0_12LpMaxFunctorIaLi1ELi1ELi0EEEJPaiEEEvT_T0_DpT1_.num_agpr, 0
	.set _ZN2at6native12_GLOBAL__N_125multi_tensor_apply_kernelINS1_18TensorListMetadataILi1EEENS0_12LpMaxFunctorIaLi1ELi1ELi0EEEJPaiEEEvT_T0_DpT1_.numbered_sgpr, 14
	.set _ZN2at6native12_GLOBAL__N_125multi_tensor_apply_kernelINS1_18TensorListMetadataILi1EEENS0_12LpMaxFunctorIaLi1ELi1ELi0EEEJPaiEEEvT_T0_DpT1_.num_named_barrier, 0
	.set _ZN2at6native12_GLOBAL__N_125multi_tensor_apply_kernelINS1_18TensorListMetadataILi1EEENS0_12LpMaxFunctorIaLi1ELi1ELi0EEEJPaiEEEvT_T0_DpT1_.private_seg_size, 0
	.set _ZN2at6native12_GLOBAL__N_125multi_tensor_apply_kernelINS1_18TensorListMetadataILi1EEENS0_12LpMaxFunctorIaLi1ELi1ELi0EEEJPaiEEEvT_T0_DpT1_.uses_vcc, 1
	.set _ZN2at6native12_GLOBAL__N_125multi_tensor_apply_kernelINS1_18TensorListMetadataILi1EEENS0_12LpMaxFunctorIaLi1ELi1ELi0EEEJPaiEEEvT_T0_DpT1_.uses_flat_scratch, 0
	.set _ZN2at6native12_GLOBAL__N_125multi_tensor_apply_kernelINS1_18TensorListMetadataILi1EEENS0_12LpMaxFunctorIaLi1ELi1ELi0EEEJPaiEEEvT_T0_DpT1_.has_dyn_sized_stack, 0
	.set _ZN2at6native12_GLOBAL__N_125multi_tensor_apply_kernelINS1_18TensorListMetadataILi1EEENS0_12LpMaxFunctorIaLi1ELi1ELi0EEEJPaiEEEvT_T0_DpT1_.has_recursion, 0
	.set _ZN2at6native12_GLOBAL__N_125multi_tensor_apply_kernelINS1_18TensorListMetadataILi1EEENS0_12LpMaxFunctorIaLi1ELi1ELi0EEEJPaiEEEvT_T0_DpT1_.has_indirect_call, 0
	.section	.AMDGPU.csdata,"",@progbits
; Kernel info:
; codeLenInByte = 1832
; TotalNumSgprs: 16
; NumVgprs: 18
; ScratchSize: 0
; MemoryBound: 0
; FloatMode: 240
; IeeeMode: 1
; LDSByteSize: 512 bytes/workgroup (compile time only)
; SGPRBlocks: 0
; VGPRBlocks: 1
; NumSGPRsForWavesPerEU: 16
; NumVGPRsForWavesPerEU: 18
; NamedBarCnt: 0
; Occupancy: 16
; WaveLimiterHint : 0
; COMPUTE_PGM_RSRC2:SCRATCH_EN: 0
; COMPUTE_PGM_RSRC2:USER_SGPR: 2
; COMPUTE_PGM_RSRC2:TRAP_HANDLER: 0
; COMPUTE_PGM_RSRC2:TGID_X_EN: 1
; COMPUTE_PGM_RSRC2:TGID_Y_EN: 0
; COMPUTE_PGM_RSRC2:TGID_Z_EN: 0
; COMPUTE_PGM_RSRC2:TIDIG_COMP_CNT: 0
	.section	.text._ZN2at6native13lpmax_cleanupIaEEvPKT_NS0_19TensorListAddressesEi,"axG",@progbits,_ZN2at6native13lpmax_cleanupIaEEvPKT_NS0_19TensorListAddressesEi,comdat
	.protected	_ZN2at6native13lpmax_cleanupIaEEvPKT_NS0_19TensorListAddressesEi ; -- Begin function _ZN2at6native13lpmax_cleanupIaEEvPKT_NS0_19TensorListAddressesEi
	.globl	_ZN2at6native13lpmax_cleanupIaEEvPKT_NS0_19TensorListAddressesEi
	.p2align	8
	.type	_ZN2at6native13lpmax_cleanupIaEEvPKT_NS0_19TensorListAddressesEi,@function
_ZN2at6native13lpmax_cleanupIaEEvPKT_NS0_19TensorListAddressesEi: ; @_ZN2at6native13lpmax_cleanupIaEEvPKT_NS0_19TensorListAddressesEi
; %bb.0:
	s_load_b32 s2, s[0:1], 0xc88
	s_bfe_u32 s3, ttmp6, 0x4000c
	s_and_b32 s4, ttmp6, 15
	s_add_co_i32 s3, s3, 1
	s_getreg_b32 s5, hwreg(HW_REG_IB_STS2, 6, 4)
	s_mul_i32 s3, ttmp9, s3
	v_mov_b32_e32 v4, 0x80
	s_add_co_i32 s4, s4, s3
	s_cmp_eq_u32 s5, 0
	s_mov_b32 s5, 0
	s_cselect_b32 s8, ttmp9, s4
	s_mov_b32 s9, exec_lo
	s_wait_kmcnt 0x0
	v_cmpx_gt_u32_e64 s2, v0
	s_cbranch_execz .LBB3_4
; %bb.1:
	s_clause 0x1
	s_load_b64 s[6:7], s[0:1], 0x0
	s_load_b32 s10, s[0:1], 0xc9c
	v_dual_mov_b32 v1, 0 :: v_dual_mov_b32 v4, 0x80
	s_mul_i32 s4, s2, s8
	s_ashr_i32 s3, s2, 31
	s_delay_alu instid0(VALU_DEP_1)
	v_mov_b64_e32 v[2:3], v[0:1]
	s_wait_kmcnt 0x0
	s_add_nc_u64 s[6:7], s[6:7], s[4:5]
	s_and_b32 s4, s10, 0xffff
	s_mov_b32 s10, s5
.LBB3_2:                                ; =>This Inner Loop Header: Depth=1
	s_delay_alu instid0(VALU_DEP_1)
	v_add_nc_u64_e32 v[6:7], s[6:7], v[2:3]
	v_add_nc_u64_e32 v[2:3], s[4:5], v[2:3]
	v_bfe_i32 v4, v4, 0, 8
	global_load_i8 v1, v[6:7], off
	v_cmp_le_u64_e32 vcc_lo, s[2:3], v[2:3]
	s_or_b32 s10, vcc_lo, s10
	s_wait_loadcnt 0x0
	v_max_i16 v4, v4, v1
	s_and_not1_b32 exec_lo, exec_lo, s10
	s_cbranch_execnz .LBB3_2
; %bb.3:
	s_or_b32 exec_lo, exec_lo, s10
.LBB3_4:
	s_delay_alu instid0(SALU_CYCLE_1) | instskip(SKIP_4) | instid1(VALU_DEP_2)
	s_or_b32 exec_lo, exec_lo, s9
	v_mbcnt_lo_u32_b32 v5, -1, 0
	v_bfe_i32 v2, v4, 0, 8
	s_mov_b32 s2, exec_lo
	s_barrier_signal -1
	v_lshl_or_b32 v1, v5, 2, 64
	v_cmp_gt_u32_e32 vcc_lo, 24, v5
	s_barrier_wait -1
	ds_bpermute_b32 v3, v1, v2
	v_cndmask_b32_e64 v4, 0, 8, vcc_lo
	v_cmp_gt_u32_e32 vcc_lo, 28, v5
	v_cndmask_b32_e64 v6, 0, 4, vcc_lo
	v_cmp_gt_u32_e32 vcc_lo, 30, v5
	v_cndmask_b32_e64 v7, 0, 2, vcc_lo
	v_cmp_ne_u32_e32 vcc_lo, 31, v5
	s_wait_dscnt 0x0
	v_bfe_i32 v3, v3, 0, 8
	s_delay_alu instid0(VALU_DEP_1) | instskip(SKIP_1) | instid1(VALU_DEP_2)
	v_max_i16 v3, v2, v3
	v_add_lshl_u32 v2, v4, v5, 2
	v_bfe_i32 v4, v3, 0, 16
	ds_bpermute_b32 v4, v2, v4
	s_wait_dscnt 0x0
	v_bfe_i32 v4, v4, 0, 8
	s_delay_alu instid0(VALU_DEP_1) | instskip(SKIP_1) | instid1(VALU_DEP_2)
	v_max_i16 v4, v3, v4
	v_add_lshl_u32 v3, v6, v5, 2
	v_bfe_i32 v6, v4, 0, 16
	ds_bpermute_b32 v6, v3, v6
	s_wait_dscnt 0x0
	v_bfe_i32 v6, v6, 0, 8
	s_delay_alu instid0(VALU_DEP_1) | instskip(SKIP_2) | instid1(VALU_DEP_3)
	v_max_i16 v6, v4, v6
	v_add_lshl_u32 v4, v7, v5, 2
	v_add_co_ci_u32_e64 v5, null, 0, v5, vcc_lo
	v_bfe_i32 v7, v6, 0, 16
	s_delay_alu instid0(VALU_DEP_2) | instskip(SKIP_3) | instid1(VALU_DEP_1)
	v_lshlrev_b32_e32 v5, 2, v5
	ds_bpermute_b32 v7, v4, v7
	s_wait_dscnt 0x0
	v_bfe_i32 v7, v7, 0, 8
	v_max_i16 v7, v6, v7
	s_delay_alu instid0(VALU_DEP_1) | instskip(SKIP_2) | instid1(VALU_DEP_1)
	v_bfe_i32 v6, v7, 0, 16
	ds_bpermute_b32 v8, v5, v6
	v_and_b32_e32 v6, 31, v0
	v_cmpx_eq_u32_e32 0, v6
	s_cbranch_execz .LBB3_6
; %bb.5:
	s_wait_dscnt 0x0
	v_bfe_i32 v8, v8, 0, 8
	s_delay_alu instid0(VALU_DEP_1)
	v_max_i16 v7, v7, v8
	v_lshrrev_b32_e32 v8, 5, v0
	ds_store_b8 v8, v7
.LBB3_6:
	s_or_b32 exec_lo, exec_lo, s2
	s_wait_dscnt 0x0
	s_barrier_signal -1
	s_barrier_wait -1
	s_load_b32 s2, s[0:1], 0xc9c
	v_mov_b32_e32 v7, 0x80
	s_wait_kmcnt 0x0
	s_bfe_u32 s2, s2, 0xb0005
	s_delay_alu instid0(SALU_CYCLE_1)
	v_cmp_gt_u32_e32 vcc_lo, s2, v0
	s_and_saveexec_b32 s2, vcc_lo
; %bb.7:
	ds_load_u8 v7, v6
; %bb.8:
	s_or_b32 exec_lo, exec_lo, s2
	s_delay_alu instid0(SALU_CYCLE_1)
	s_mov_b32 s2, exec_lo
	v_cmpx_gt_u32_e32 32, v0
	s_cbranch_execz .LBB3_10
; %bb.9:
	s_wait_dscnt 0x0
	v_bfe_i32 v6, v7, 0, 8
	ds_bpermute_b32 v1, v1, v6
	s_wait_dscnt 0x0
	v_bfe_i32 v1, v1, 0, 8
	s_delay_alu instid0(VALU_DEP_1) | instskip(NEXT) | instid1(VALU_DEP_1)
	v_max_i16 v1, v6, v1
	v_bfe_i32 v6, v1, 0, 16
	ds_bpermute_b32 v2, v2, v6
	s_wait_dscnt 0x0
	v_bfe_i32 v2, v2, 0, 8
	s_delay_alu instid0(VALU_DEP_1) | instskip(NEXT) | instid1(VALU_DEP_1)
	v_max_i16 v1, v1, v2
	;; [unrolled: 6-line block ×4, first 2 shown]
	v_bfe_i32 v2, v1, 0, 16
	ds_bpermute_b32 v2, v5, v2
	s_wait_dscnt 0x0
	v_bfe_i32 v2, v2, 0, 8
	s_delay_alu instid0(VALU_DEP_1)
	v_max_i16 v7, v1, v2
.LBB3_10:
	s_or_b32 exec_lo, exec_lo, s2
	s_delay_alu instid0(SALU_CYCLE_1)
	s_mov_b32 s2, exec_lo
	v_cmpx_eq_u32_e32 0, v0
	s_cbranch_execz .LBB3_12
; %bb.11:
	s_load_b64 s[0:1], s[0:1], s8 offset:0x8 scale_offset
	v_mov_b32_e32 v0, 0
	s_wait_dscnt 0x0
	s_wait_kmcnt 0x0
	global_store_b8 v0, v7, s[0:1]
.LBB3_12:
	s_endpgm
	.section	.rodata,"a",@progbits
	.p2align	6, 0x0
	.amdhsa_kernel _ZN2at6native13lpmax_cleanupIaEEvPKT_NS0_19TensorListAddressesEi
		.amdhsa_group_segment_fixed_size 512
		.amdhsa_private_segment_fixed_size 0
		.amdhsa_kernarg_size 3472
		.amdhsa_user_sgpr_count 2
		.amdhsa_user_sgpr_dispatch_ptr 0
		.amdhsa_user_sgpr_queue_ptr 0
		.amdhsa_user_sgpr_kernarg_segment_ptr 1
		.amdhsa_user_sgpr_dispatch_id 0
		.amdhsa_user_sgpr_kernarg_preload_length 0
		.amdhsa_user_sgpr_kernarg_preload_offset 0
		.amdhsa_user_sgpr_private_segment_size 0
		.amdhsa_wavefront_size32 1
		.amdhsa_uses_dynamic_stack 0
		.amdhsa_enable_private_segment 0
		.amdhsa_system_sgpr_workgroup_id_x 1
		.amdhsa_system_sgpr_workgroup_id_y 0
		.amdhsa_system_sgpr_workgroup_id_z 0
		.amdhsa_system_sgpr_workgroup_info 0
		.amdhsa_system_vgpr_workitem_id 0
		.amdhsa_next_free_vgpr 9
		.amdhsa_next_free_sgpr 11
		.amdhsa_named_barrier_count 0
		.amdhsa_reserve_vcc 1
		.amdhsa_float_round_mode_32 0
		.amdhsa_float_round_mode_16_64 0
		.amdhsa_float_denorm_mode_32 3
		.amdhsa_float_denorm_mode_16_64 3
		.amdhsa_fp16_overflow 0
		.amdhsa_memory_ordered 1
		.amdhsa_forward_progress 1
		.amdhsa_inst_pref_size 7
		.amdhsa_round_robin_scheduling 0
		.amdhsa_exception_fp_ieee_invalid_op 0
		.amdhsa_exception_fp_denorm_src 0
		.amdhsa_exception_fp_ieee_div_zero 0
		.amdhsa_exception_fp_ieee_overflow 0
		.amdhsa_exception_fp_ieee_underflow 0
		.amdhsa_exception_fp_ieee_inexact 0
		.amdhsa_exception_int_div_zero 0
	.end_amdhsa_kernel
	.section	.text._ZN2at6native13lpmax_cleanupIaEEvPKT_NS0_19TensorListAddressesEi,"axG",@progbits,_ZN2at6native13lpmax_cleanupIaEEvPKT_NS0_19TensorListAddressesEi,comdat
.Lfunc_end3:
	.size	_ZN2at6native13lpmax_cleanupIaEEvPKT_NS0_19TensorListAddressesEi, .Lfunc_end3-_ZN2at6native13lpmax_cleanupIaEEvPKT_NS0_19TensorListAddressesEi
                                        ; -- End function
	.set _ZN2at6native13lpmax_cleanupIaEEvPKT_NS0_19TensorListAddressesEi.num_vgpr, 9
	.set _ZN2at6native13lpmax_cleanupIaEEvPKT_NS0_19TensorListAddressesEi.num_agpr, 0
	.set _ZN2at6native13lpmax_cleanupIaEEvPKT_NS0_19TensorListAddressesEi.numbered_sgpr, 11
	.set _ZN2at6native13lpmax_cleanupIaEEvPKT_NS0_19TensorListAddressesEi.num_named_barrier, 0
	.set _ZN2at6native13lpmax_cleanupIaEEvPKT_NS0_19TensorListAddressesEi.private_seg_size, 0
	.set _ZN2at6native13lpmax_cleanupIaEEvPKT_NS0_19TensorListAddressesEi.uses_vcc, 1
	.set _ZN2at6native13lpmax_cleanupIaEEvPKT_NS0_19TensorListAddressesEi.uses_flat_scratch, 0
	.set _ZN2at6native13lpmax_cleanupIaEEvPKT_NS0_19TensorListAddressesEi.has_dyn_sized_stack, 0
	.set _ZN2at6native13lpmax_cleanupIaEEvPKT_NS0_19TensorListAddressesEi.has_recursion, 0
	.set _ZN2at6native13lpmax_cleanupIaEEvPKT_NS0_19TensorListAddressesEi.has_indirect_call, 0
	.section	.AMDGPU.csdata,"",@progbits
; Kernel info:
; codeLenInByte = 892
; TotalNumSgprs: 13
; NumVgprs: 9
; ScratchSize: 0
; MemoryBound: 0
; FloatMode: 240
; IeeeMode: 1
; LDSByteSize: 512 bytes/workgroup (compile time only)
; SGPRBlocks: 0
; VGPRBlocks: 0
; NumSGPRsForWavesPerEU: 13
; NumVGPRsForWavesPerEU: 9
; NamedBarCnt: 0
; Occupancy: 16
; WaveLimiterHint : 0
; COMPUTE_PGM_RSRC2:SCRATCH_EN: 0
; COMPUTE_PGM_RSRC2:USER_SGPR: 2
; COMPUTE_PGM_RSRC2:TRAP_HANDLER: 0
; COMPUTE_PGM_RSRC2:TGID_X_EN: 1
; COMPUTE_PGM_RSRC2:TGID_Y_EN: 0
; COMPUTE_PGM_RSRC2:TGID_Z_EN: 0
; COMPUTE_PGM_RSRC2:TIDIG_COMP_CNT: 0
	.section	.text._ZN2at6native12_GLOBAL__N_125multi_tensor_apply_kernelINS1_18TensorListMetadataILi1EEENS0_12LpMaxFunctorIiLi1ELi1ELi0EEEJPiiEEEvT_T0_DpT1_,"axG",@progbits,_ZN2at6native12_GLOBAL__N_125multi_tensor_apply_kernelINS1_18TensorListMetadataILi1EEENS0_12LpMaxFunctorIiLi1ELi1ELi0EEEJPiiEEEvT_T0_DpT1_,comdat
	.globl	_ZN2at6native12_GLOBAL__N_125multi_tensor_apply_kernelINS1_18TensorListMetadataILi1EEENS0_12LpMaxFunctorIiLi1ELi1ELi0EEEJPiiEEEvT_T0_DpT1_ ; -- Begin function _ZN2at6native12_GLOBAL__N_125multi_tensor_apply_kernelINS1_18TensorListMetadataILi1EEENS0_12LpMaxFunctorIiLi1ELi1ELi0EEEJPiiEEEvT_T0_DpT1_
	.p2align	8
	.type	_ZN2at6native12_GLOBAL__N_125multi_tensor_apply_kernelINS1_18TensorListMetadataILi1EEENS0_12LpMaxFunctorIiLi1ELi1ELi0EEEJPiiEEEvT_T0_DpT1_,@function
_ZN2at6native12_GLOBAL__N_125multi_tensor_apply_kernelINS1_18TensorListMetadataILi1EEENS0_12LpMaxFunctorIiLi1ELi1ELi0EEEJPiiEEEvT_T0_DpT1_: ; @_ZN2at6native12_GLOBAL__N_125multi_tensor_apply_kernelINS1_18TensorListMetadataILi1EEENS0_12LpMaxFunctorIiLi1ELi1ELi0EEEJPiiEEEvT_T0_DpT1_
; %bb.0:
	s_bfe_u32 s2, ttmp6, 0x4000c
	s_and_b32 s3, ttmp6, 15
	s_add_co_i32 s2, s2, 1
	s_getreg_b32 s4, hwreg(HW_REG_IB_STS2, 6, 4)
	s_mul_i32 s2, ttmp9, s2
	s_delay_alu instid0(SALU_CYCLE_1)
	s_add_co_i32 s3, s3, s2
	s_cmp_eq_u32 s4, 0
	s_cselect_b32 s2, ttmp9, s3
	s_mov_b32 s3, 0
	v_mov_b32_e32 v1, s2
	s_add_nc_u64 s[4:5], s[0:1], s[2:3]
	s_mul_u64 s[6:7], s[2:3], 3
	s_delay_alu instid0(SALU_CYCLE_1) | instskip(SKIP_4) | instid1(SALU_CYCLE_1)
	s_add_nc_u64 s[4:5], s[4:5], s[6:7]
	global_load_u8 v13, v1, s[0:1] offset:1760
	s_load_b32 s4, s[4:5], 0x820
	s_wait_kmcnt 0x0
	s_ashr_i32 s5, s4, 31
	s_lshl_b64 s[10:11], s[4:5], 18
	s_wait_loadcnt 0x0
	v_readfirstlane_b32 s2, v13
	s_and_b32 s2, s2, 0xff
	s_clause 0x1
	s_load_b64 s[6:7], s[0:1], s2 offset:0x0 scale_offset
	s_load_b64 s[8:9], s[0:1], s2 offset:0x370 scale_offset
	s_wait_kmcnt 0x0
	s_add_nc_u64 s[6:7], s[6:7], s[10:11]
	s_and_b32 s2, s8, 3
	s_and_b64 s[10:11], s[6:7], 15
	s_delay_alu instid0(SALU_CYCLE_1)
	s_or_b64 s[2:3], s[2:3], s[10:11]
	s_lshl_b64 s[10:11], s[4:5], 16
	s_cmp_eq_u64 s[2:3], 0
	s_sub_nc_u64 s[8:9], s[8:9], s[10:11]
	s_cbranch_scc1 .LBB4_12
; %bb.1:
	v_cmp_lt_i64_e64 s2, s[8:9], 1
	s_and_b32 vcc_lo, exec_lo, s2
	s_cbranch_vccnz .LBB4_13
; %bb.2:
	s_load_b32 s2, s[0:1], 0xd4c
	v_min_i64 v[6:7], 0x10000, s[8:9]
	v_bfrev_b32_e32 v2, 1
	s_mov_b32 s11, 0
	s_mov_b64 s[12:13], 0
	s_delay_alu instid0(VALU_DEP_1) | instskip(SKIP_3) | instid1(SALU_CYCLE_1)
	v_dual_mov_b32 v3, v2 :: v_dual_mov_b32 v4, v2
	v_mov_b32_e32 v5, v2
	s_wait_kmcnt 0x0
	s_and_b32 s2, s2, 0xffff
	v_dual_mov_b32 v11, 0 :: v_dual_add_nc_u32 v14, s2, v0
	v_mad_u32 v8, s2, 3, v0
	v_lshl_add_u32 v12, s2, 1, v0
	s_lshl_b32 s10, s2, 2
	s_branch .LBB4_4
.LBB4_3:                                ;   in Loop: Header=BB4_4 Depth=1
	s_or_b32 exec_lo, exec_lo, s2
	s_add_nc_u64 s[12:13], s[12:13], s[10:11]
	s_delay_alu instid0(SALU_CYCLE_1)
	v_cmp_lt_i64_e32 vcc_lo, s[12:13], v[6:7]
	s_cbranch_vccz .LBB4_14
.LBB4_4:                                ; =>This Inner Loop Header: Depth=1
	v_add_nc_u32_e32 v10, s12, v0
	s_delay_alu instid0(VALU_DEP_1) | instskip(SKIP_2) | instid1(SALU_CYCLE_1)
	v_cmp_gt_i64_e32 vcc_lo, s[8:9], v[10:11]
	v_cmp_gt_u32_e64 s2, 0x10000, v10
	s_and_b32 s3, s2, vcc_lo
	s_and_saveexec_b32 s2, s3
	s_cbranch_execz .LBB4_6
; %bb.5:                                ;   in Loop: Header=BB4_4 Depth=1
	v_lshl_add_u64 v[16:17], v[10:11], 2, s[6:7]
	global_load_b32 v1, v[16:17], off
	s_wait_loadcnt 0x0
	v_max_i32_e32 v2, v2, v1
.LBB4_6:                                ;   in Loop: Header=BB4_4 Depth=1
	s_or_b32 exec_lo, exec_lo, s2
	v_add_nc_u32_e32 v10, s12, v14
	s_delay_alu instid0(VALU_DEP_1) | instskip(SKIP_2) | instid1(SALU_CYCLE_1)
	v_cmp_gt_i64_e32 vcc_lo, s[8:9], v[10:11]
	v_cmp_gt_u32_e64 s2, 0x10000, v10
	s_and_b32 s3, s2, vcc_lo
	s_and_saveexec_b32 s2, s3
	s_cbranch_execz .LBB4_8
; %bb.7:                                ;   in Loop: Header=BB4_4 Depth=1
	v_lshl_add_u64 v[16:17], v[10:11], 2, s[6:7]
	global_load_b32 v1, v[16:17], off
	s_wait_loadcnt 0x0
	v_max_i32_e32 v3, v3, v1
.LBB4_8:                                ;   in Loop: Header=BB4_4 Depth=1
	s_or_b32 exec_lo, exec_lo, s2
	v_add_nc_u32_e32 v10, s12, v12
	s_delay_alu instid0(VALU_DEP_1) | instskip(SKIP_2) | instid1(SALU_CYCLE_1)
	v_cmp_gt_i64_e32 vcc_lo, s[8:9], v[10:11]
	v_cmp_gt_u32_e64 s2, 0x10000, v10
	s_and_b32 s3, s2, vcc_lo
	s_and_saveexec_b32 s2, s3
	s_cbranch_execz .LBB4_10
; %bb.9:                                ;   in Loop: Header=BB4_4 Depth=1
	v_lshl_add_u64 v[16:17], v[10:11], 2, s[6:7]
	global_load_b32 v1, v[16:17], off
	s_wait_loadcnt 0x0
	v_max_i32_e32 v4, v4, v1
.LBB4_10:                               ;   in Loop: Header=BB4_4 Depth=1
	s_or_b32 exec_lo, exec_lo, s2
	v_add_nc_u32_e32 v10, s12, v8
	s_delay_alu instid0(VALU_DEP_1) | instskip(SKIP_2) | instid1(SALU_CYCLE_1)
	v_cmp_gt_i64_e32 vcc_lo, s[8:9], v[10:11]
	v_cmp_gt_u32_e64 s2, 0x10000, v10
	s_and_b32 s3, s2, vcc_lo
	s_and_saveexec_b32 s2, s3
	s_cbranch_execz .LBB4_3
; %bb.11:                               ;   in Loop: Header=BB4_4 Depth=1
	v_lshl_add_u64 v[16:17], v[10:11], 2, s[6:7]
	global_load_b32 v1, v[16:17], off
	s_wait_loadcnt 0x0
	v_max_i32_e32 v5, v5, v1
	s_branch .LBB4_3
.LBB4_12:
                                        ; implicit-def: $vgpr2_vgpr3_vgpr4_vgpr5
	s_branch .LBB4_15
.LBB4_13:
	v_bfrev_b32_e32 v2, 1
	s_delay_alu instid0(VALU_DEP_1)
	v_dual_mov_b32 v3, v2 :: v_dual_mov_b32 v4, v2
	v_mov_b32_e32 v5, v2
.LBB4_14:
	s_cbranch_execnz .LBB4_20
.LBB4_15:
	v_min_i64 v[6:7], 0x10000, s[8:9]
	v_bfrev_b32_e32 v2, 1
	v_dual_mov_b32 v9, 0 :: v_dual_lshlrev_b32 v8, 2, v0
	s_mov_b32 s5, exec_lo
	s_delay_alu instid0(VALU_DEP_2) | instskip(SKIP_1) | instid1(VALU_DEP_3)
	v_dual_mov_b32 v3, v2 :: v_dual_mov_b32 v4, v2
	v_mov_b32_e32 v5, v2
	v_cmpx_lt_i64_e64 v[8:9], v[6:7]
	s_cbranch_execz .LBB4_19
; %bb.16:
	s_load_b32 s2, s[0:1], 0xd4c
	v_dual_mov_b32 v1, v9 :: v_dual_lshlrev_b32 v8, 4, v0
	v_bfrev_b32_e32 v3, 1
	v_bfrev_b32_e32 v4, 1
	;; [unrolled: 1-line block ×3, first 2 shown]
	s_delay_alu instid0(VALU_DEP_4) | instskip(SKIP_1) | instid1(SALU_CYCLE_1)
	v_add_nc_u64_e32 v[10:11], s[6:7], v[8:9]
	s_mov_b32 s3, 0
	s_mov_b32 s7, s3
	;; [unrolled: 1-line block ×3, first 2 shown]
	s_delay_alu instid0(VALU_DEP_1) | instskip(SKIP_3) | instid1(SALU_CYCLE_1)
	v_add_nc_u64_e32 v[8:9], 8, v[10:11]
	v_mov_b64_e32 v[10:11], v[0:1]
	s_wait_kmcnt 0x0
	s_and_b32 s2, s2, 0xffff
	s_lshl_b32 s6, s2, 4
.LBB4_17:                               ; =>This Inner Loop Header: Depth=1
	global_load_b128 v[14:17], v[8:9], off offset:-8
	v_add_nc_u64_e32 v[10:11], s[2:3], v[10:11]
	s_wait_xcnt 0x0
	v_add_nc_u64_e32 v[8:9], s[6:7], v[8:9]
	s_delay_alu instid0(VALU_DEP_2) | instskip(NEXT) | instid1(VALU_DEP_1)
	v_lshlrev_b64_e32 v[18:19], 2, v[10:11]
	v_cmp_ge_i64_e32 vcc_lo, v[18:19], v[6:7]
	s_or_b32 s8, vcc_lo, s8
	s_wait_loadcnt 0x0
	v_max_i32_e32 v2, v2, v14
	v_max_i32_e32 v3, v3, v15
	;; [unrolled: 1-line block ×4, first 2 shown]
	s_and_not1_b32 exec_lo, exec_lo, s8
	s_cbranch_execnz .LBB4_17
; %bb.18:
	s_or_b32 exec_lo, exec_lo, s8
.LBB4_19:
	s_delay_alu instid0(SALU_CYCLE_1)
	s_or_b32 exec_lo, exec_lo, s5
.LBB4_20:
	s_delay_alu instid0(VALU_DEP_2) | instskip(SKIP_3) | instid1(VALU_DEP_2)
	v_max_i32_e32 v1, v2, v3
	v_mbcnt_lo_u32_b32 v6, -1, 0
	s_mov_b32 s2, exec_lo
	s_barrier_signal -1
	v_max3_i32 v3, v1, v4, v5
	s_delay_alu instid0(VALU_DEP_2)
	v_lshl_or_b32 v1, v6, 2, 64
	v_cmp_gt_u32_e32 vcc_lo, 24, v6
	s_barrier_wait -1
	ds_bpermute_b32 v4, v1, v3
	v_cndmask_b32_e64 v2, 0, 8, vcc_lo
	v_cmp_gt_u32_e32 vcc_lo, 28, v6
	s_delay_alu instid0(VALU_DEP_2)
	v_add_lshl_u32 v2, v2, v6, 2
	s_wait_dscnt 0x0
	v_max_i32_e32 v4, v3, v4
	v_cndmask_b32_e64 v3, 0, 4, vcc_lo
	v_cmp_gt_u32_e32 vcc_lo, 30, v6
	ds_bpermute_b32 v5, v2, v4
	v_add_lshl_u32 v3, v3, v6, 2
	s_wait_dscnt 0x0
	v_max_i32_e32 v5, v4, v5
	v_cndmask_b32_e64 v4, 0, 2, vcc_lo
	v_cmp_ne_u32_e32 vcc_lo, 31, v6
	ds_bpermute_b32 v7, v3, v5
	v_add_lshl_u32 v4, v4, v6, 2
	v_add_co_ci_u32_e64 v8, null, 0, v6, vcc_lo
	s_wait_dscnt 0x0
	v_max_i32_e32 v5, v5, v7
	ds_bpermute_b32 v7, v4, v5
	s_wait_dscnt 0x0
	v_dual_lshlrev_b32 v5, 2, v8 :: v_dual_max_i32 v6, v5, v7
	v_and_b32_e32 v7, 31, v0
	ds_bpermute_b32 v8, v5, v6
	v_cmpx_eq_u32_e32 0, v7
	s_cbranch_execz .LBB4_22
; %bb.21:
	v_lshrrev_b32_e32 v9, 3, v0
	s_wait_dscnt 0x0
	v_max_i32_e32 v6, v6, v8
	ds_store_b32 v9, v6
.LBB4_22:
	s_or_b32 exec_lo, exec_lo, s2
	s_wait_dscnt 0x0
	s_barrier_signal -1
	s_barrier_wait -1
	s_load_b32 s2, s[0:1], 0xd4c
	v_bfrev_b32_e32 v6, 1
	s_wait_kmcnt 0x0
	s_bfe_u32 s2, s2, 0xb0005
	s_delay_alu instid0(SALU_CYCLE_1)
	v_cmp_gt_u32_e32 vcc_lo, s2, v0
	s_and_saveexec_b32 s2, vcc_lo
; %bb.23:
	v_lshlrev_b32_e32 v6, 2, v7
	ds_load_b32 v6, v6
; %bb.24:
	s_or_b32 exec_lo, exec_lo, s2
	s_delay_alu instid0(SALU_CYCLE_1)
	s_mov_b32 s2, exec_lo
	v_cmpx_gt_u32_e32 32, v0
	s_cbranch_execz .LBB4_26
; %bb.25:
	s_wait_dscnt 0x0
	ds_bpermute_b32 v1, v1, v6
	s_wait_dscnt 0x0
	v_max_i32_e32 v1, v6, v1
	ds_bpermute_b32 v2, v2, v1
	s_wait_dscnt 0x0
	v_max_i32_e32 v1, v1, v2
	;; [unrolled: 3-line block ×5, first 2 shown]
.LBB4_26:
	s_or_b32 exec_lo, exec_lo, s2
	s_delay_alu instid0(SALU_CYCLE_1)
	s_mov_b32 s2, exec_lo
	v_cmpx_eq_u32_e32 0, v0
	s_cbranch_execz .LBB4_28
; %bb.27:
	s_clause 0x1
	s_load_b32 s2, s[0:1], 0xd20
	s_load_b96 s[8:10], s[0:1], 0xd30
	v_and_b32_e32 v0, 0xff, v13
	s_wait_kmcnt 0x0
	s_delay_alu instid0(VALU_DEP_1) | instskip(NEXT) | instid1(VALU_DEP_1)
	v_add_nc_u32_e32 v0, s2, v0
	v_mul_lo_u32 v0, v0, s10
	s_delay_alu instid0(VALU_DEP_1)
	v_add_nc_u32_e32 v0, s4, v0
	s_wait_dscnt 0x0
	global_store_b32 v0, v6, s[8:9] scale_offset
.LBB4_28:
	s_endpgm
	.section	.rodata,"a",@progbits
	.p2align	6, 0x0
	.amdhsa_kernel _ZN2at6native12_GLOBAL__N_125multi_tensor_apply_kernelINS1_18TensorListMetadataILi1EEENS0_12LpMaxFunctorIiLi1ELi1ELi0EEEJPiiEEEvT_T0_DpT1_
		.amdhsa_group_segment_fixed_size 2048
		.amdhsa_private_segment_fixed_size 0
		.amdhsa_kernarg_size 3648
		.amdhsa_user_sgpr_count 2
		.amdhsa_user_sgpr_dispatch_ptr 0
		.amdhsa_user_sgpr_queue_ptr 0
		.amdhsa_user_sgpr_kernarg_segment_ptr 1
		.amdhsa_user_sgpr_dispatch_id 0
		.amdhsa_user_sgpr_kernarg_preload_length 0
		.amdhsa_user_sgpr_kernarg_preload_offset 0
		.amdhsa_user_sgpr_private_segment_size 0
		.amdhsa_wavefront_size32 1
		.amdhsa_uses_dynamic_stack 0
		.amdhsa_enable_private_segment 0
		.amdhsa_system_sgpr_workgroup_id_x 1
		.amdhsa_system_sgpr_workgroup_id_y 0
		.amdhsa_system_sgpr_workgroup_id_z 0
		.amdhsa_system_sgpr_workgroup_info 0
		.amdhsa_system_vgpr_workitem_id 0
		.amdhsa_next_free_vgpr 20
		.amdhsa_next_free_sgpr 14
		.amdhsa_named_barrier_count 0
		.amdhsa_reserve_vcc 1
		.amdhsa_float_round_mode_32 0
		.amdhsa_float_round_mode_16_64 0
		.amdhsa_float_denorm_mode_32 3
		.amdhsa_float_denorm_mode_16_64 3
		.amdhsa_fp16_overflow 0
		.amdhsa_memory_ordered 1
		.amdhsa_forward_progress 1
		.amdhsa_inst_pref_size 11
		.amdhsa_round_robin_scheduling 0
		.amdhsa_exception_fp_ieee_invalid_op 0
		.amdhsa_exception_fp_denorm_src 0
		.amdhsa_exception_fp_ieee_div_zero 0
		.amdhsa_exception_fp_ieee_overflow 0
		.amdhsa_exception_fp_ieee_underflow 0
		.amdhsa_exception_fp_ieee_inexact 0
		.amdhsa_exception_int_div_zero 0
	.end_amdhsa_kernel
	.section	.text._ZN2at6native12_GLOBAL__N_125multi_tensor_apply_kernelINS1_18TensorListMetadataILi1EEENS0_12LpMaxFunctorIiLi1ELi1ELi0EEEJPiiEEEvT_T0_DpT1_,"axG",@progbits,_ZN2at6native12_GLOBAL__N_125multi_tensor_apply_kernelINS1_18TensorListMetadataILi1EEENS0_12LpMaxFunctorIiLi1ELi1ELi0EEEJPiiEEEvT_T0_DpT1_,comdat
.Lfunc_end4:
	.size	_ZN2at6native12_GLOBAL__N_125multi_tensor_apply_kernelINS1_18TensorListMetadataILi1EEENS0_12LpMaxFunctorIiLi1ELi1ELi0EEEJPiiEEEvT_T0_DpT1_, .Lfunc_end4-_ZN2at6native12_GLOBAL__N_125multi_tensor_apply_kernelINS1_18TensorListMetadataILi1EEENS0_12LpMaxFunctorIiLi1ELi1ELi0EEEJPiiEEEvT_T0_DpT1_
                                        ; -- End function
	.set _ZN2at6native12_GLOBAL__N_125multi_tensor_apply_kernelINS1_18TensorListMetadataILi1EEENS0_12LpMaxFunctorIiLi1ELi1ELi0EEEJPiiEEEvT_T0_DpT1_.num_vgpr, 20
	.set _ZN2at6native12_GLOBAL__N_125multi_tensor_apply_kernelINS1_18TensorListMetadataILi1EEENS0_12LpMaxFunctorIiLi1ELi1ELi0EEEJPiiEEEvT_T0_DpT1_.num_agpr, 0
	.set _ZN2at6native12_GLOBAL__N_125multi_tensor_apply_kernelINS1_18TensorListMetadataILi1EEENS0_12LpMaxFunctorIiLi1ELi1ELi0EEEJPiiEEEvT_T0_DpT1_.numbered_sgpr, 14
	.set _ZN2at6native12_GLOBAL__N_125multi_tensor_apply_kernelINS1_18TensorListMetadataILi1EEENS0_12LpMaxFunctorIiLi1ELi1ELi0EEEJPiiEEEvT_T0_DpT1_.num_named_barrier, 0
	.set _ZN2at6native12_GLOBAL__N_125multi_tensor_apply_kernelINS1_18TensorListMetadataILi1EEENS0_12LpMaxFunctorIiLi1ELi1ELi0EEEJPiiEEEvT_T0_DpT1_.private_seg_size, 0
	.set _ZN2at6native12_GLOBAL__N_125multi_tensor_apply_kernelINS1_18TensorListMetadataILi1EEENS0_12LpMaxFunctorIiLi1ELi1ELi0EEEJPiiEEEvT_T0_DpT1_.uses_vcc, 1
	.set _ZN2at6native12_GLOBAL__N_125multi_tensor_apply_kernelINS1_18TensorListMetadataILi1EEENS0_12LpMaxFunctorIiLi1ELi1ELi0EEEJPiiEEEvT_T0_DpT1_.uses_flat_scratch, 0
	.set _ZN2at6native12_GLOBAL__N_125multi_tensor_apply_kernelINS1_18TensorListMetadataILi1EEENS0_12LpMaxFunctorIiLi1ELi1ELi0EEEJPiiEEEvT_T0_DpT1_.has_dyn_sized_stack, 0
	.set _ZN2at6native12_GLOBAL__N_125multi_tensor_apply_kernelINS1_18TensorListMetadataILi1EEENS0_12LpMaxFunctorIiLi1ELi1ELi0EEEJPiiEEEvT_T0_DpT1_.has_recursion, 0
	.set _ZN2at6native12_GLOBAL__N_125multi_tensor_apply_kernelINS1_18TensorListMetadataILi1EEENS0_12LpMaxFunctorIiLi1ELi1ELi0EEEJPiiEEEvT_T0_DpT1_.has_indirect_call, 0
	.section	.AMDGPU.csdata,"",@progbits
; Kernel info:
; codeLenInByte = 1312
; TotalNumSgprs: 16
; NumVgprs: 20
; ScratchSize: 0
; MemoryBound: 0
; FloatMode: 240
; IeeeMode: 1
; LDSByteSize: 2048 bytes/workgroup (compile time only)
; SGPRBlocks: 0
; VGPRBlocks: 1
; NumSGPRsForWavesPerEU: 16
; NumVGPRsForWavesPerEU: 20
; NamedBarCnt: 0
; Occupancy: 16
; WaveLimiterHint : 0
; COMPUTE_PGM_RSRC2:SCRATCH_EN: 0
; COMPUTE_PGM_RSRC2:USER_SGPR: 2
; COMPUTE_PGM_RSRC2:TRAP_HANDLER: 0
; COMPUTE_PGM_RSRC2:TGID_X_EN: 1
; COMPUTE_PGM_RSRC2:TGID_Y_EN: 0
; COMPUTE_PGM_RSRC2:TGID_Z_EN: 0
; COMPUTE_PGM_RSRC2:TIDIG_COMP_CNT: 0
	.section	.text._ZN2at6native13lpmax_cleanupIiEEvPKT_NS0_19TensorListAddressesEi,"axG",@progbits,_ZN2at6native13lpmax_cleanupIiEEvPKT_NS0_19TensorListAddressesEi,comdat
	.protected	_ZN2at6native13lpmax_cleanupIiEEvPKT_NS0_19TensorListAddressesEi ; -- Begin function _ZN2at6native13lpmax_cleanupIiEEvPKT_NS0_19TensorListAddressesEi
	.globl	_ZN2at6native13lpmax_cleanupIiEEvPKT_NS0_19TensorListAddressesEi
	.p2align	8
	.type	_ZN2at6native13lpmax_cleanupIiEEvPKT_NS0_19TensorListAddressesEi,@function
_ZN2at6native13lpmax_cleanupIiEEvPKT_NS0_19TensorListAddressesEi: ; @_ZN2at6native13lpmax_cleanupIiEEvPKT_NS0_19TensorListAddressesEi
; %bb.0:
	s_load_b32 s2, s[0:1], 0xc88
	s_bfe_u32 s3, ttmp6, 0x4000c
	s_and_b32 s4, ttmp6, 15
	s_add_co_i32 s3, s3, 1
	s_getreg_b32 s5, hwreg(HW_REG_IB_STS2, 6, 4)
	s_mul_i32 s3, ttmp9, s3
	v_bfrev_b32_e32 v6, 1
	s_add_co_i32 s4, s4, s3
	s_cmp_eq_u32 s5, 0
	s_mov_b32 s5, 0
	s_cselect_b32 s8, ttmp9, s4
	s_mov_b32 s9, exec_lo
	s_wait_kmcnt 0x0
	v_cmpx_gt_u32_e64 s2, v0
	s_cbranch_execz .LBB5_4
; %bb.1:
	s_clause 0x1
	s_load_b64 s[6:7], s[0:1], 0x0
	s_load_b32 s4, s[0:1], 0xc9c
	v_dual_mov_b32 v1, 0 :: v_dual_lshlrev_b32 v2, 2, v0
	s_mul_i32 s10, s2, s8
	s_mov_b32 s11, s5
	v_bfrev_b32_e32 v6, 1
	s_delay_alu instid0(VALU_DEP_2)
	v_mov_b32_e32 v3, v1
	s_lshl_b64 s[10:11], s[10:11], 2
	v_mov_b64_e32 v[4:5], v[0:1]
	s_ashr_i32 s3, s2, 31
	s_wait_kmcnt 0x0
	s_add_nc_u64 s[6:7], s[6:7], s[10:11]
	s_and_b32 s4, s4, 0xffff
	v_add_nc_u64_e32 v[2:3], s[6:7], v[2:3]
	s_lshl_b32 s6, s4, 2
	s_mov_b32 s7, s5
	s_mov_b32 s10, s5
.LBB5_2:                                ; =>This Inner Loop Header: Depth=1
	global_load_b32 v1, v[2:3], off
	v_add_nc_u64_e32 v[4:5], s[4:5], v[4:5]
	s_wait_xcnt 0x0
	v_add_nc_u64_e32 v[2:3], s[6:7], v[2:3]
	s_delay_alu instid0(VALU_DEP_2)
	v_cmp_le_u64_e32 vcc_lo, s[2:3], v[4:5]
	s_or_b32 s10, vcc_lo, s10
	s_wait_loadcnt 0x0
	v_max_i32_e32 v6, v6, v1
	s_and_not1_b32 exec_lo, exec_lo, s10
	s_cbranch_execnz .LBB5_2
; %bb.3:
	s_or_b32 exec_lo, exec_lo, s10
.LBB5_4:
	s_delay_alu instid0(SALU_CYCLE_1) | instskip(SKIP_4) | instid1(VALU_DEP_1)
	s_or_b32 exec_lo, exec_lo, s9
	v_mbcnt_lo_u32_b32 v5, -1, 0
	s_mov_b32 s2, exec_lo
	s_barrier_signal -1
	s_barrier_wait -1
	v_lshl_or_b32 v1, v5, 2, 64
	v_cmp_gt_u32_e32 vcc_lo, 24, v5
	ds_bpermute_b32 v3, v1, v6
	v_cndmask_b32_e64 v2, 0, 8, vcc_lo
	v_cmp_gt_u32_e32 vcc_lo, 28, v5
	s_delay_alu instid0(VALU_DEP_2)
	v_add_lshl_u32 v2, v2, v5, 2
	s_wait_dscnt 0x0
	v_max_i32_e32 v4, v6, v3
	v_cndmask_b32_e64 v3, 0, 4, vcc_lo
	v_cmp_gt_u32_e32 vcc_lo, 30, v5
	ds_bpermute_b32 v6, v2, v4
	v_add_lshl_u32 v3, v3, v5, 2
	s_wait_dscnt 0x0
	v_max_i32_e32 v6, v4, v6
	v_cndmask_b32_e64 v4, 0, 2, vcc_lo
	v_cmp_ne_u32_e32 vcc_lo, 31, v5
	ds_bpermute_b32 v7, v3, v6
	v_add_lshl_u32 v4, v4, v5, 2
	v_add_co_ci_u32_e64 v5, null, 0, v5, vcc_lo
	s_wait_dscnt 0x0
	s_delay_alu instid0(VALU_DEP_1)
	v_dual_lshlrev_b32 v5, 2, v5 :: v_dual_max_i32 v6, v6, v7
	ds_bpermute_b32 v7, v4, v6
	s_wait_dscnt 0x0
	v_max_i32_e32 v7, v6, v7
	v_and_b32_e32 v6, 31, v0
	ds_bpermute_b32 v8, v5, v7
	v_cmpx_eq_u32_e32 0, v6
	s_cbranch_execz .LBB5_6
; %bb.5:
	s_wait_dscnt 0x0
	v_max_i32_e32 v7, v7, v8
	v_lshrrev_b32_e32 v8, 3, v0
	ds_store_b32 v8, v7
.LBB5_6:
	s_or_b32 exec_lo, exec_lo, s2
	s_wait_dscnt 0x0
	s_barrier_signal -1
	s_barrier_wait -1
	s_load_b32 s2, s[0:1], 0xc9c
	v_bfrev_b32_e32 v7, 1
	s_wait_kmcnt 0x0
	s_bfe_u32 s2, s2, 0xb0005
	s_delay_alu instid0(SALU_CYCLE_1)
	v_cmp_gt_u32_e32 vcc_lo, s2, v0
	s_and_saveexec_b32 s2, vcc_lo
; %bb.7:
	v_lshlrev_b32_e32 v6, 2, v6
	ds_load_b32 v7, v6
; %bb.8:
	s_or_b32 exec_lo, exec_lo, s2
	s_delay_alu instid0(SALU_CYCLE_1)
	s_mov_b32 s2, exec_lo
	v_cmpx_gt_u32_e32 32, v0
	s_cbranch_execz .LBB5_10
; %bb.9:
	s_wait_dscnt 0x0
	ds_bpermute_b32 v1, v1, v7
	s_wait_dscnt 0x0
	v_max_i32_e32 v1, v7, v1
	ds_bpermute_b32 v2, v2, v1
	s_wait_dscnt 0x0
	v_max_i32_e32 v1, v1, v2
	ds_bpermute_b32 v2, v3, v1
	s_wait_dscnt 0x0
	v_max_i32_e32 v1, v1, v2
	ds_bpermute_b32 v2, v4, v1
	s_wait_dscnt 0x0
	v_max_i32_e32 v1, v1, v2
	ds_bpermute_b32 v2, v5, v1
	s_wait_dscnt 0x0
	v_max_i32_e32 v7, v1, v2
.LBB5_10:
	s_or_b32 exec_lo, exec_lo, s2
	s_delay_alu instid0(SALU_CYCLE_1)
	s_mov_b32 s2, exec_lo
	v_cmpx_eq_u32_e32 0, v0
	s_cbranch_execz .LBB5_12
; %bb.11:
	s_load_b64 s[0:1], s[0:1], s8 offset:0x8 scale_offset
	v_mov_b32_e32 v0, 0
	s_wait_dscnt 0x0
	s_wait_kmcnt 0x0
	global_store_b32 v0, v7, s[0:1]
.LBB5_12:
	s_endpgm
	.section	.rodata,"a",@progbits
	.p2align	6, 0x0
	.amdhsa_kernel _ZN2at6native13lpmax_cleanupIiEEvPKT_NS0_19TensorListAddressesEi
		.amdhsa_group_segment_fixed_size 2048
		.amdhsa_private_segment_fixed_size 0
		.amdhsa_kernarg_size 3472
		.amdhsa_user_sgpr_count 2
		.amdhsa_user_sgpr_dispatch_ptr 0
		.amdhsa_user_sgpr_queue_ptr 0
		.amdhsa_user_sgpr_kernarg_segment_ptr 1
		.amdhsa_user_sgpr_dispatch_id 0
		.amdhsa_user_sgpr_kernarg_preload_length 0
		.amdhsa_user_sgpr_kernarg_preload_offset 0
		.amdhsa_user_sgpr_private_segment_size 0
		.amdhsa_wavefront_size32 1
		.amdhsa_uses_dynamic_stack 0
		.amdhsa_enable_private_segment 0
		.amdhsa_system_sgpr_workgroup_id_x 1
		.amdhsa_system_sgpr_workgroup_id_y 0
		.amdhsa_system_sgpr_workgroup_id_z 0
		.amdhsa_system_sgpr_workgroup_info 0
		.amdhsa_system_vgpr_workitem_id 0
		.amdhsa_next_free_vgpr 9
		.amdhsa_next_free_sgpr 12
		.amdhsa_named_barrier_count 0
		.amdhsa_reserve_vcc 1
		.amdhsa_float_round_mode_32 0
		.amdhsa_float_round_mode_16_64 0
		.amdhsa_float_denorm_mode_32 3
		.amdhsa_float_denorm_mode_16_64 3
		.amdhsa_fp16_overflow 0
		.amdhsa_memory_ordered 1
		.amdhsa_forward_progress 1
		.amdhsa_inst_pref_size 6
		.amdhsa_round_robin_scheduling 0
		.amdhsa_exception_fp_ieee_invalid_op 0
		.amdhsa_exception_fp_denorm_src 0
		.amdhsa_exception_fp_ieee_div_zero 0
		.amdhsa_exception_fp_ieee_overflow 0
		.amdhsa_exception_fp_ieee_underflow 0
		.amdhsa_exception_fp_ieee_inexact 0
		.amdhsa_exception_int_div_zero 0
	.end_amdhsa_kernel
	.section	.text._ZN2at6native13lpmax_cleanupIiEEvPKT_NS0_19TensorListAddressesEi,"axG",@progbits,_ZN2at6native13lpmax_cleanupIiEEvPKT_NS0_19TensorListAddressesEi,comdat
.Lfunc_end5:
	.size	_ZN2at6native13lpmax_cleanupIiEEvPKT_NS0_19TensorListAddressesEi, .Lfunc_end5-_ZN2at6native13lpmax_cleanupIiEEvPKT_NS0_19TensorListAddressesEi
                                        ; -- End function
	.set _ZN2at6native13lpmax_cleanupIiEEvPKT_NS0_19TensorListAddressesEi.num_vgpr, 9
	.set _ZN2at6native13lpmax_cleanupIiEEvPKT_NS0_19TensorListAddressesEi.num_agpr, 0
	.set _ZN2at6native13lpmax_cleanupIiEEvPKT_NS0_19TensorListAddressesEi.numbered_sgpr, 12
	.set _ZN2at6native13lpmax_cleanupIiEEvPKT_NS0_19TensorListAddressesEi.num_named_barrier, 0
	.set _ZN2at6native13lpmax_cleanupIiEEvPKT_NS0_19TensorListAddressesEi.private_seg_size, 0
	.set _ZN2at6native13lpmax_cleanupIiEEvPKT_NS0_19TensorListAddressesEi.uses_vcc, 1
	.set _ZN2at6native13lpmax_cleanupIiEEvPKT_NS0_19TensorListAddressesEi.uses_flat_scratch, 0
	.set _ZN2at6native13lpmax_cleanupIiEEvPKT_NS0_19TensorListAddressesEi.has_dyn_sized_stack, 0
	.set _ZN2at6native13lpmax_cleanupIiEEvPKT_NS0_19TensorListAddressesEi.has_recursion, 0
	.set _ZN2at6native13lpmax_cleanupIiEEvPKT_NS0_19TensorListAddressesEi.has_indirect_call, 0
	.section	.AMDGPU.csdata,"",@progbits
; Kernel info:
; codeLenInByte = 672
; TotalNumSgprs: 14
; NumVgprs: 9
; ScratchSize: 0
; MemoryBound: 0
; FloatMode: 240
; IeeeMode: 1
; LDSByteSize: 2048 bytes/workgroup (compile time only)
; SGPRBlocks: 0
; VGPRBlocks: 0
; NumSGPRsForWavesPerEU: 14
; NumVGPRsForWavesPerEU: 9
; NamedBarCnt: 0
; Occupancy: 16
; WaveLimiterHint : 0
; COMPUTE_PGM_RSRC2:SCRATCH_EN: 0
; COMPUTE_PGM_RSRC2:USER_SGPR: 2
; COMPUTE_PGM_RSRC2:TRAP_HANDLER: 0
; COMPUTE_PGM_RSRC2:TGID_X_EN: 1
; COMPUTE_PGM_RSRC2:TGID_Y_EN: 0
; COMPUTE_PGM_RSRC2:TGID_Z_EN: 0
; COMPUTE_PGM_RSRC2:TIDIG_COMP_CNT: 0
	.section	.text._ZN2at6native12_GLOBAL__N_125multi_tensor_apply_kernelINS1_18TensorListMetadataILi1EEENS0_12LpMaxFunctorIlLi1ELi1ELi0EEEJPliEEEvT_T0_DpT1_,"axG",@progbits,_ZN2at6native12_GLOBAL__N_125multi_tensor_apply_kernelINS1_18TensorListMetadataILi1EEENS0_12LpMaxFunctorIlLi1ELi1ELi0EEEJPliEEEvT_T0_DpT1_,comdat
	.globl	_ZN2at6native12_GLOBAL__N_125multi_tensor_apply_kernelINS1_18TensorListMetadataILi1EEENS0_12LpMaxFunctorIlLi1ELi1ELi0EEEJPliEEEvT_T0_DpT1_ ; -- Begin function _ZN2at6native12_GLOBAL__N_125multi_tensor_apply_kernelINS1_18TensorListMetadataILi1EEENS0_12LpMaxFunctorIlLi1ELi1ELi0EEEJPliEEEvT_T0_DpT1_
	.p2align	8
	.type	_ZN2at6native12_GLOBAL__N_125multi_tensor_apply_kernelINS1_18TensorListMetadataILi1EEENS0_12LpMaxFunctorIlLi1ELi1ELi0EEEJPliEEEvT_T0_DpT1_,@function
_ZN2at6native12_GLOBAL__N_125multi_tensor_apply_kernelINS1_18TensorListMetadataILi1EEENS0_12LpMaxFunctorIlLi1ELi1ELi0EEEJPliEEEvT_T0_DpT1_: ; @_ZN2at6native12_GLOBAL__N_125multi_tensor_apply_kernelINS1_18TensorListMetadataILi1EEENS0_12LpMaxFunctorIlLi1ELi1ELi0EEEJPliEEEvT_T0_DpT1_
; %bb.0:
	s_bfe_u32 s2, ttmp6, 0x4000c
	s_and_b32 s3, ttmp6, 15
	s_add_co_i32 s2, s2, 1
	s_getreg_b32 s4, hwreg(HW_REG_IB_STS2, 6, 4)
	s_mul_i32 s2, ttmp9, s2
	s_delay_alu instid0(SALU_CYCLE_1)
	s_add_co_i32 s3, s3, s2
	s_cmp_eq_u32 s4, 0
	s_cselect_b32 s2, ttmp9, s3
	s_mov_b32 s3, 0
	v_mov_b32_e32 v1, s2
	s_add_nc_u64 s[4:5], s[0:1], s[2:3]
	s_mul_u64 s[6:7], s[2:3], 3
	s_delay_alu instid0(SALU_CYCLE_1) | instskip(SKIP_4) | instid1(SALU_CYCLE_1)
	s_add_nc_u64 s[4:5], s[4:5], s[6:7]
	global_load_u8 v17, v1, s[0:1] offset:1760
	s_load_b32 s4, s[4:5], 0x820
	s_wait_kmcnt 0x0
	s_ashr_i32 s5, s4, 31
	s_lshl_b64 s[10:11], s[4:5], 19
	s_lshl_b64 s[12:13], s[4:5], 16
	s_wait_loadcnt 0x0
	v_readfirstlane_b32 s2, v17
	s_and_b32 s2, s2, 0xff
	s_clause 0x1
	s_load_b64 s[6:7], s[0:1], s2 offset:0x0 scale_offset
	s_load_b64 s[8:9], s[0:1], s2 offset:0x370 scale_offset
	s_wait_kmcnt 0x0
	s_add_nc_u64 s[6:7], s[6:7], s[10:11]
	s_and_b32 s2, s8, 3
	s_and_b64 s[10:11], s[6:7], 31
	s_sub_nc_u64 s[8:9], s[8:9], s[12:13]
	s_or_b64 s[10:11], s[2:3], s[10:11]
	s_delay_alu instid0(SALU_CYCLE_1)
	s_cmp_eq_u64 s[10:11], 0
	s_cbranch_scc1 .LBB6_12
; %bb.1:
	v_cmp_lt_i64_e64 s2, s[8:9], 1
	s_and_b32 vcc_lo, exec_lo, s2
	s_cbranch_vccnz .LBB6_28
; %bb.2:
	s_load_b32 s2, s[0:1], 0xd4c
	v_min_i64 v[10:11], 0x10000, s[8:9]
	v_bfrev_b32_e32 v3, 1
	s_mov_b32 s11, 0
	s_mov_b64 s[12:13], 0
	s_delay_alu instid0(VALU_DEP_1) | instskip(SKIP_2) | instid1(SALU_CYCLE_1)
	v_mov_b32_e32 v9, v3
	s_wait_kmcnt 0x0
	s_and_b32 s2, s2, 0xffff
	v_dual_mov_b32 v13, 0 :: v_dual_add_nc_u32 v18, s2, v0
	v_mad_u32 v16, s2, 3, v0
	v_lshl_add_u32 v14, s2, 1, v0
	s_delay_alu instid0(VALU_DEP_3)
	v_dual_mov_b32 v5, v3 :: v_dual_mov_b32 v6, v13
	v_dual_mov_b32 v2, v13 :: v_dual_mov_b32 v4, v13
	;; [unrolled: 1-line block ×3, first 2 shown]
	s_lshl_b32 s10, s2, 2
	s_branch .LBB6_4
.LBB6_3:                                ;   in Loop: Header=BB6_4 Depth=1
	s_or_b32 exec_lo, exec_lo, s2
	s_add_nc_u64 s[12:13], s[12:13], s[10:11]
	s_delay_alu instid0(SALU_CYCLE_1)
	v_cmp_lt_i64_e32 vcc_lo, s[12:13], v[10:11]
	s_cbranch_vccz .LBB6_13
.LBB6_4:                                ; =>This Inner Loop Header: Depth=1
	v_add_nc_u32_e32 v12, s12, v0
	s_delay_alu instid0(VALU_DEP_1) | instskip(SKIP_2) | instid1(SALU_CYCLE_1)
	v_cmp_gt_i64_e32 vcc_lo, s[8:9], v[12:13]
	v_cmp_gt_u32_e64 s2, 0x10000, v12
	s_and_b32 s5, s2, vcc_lo
	s_and_saveexec_b32 s2, s5
	s_cbranch_execz .LBB6_6
; %bb.5:                                ;   in Loop: Header=BB6_4 Depth=1
	v_lshl_add_u64 v[20:21], v[12:13], 3, s[6:7]
	global_load_b64 v[20:21], v[20:21], off
	s_wait_loadcnt 0x0
	v_max_i64 v[2:3], v[2:3], v[20:21]
.LBB6_6:                                ;   in Loop: Header=BB6_4 Depth=1
	s_or_b32 exec_lo, exec_lo, s2
	v_add_nc_u32_e32 v12, s12, v18
	s_delay_alu instid0(VALU_DEP_1) | instskip(SKIP_2) | instid1(SALU_CYCLE_1)
	v_cmp_gt_i64_e32 vcc_lo, s[8:9], v[12:13]
	v_cmp_gt_u32_e64 s2, 0x10000, v12
	s_and_b32 s5, s2, vcc_lo
	s_and_saveexec_b32 s2, s5
	s_cbranch_execz .LBB6_8
; %bb.7:                                ;   in Loop: Header=BB6_4 Depth=1
	v_lshl_add_u64 v[20:21], v[12:13], 3, s[6:7]
	global_load_b64 v[20:21], v[20:21], off
	s_wait_loadcnt 0x0
	v_max_i64 v[4:5], v[4:5], v[20:21]
.LBB6_8:                                ;   in Loop: Header=BB6_4 Depth=1
	s_or_b32 exec_lo, exec_lo, s2
	v_add_nc_u32_e32 v12, s12, v14
	s_delay_alu instid0(VALU_DEP_1) | instskip(SKIP_2) | instid1(SALU_CYCLE_1)
	v_cmp_gt_i64_e32 vcc_lo, s[8:9], v[12:13]
	v_cmp_gt_u32_e64 s2, 0x10000, v12
	s_and_b32 s5, s2, vcc_lo
	s_and_saveexec_b32 s2, s5
	s_cbranch_execz .LBB6_10
; %bb.9:                                ;   in Loop: Header=BB6_4 Depth=1
	v_lshl_add_u64 v[20:21], v[12:13], 3, s[6:7]
	global_load_b64 v[20:21], v[20:21], off
	s_wait_loadcnt 0x0
	v_max_i64 v[6:7], v[6:7], v[20:21]
.LBB6_10:                               ;   in Loop: Header=BB6_4 Depth=1
	s_or_b32 exec_lo, exec_lo, s2
	v_add_nc_u32_e32 v12, s12, v16
	s_delay_alu instid0(VALU_DEP_1) | instskip(SKIP_2) | instid1(SALU_CYCLE_1)
	v_cmp_gt_i64_e32 vcc_lo, s[8:9], v[12:13]
	v_cmp_gt_u32_e64 s2, 0x10000, v12
	s_and_b32 s5, s2, vcc_lo
	s_and_saveexec_b32 s2, s5
	s_cbranch_execz .LBB6_3
; %bb.11:                               ;   in Loop: Header=BB6_4 Depth=1
	v_lshl_add_u64 v[20:21], v[12:13], 3, s[6:7]
	global_load_b64 v[20:21], v[20:21], off
	s_wait_loadcnt 0x0
	v_max_i64 v[8:9], v[8:9], v[20:21]
	s_branch .LBB6_3
.LBB6_12:
	s_mov_b32 s3, -1
                                        ; implicit-def: $vgpr2_vgpr3_vgpr4_vgpr5_vgpr6_vgpr7_vgpr8_vgpr9
.LBB6_13:
	s_delay_alu instid0(SALU_CYCLE_1)
	s_and_not1_b32 vcc_lo, exec_lo, s3
	s_cbranch_vccnz .LBB6_19
.LBB6_14:
	v_min_i64 v[10:11], 0x10000, s[8:9]
	v_dual_mov_b32 v13, 0 :: v_dual_lshlrev_b32 v12, 2, v0
	v_bfrev_b32_e32 v3, 1
	s_mov_b32 s3, 0
	s_mov_b32 s5, exec_lo
	s_delay_alu instid0(VALU_DEP_2) | instskip(NEXT) | instid1(VALU_DEP_2)
	v_dual_mov_b32 v2, v13 :: v_dual_mov_b32 v4, v13
	v_dual_mov_b32 v5, v3 :: v_dual_mov_b32 v6, v13
	;; [unrolled: 1-line block ×3, first 2 shown]
	v_mov_b32_e32 v9, v3
	v_cmpx_lt_i64_e64 v[12:13], v[10:11]
	s_cbranch_execz .LBB6_18
; %bb.15:
	s_load_b32 s2, s[0:1], 0xd4c
	v_dual_mov_b32 v1, v13 :: v_dual_lshlrev_b32 v12, 5, v0
	v_mov_b64_e32 v[2:3], 0x8000000000000000
	v_mov_b64_e32 v[4:5], 0x8000000000000000
	;; [unrolled: 1-line block ×3, first 2 shown]
	s_delay_alu instid0(VALU_DEP_4) | instskip(SKIP_3) | instid1(VALU_DEP_2)
	v_add_nc_u64_e32 v[14:15], s[6:7], v[12:13]
	v_mov_b64_e32 v[8:9], 0x8000000000000000
	s_mov_b32 s7, s3
	s_mov_b32 s8, s3
	v_add_nc_u64_e32 v[12:13], 16, v[14:15]
	v_mov_b64_e32 v[14:15], v[0:1]
	s_wait_kmcnt 0x0
	s_and_b32 s2, s2, 0xffff
	s_delay_alu instid0(SALU_CYCLE_1)
	s_lshl_b32 s6, s2, 5
.LBB6_16:                               ; =>This Inner Loop Header: Depth=1
	s_clause 0x1
	global_load_b128 v[18:21], v[12:13], off offset:-16
	global_load_b128 v[22:25], v[12:13], off
	v_add_nc_u64_e32 v[14:15], s[2:3], v[14:15]
	s_wait_xcnt 0x0
	v_add_nc_u64_e32 v[12:13], s[6:7], v[12:13]
	s_wait_loadcnt 0x1
	v_max_i64 v[2:3], v[2:3], v[18:19]
	v_max_i64 v[4:5], v[4:5], v[20:21]
	s_wait_loadcnt 0x0
	v_max_i64 v[6:7], v[6:7], v[22:23]
	v_max_i64 v[8:9], v[8:9], v[24:25]
	v_lshlrev_b64_e32 v[18:19], 2, v[14:15]
	s_delay_alu instid0(VALU_DEP_1) | instskip(SKIP_1) | instid1(SALU_CYCLE_1)
	v_cmp_ge_i64_e32 vcc_lo, v[18:19], v[10:11]
	s_or_b32 s8, vcc_lo, s8
	s_and_not1_b32 exec_lo, exec_lo, s8
	s_cbranch_execnz .LBB6_16
; %bb.17:
	s_or_b32 exec_lo, exec_lo, s8
.LBB6_18:
	s_delay_alu instid0(SALU_CYCLE_1)
	s_or_b32 exec_lo, exec_lo, s5
.LBB6_19:
	v_max_i64 v[2:3], v[2:3], v[4:5]
	v_and_b32_e32 v10, 31, v0
	s_mov_b32 s2, exec_lo
	s_barrier_signal -1
	s_barrier_wait -1
	s_delay_alu instid0(VALU_DEP_2) | instskip(NEXT) | instid1(VALU_DEP_1)
	v_max_i64 v[2:3], v[2:3], v[6:7]
	v_max_i64 v[2:3], v[2:3], v[8:9]
	v_mbcnt_lo_u32_b32 v9, -1, 0
	s_delay_alu instid0(VALU_DEP_1)
	v_lshl_or_b32 v1, v9, 2, 64
	v_cmp_gt_u32_e32 vcc_lo, 24, v9
	ds_bpermute_b32 v4, v1, v2
	ds_bpermute_b32 v5, v1, v3
	s_wait_dscnt 0x0
	v_max_i64 v[2:3], v[2:3], v[4:5]
	v_cndmask_b32_e64 v4, 0, 8, vcc_lo
	v_cmp_gt_u32_e32 vcc_lo, 28, v9
	s_delay_alu instid0(VALU_DEP_2)
	v_add_lshl_u32 v6, v4, v9, 2
	ds_bpermute_b32 v4, v6, v2
	ds_bpermute_b32 v5, v6, v3
	s_wait_dscnt 0x0
	v_max_i64 v[2:3], v[2:3], v[4:5]
	v_cndmask_b32_e64 v4, 0, 4, vcc_lo
	v_cmp_gt_u32_e32 vcc_lo, 30, v9
	s_delay_alu instid0(VALU_DEP_2)
	v_add_lshl_u32 v7, v4, v9, 2
	ds_bpermute_b32 v4, v7, v2
	ds_bpermute_b32 v5, v7, v3
	s_wait_dscnt 0x0
	v_max_i64 v[2:3], v[2:3], v[4:5]
	v_cndmask_b32_e64 v4, 0, 2, vcc_lo
	v_cmp_ne_u32_e32 vcc_lo, 31, v9
	s_delay_alu instid0(VALU_DEP_2)
	v_add_lshl_u32 v8, v4, v9, 2
	ds_bpermute_b32 v4, v8, v2
	ds_bpermute_b32 v5, v8, v3
	s_wait_dscnt 0x0
	v_max_i64 v[2:3], v[2:3], v[4:5]
	v_add_co_ci_u32_e64 v4, null, 0, v9, vcc_lo
	s_delay_alu instid0(VALU_DEP_1)
	v_lshlrev_b32_e32 v9, 2, v4
	ds_bpermute_b32 v4, v9, v2
	ds_bpermute_b32 v5, v9, v3
	v_cmpx_eq_u32_e32 0, v10
	s_cbranch_execz .LBB6_21
; %bb.20:
	s_wait_dscnt 0x0
	v_max_i64 v[2:3], v[2:3], v[4:5]
	v_lshrrev_b32_e32 v4, 2, v0
	ds_store_b64 v4, v[2:3]
.LBB6_21:
	s_or_b32 exec_lo, exec_lo, s2
	s_wait_dscnt 0x0
	s_barrier_signal -1
	s_barrier_wait -1
	s_load_b32 s2, s[0:1], 0xd4c
	v_mov_b64_e32 v[2:3], 0x8000000000000000
	s_wait_kmcnt 0x0
	s_bfe_u32 s2, s2, 0xb0005
	s_delay_alu instid0(SALU_CYCLE_1)
	v_cmp_gt_u32_e32 vcc_lo, s2, v0
	s_and_saveexec_b32 s2, vcc_lo
; %bb.22:
	v_lshlrev_b32_e32 v2, 3, v10
	ds_load_b64 v[2:3], v2
; %bb.23:
	s_or_b32 exec_lo, exec_lo, s2
	s_delay_alu instid0(SALU_CYCLE_1)
	s_mov_b32 s2, exec_lo
	v_cmpx_gt_u32_e32 32, v0
	s_cbranch_execz .LBB6_25
; %bb.24:
	s_wait_dscnt 0x0
	ds_bpermute_b32 v4, v1, v2
	ds_bpermute_b32 v5, v1, v3
	s_wait_dscnt 0x0
	v_max_i64 v[2:3], v[2:3], v[4:5]
	ds_bpermute_b32 v4, v6, v2
	ds_bpermute_b32 v5, v6, v3
	s_wait_dscnt 0x0
	v_max_i64 v[2:3], v[2:3], v[4:5]
	;; [unrolled: 4-line block ×5, first 2 shown]
.LBB6_25:
	s_or_b32 exec_lo, exec_lo, s2
	s_delay_alu instid0(SALU_CYCLE_1)
	s_mov_b32 s2, exec_lo
	v_cmpx_eq_u32_e32 0, v0
	s_cbranch_execz .LBB6_27
; %bb.26:
	s_clause 0x1
	s_load_b32 s2, s[0:1], 0xd20
	s_load_b96 s[8:10], s[0:1], 0xd30
	v_and_b32_e32 v0, 0xff, v17
	s_wait_kmcnt 0x0
	s_delay_alu instid0(VALU_DEP_1) | instskip(NEXT) | instid1(VALU_DEP_1)
	v_add_nc_u32_e32 v0, s2, v0
	v_mul_lo_u32 v0, v0, s10
	s_delay_alu instid0(VALU_DEP_1)
	v_add_nc_u32_e32 v0, s4, v0
	s_wait_dscnt 0x0
	global_store_b64 v0, v[2:3], s[8:9] scale_offset
.LBB6_27:
	s_endpgm
.LBB6_28:
	v_bfrev_b32_e32 v3, 1
	s_delay_alu instid0(VALU_DEP_1) | instskip(NEXT) | instid1(VALU_DEP_1)
	v_dual_mov_b32 v2, 0 :: v_dual_mov_b32 v5, v3
	v_dual_mov_b32 v4, v2 :: v_dual_mov_b32 v6, v2
	;; [unrolled: 1-line block ×3, first 2 shown]
	v_mov_b32_e32 v9, v3
	s_and_not1_b32 vcc_lo, exec_lo, s3
	s_cbranch_vccz .LBB6_14
	s_branch .LBB6_19
	.section	.rodata,"a",@progbits
	.p2align	6, 0x0
	.amdhsa_kernel _ZN2at6native12_GLOBAL__N_125multi_tensor_apply_kernelINS1_18TensorListMetadataILi1EEENS0_12LpMaxFunctorIlLi1ELi1ELi0EEEJPliEEEvT_T0_DpT1_
		.amdhsa_group_segment_fixed_size 4096
		.amdhsa_private_segment_fixed_size 0
		.amdhsa_kernarg_size 3648
		.amdhsa_user_sgpr_count 2
		.amdhsa_user_sgpr_dispatch_ptr 0
		.amdhsa_user_sgpr_queue_ptr 0
		.amdhsa_user_sgpr_kernarg_segment_ptr 1
		.amdhsa_user_sgpr_dispatch_id 0
		.amdhsa_user_sgpr_kernarg_preload_length 0
		.amdhsa_user_sgpr_kernarg_preload_offset 0
		.amdhsa_user_sgpr_private_segment_size 0
		.amdhsa_wavefront_size32 1
		.amdhsa_uses_dynamic_stack 0
		.amdhsa_enable_private_segment 0
		.amdhsa_system_sgpr_workgroup_id_x 1
		.amdhsa_system_sgpr_workgroup_id_y 0
		.amdhsa_system_sgpr_workgroup_id_z 0
		.amdhsa_system_sgpr_workgroup_info 0
		.amdhsa_system_vgpr_workitem_id 0
		.amdhsa_next_free_vgpr 26
		.amdhsa_next_free_sgpr 14
		.amdhsa_named_barrier_count 0
		.amdhsa_reserve_vcc 1
		.amdhsa_float_round_mode_32 0
		.amdhsa_float_round_mode_16_64 0
		.amdhsa_float_denorm_mode_32 3
		.amdhsa_float_denorm_mode_16_64 3
		.amdhsa_fp16_overflow 0
		.amdhsa_memory_ordered 1
		.amdhsa_forward_progress 1
		.amdhsa_inst_pref_size 13
		.amdhsa_round_robin_scheduling 0
		.amdhsa_exception_fp_ieee_invalid_op 0
		.amdhsa_exception_fp_denorm_src 0
		.amdhsa_exception_fp_ieee_div_zero 0
		.amdhsa_exception_fp_ieee_overflow 0
		.amdhsa_exception_fp_ieee_underflow 0
		.amdhsa_exception_fp_ieee_inexact 0
		.amdhsa_exception_int_div_zero 0
	.end_amdhsa_kernel
	.section	.text._ZN2at6native12_GLOBAL__N_125multi_tensor_apply_kernelINS1_18TensorListMetadataILi1EEENS0_12LpMaxFunctorIlLi1ELi1ELi0EEEJPliEEEvT_T0_DpT1_,"axG",@progbits,_ZN2at6native12_GLOBAL__N_125multi_tensor_apply_kernelINS1_18TensorListMetadataILi1EEENS0_12LpMaxFunctorIlLi1ELi1ELi0EEEJPliEEEvT_T0_DpT1_,comdat
.Lfunc_end6:
	.size	_ZN2at6native12_GLOBAL__N_125multi_tensor_apply_kernelINS1_18TensorListMetadataILi1EEENS0_12LpMaxFunctorIlLi1ELi1ELi0EEEJPliEEEvT_T0_DpT1_, .Lfunc_end6-_ZN2at6native12_GLOBAL__N_125multi_tensor_apply_kernelINS1_18TensorListMetadataILi1EEENS0_12LpMaxFunctorIlLi1ELi1ELi0EEEJPliEEEvT_T0_DpT1_
                                        ; -- End function
	.set _ZN2at6native12_GLOBAL__N_125multi_tensor_apply_kernelINS1_18TensorListMetadataILi1EEENS0_12LpMaxFunctorIlLi1ELi1ELi0EEEJPliEEEvT_T0_DpT1_.num_vgpr, 26
	.set _ZN2at6native12_GLOBAL__N_125multi_tensor_apply_kernelINS1_18TensorListMetadataILi1EEENS0_12LpMaxFunctorIlLi1ELi1ELi0EEEJPliEEEvT_T0_DpT1_.num_agpr, 0
	.set _ZN2at6native12_GLOBAL__N_125multi_tensor_apply_kernelINS1_18TensorListMetadataILi1EEENS0_12LpMaxFunctorIlLi1ELi1ELi0EEEJPliEEEvT_T0_DpT1_.numbered_sgpr, 14
	.set _ZN2at6native12_GLOBAL__N_125multi_tensor_apply_kernelINS1_18TensorListMetadataILi1EEENS0_12LpMaxFunctorIlLi1ELi1ELi0EEEJPliEEEvT_T0_DpT1_.num_named_barrier, 0
	.set _ZN2at6native12_GLOBAL__N_125multi_tensor_apply_kernelINS1_18TensorListMetadataILi1EEENS0_12LpMaxFunctorIlLi1ELi1ELi0EEEJPliEEEvT_T0_DpT1_.private_seg_size, 0
	.set _ZN2at6native12_GLOBAL__N_125multi_tensor_apply_kernelINS1_18TensorListMetadataILi1EEENS0_12LpMaxFunctorIlLi1ELi1ELi0EEEJPliEEEvT_T0_DpT1_.uses_vcc, 1
	.set _ZN2at6native12_GLOBAL__N_125multi_tensor_apply_kernelINS1_18TensorListMetadataILi1EEENS0_12LpMaxFunctorIlLi1ELi1ELi0EEEJPliEEEvT_T0_DpT1_.uses_flat_scratch, 0
	.set _ZN2at6native12_GLOBAL__N_125multi_tensor_apply_kernelINS1_18TensorListMetadataILi1EEENS0_12LpMaxFunctorIlLi1ELi1ELi0EEEJPliEEEvT_T0_DpT1_.has_dyn_sized_stack, 0
	.set _ZN2at6native12_GLOBAL__N_125multi_tensor_apply_kernelINS1_18TensorListMetadataILi1EEENS0_12LpMaxFunctorIlLi1ELi1ELi0EEEJPliEEEvT_T0_DpT1_.has_recursion, 0
	.set _ZN2at6native12_GLOBAL__N_125multi_tensor_apply_kernelINS1_18TensorListMetadataILi1EEENS0_12LpMaxFunctorIlLi1ELi1ELi0EEEJPliEEEvT_T0_DpT1_.has_indirect_call, 0
	.section	.AMDGPU.csdata,"",@progbits
; Kernel info:
; codeLenInByte = 1632
; TotalNumSgprs: 16
; NumVgprs: 26
; ScratchSize: 0
; MemoryBound: 0
; FloatMode: 240
; IeeeMode: 1
; LDSByteSize: 4096 bytes/workgroup (compile time only)
; SGPRBlocks: 0
; VGPRBlocks: 1
; NumSGPRsForWavesPerEU: 16
; NumVGPRsForWavesPerEU: 26
; NamedBarCnt: 0
; Occupancy: 16
; WaveLimiterHint : 0
; COMPUTE_PGM_RSRC2:SCRATCH_EN: 0
; COMPUTE_PGM_RSRC2:USER_SGPR: 2
; COMPUTE_PGM_RSRC2:TRAP_HANDLER: 0
; COMPUTE_PGM_RSRC2:TGID_X_EN: 1
; COMPUTE_PGM_RSRC2:TGID_Y_EN: 0
; COMPUTE_PGM_RSRC2:TGID_Z_EN: 0
; COMPUTE_PGM_RSRC2:TIDIG_COMP_CNT: 0
	.section	.text._ZN2at6native13lpmax_cleanupIlEEvPKT_NS0_19TensorListAddressesEi,"axG",@progbits,_ZN2at6native13lpmax_cleanupIlEEvPKT_NS0_19TensorListAddressesEi,comdat
	.protected	_ZN2at6native13lpmax_cleanupIlEEvPKT_NS0_19TensorListAddressesEi ; -- Begin function _ZN2at6native13lpmax_cleanupIlEEvPKT_NS0_19TensorListAddressesEi
	.globl	_ZN2at6native13lpmax_cleanupIlEEvPKT_NS0_19TensorListAddressesEi
	.p2align	8
	.type	_ZN2at6native13lpmax_cleanupIlEEvPKT_NS0_19TensorListAddressesEi,@function
_ZN2at6native13lpmax_cleanupIlEEvPKT_NS0_19TensorListAddressesEi: ; @_ZN2at6native13lpmax_cleanupIlEEvPKT_NS0_19TensorListAddressesEi
; %bb.0:
	s_load_b32 s2, s[0:1], 0xc88
	s_bfe_u32 s3, ttmp6, 0x4000c
	s_and_b32 s4, ttmp6, 15
	s_add_co_i32 s3, s3, 1
	v_mov_b64_e32 v[2:3], 0x8000000000000000
	s_mul_i32 s3, ttmp9, s3
	s_mov_b32 s5, 0
	s_add_co_i32 s4, s4, s3
	s_getreg_b32 s3, hwreg(HW_REG_IB_STS2, 6, 4)
	s_mov_b32 s9, exec_lo
	s_cmp_eq_u32 s3, 0
	s_cselect_b32 s8, ttmp9, s4
	s_wait_kmcnt 0x0
	v_cmpx_gt_u32_e64 s2, v0
	s_cbranch_execz .LBB7_4
; %bb.1:
	s_clause 0x1
	s_load_b64 s[6:7], s[0:1], 0x0
	s_load_b32 s4, s[0:1], 0xc9c
	v_dual_mov_b32 v1, 0 :: v_dual_lshlrev_b32 v2, 3, v0
	s_mul_i32 s10, s2, s8
	s_mov_b32 s11, s5
	s_ashr_i32 s3, s2, 31
	s_delay_alu instid0(VALU_DEP_1)
	v_mov_b32_e32 v3, v1
	s_lshl_b64 s[10:11], s[10:11], 3
	v_mov_b64_e32 v[6:7], v[0:1]
	s_wait_kmcnt 0x0
	s_add_nc_u64 s[6:7], s[6:7], s[10:11]
	s_and_b32 s4, s4, 0xffff
	v_add_nc_u64_e32 v[4:5], s[6:7], v[2:3]
	v_mov_b64_e32 v[2:3], 0x8000000000000000
	s_lshl_b32 s6, s4, 3
	s_mov_b32 s7, s5
	s_mov_b32 s10, s5
.LBB7_2:                                ; =>This Inner Loop Header: Depth=1
	global_load_b64 v[8:9], v[4:5], off
	v_add_nc_u64_e32 v[6:7], s[4:5], v[6:7]
	s_wait_xcnt 0x0
	v_add_nc_u64_e32 v[4:5], s[6:7], v[4:5]
	s_delay_alu instid0(VALU_DEP_2)
	v_cmp_le_u64_e32 vcc_lo, s[2:3], v[6:7]
	s_or_b32 s10, vcc_lo, s10
	s_wait_loadcnt 0x0
	v_max_i64 v[2:3], v[2:3], v[8:9]
	s_and_not1_b32 exec_lo, exec_lo, s10
	s_cbranch_execnz .LBB7_2
; %bb.3:
	s_or_b32 exec_lo, exec_lo, s10
.LBB7_4:
	s_delay_alu instid0(SALU_CYCLE_1) | instskip(SKIP_4) | instid1(VALU_DEP_2)
	s_or_b32 exec_lo, exec_lo, s9
	v_mbcnt_lo_u32_b32 v9, -1, 0
	v_and_b32_e32 v10, 31, v0
	s_mov_b32 s2, exec_lo
	s_barrier_signal -1
	v_lshl_or_b32 v1, v9, 2, 64
	v_cmp_gt_u32_e32 vcc_lo, 24, v9
	s_barrier_wait -1
	ds_bpermute_b32 v4, v1, v2
	ds_bpermute_b32 v5, v1, v3
	s_wait_dscnt 0x0
	v_max_i64 v[2:3], v[2:3], v[4:5]
	v_cndmask_b32_e64 v4, 0, 8, vcc_lo
	v_cmp_gt_u32_e32 vcc_lo, 28, v9
	s_delay_alu instid0(VALU_DEP_2)
	v_add_lshl_u32 v6, v4, v9, 2
	ds_bpermute_b32 v4, v6, v2
	ds_bpermute_b32 v5, v6, v3
	s_wait_dscnt 0x0
	v_max_i64 v[2:3], v[2:3], v[4:5]
	v_cndmask_b32_e64 v4, 0, 4, vcc_lo
	v_cmp_gt_u32_e32 vcc_lo, 30, v9
	s_delay_alu instid0(VALU_DEP_2)
	v_add_lshl_u32 v7, v4, v9, 2
	ds_bpermute_b32 v4, v7, v2
	ds_bpermute_b32 v5, v7, v3
	s_wait_dscnt 0x0
	v_max_i64 v[2:3], v[2:3], v[4:5]
	v_cndmask_b32_e64 v4, 0, 2, vcc_lo
	v_cmp_ne_u32_e32 vcc_lo, 31, v9
	s_delay_alu instid0(VALU_DEP_2)
	v_add_lshl_u32 v8, v4, v9, 2
	ds_bpermute_b32 v4, v8, v2
	ds_bpermute_b32 v5, v8, v3
	s_wait_dscnt 0x0
	v_max_i64 v[2:3], v[2:3], v[4:5]
	v_add_co_ci_u32_e64 v4, null, 0, v9, vcc_lo
	s_delay_alu instid0(VALU_DEP_1)
	v_lshlrev_b32_e32 v9, 2, v4
	ds_bpermute_b32 v4, v9, v2
	ds_bpermute_b32 v5, v9, v3
	v_cmpx_eq_u32_e32 0, v10
	s_cbranch_execz .LBB7_6
; %bb.5:
	s_wait_dscnt 0x0
	v_max_i64 v[2:3], v[2:3], v[4:5]
	v_lshrrev_b32_e32 v4, 2, v0
	ds_store_b64 v4, v[2:3]
.LBB7_6:
	s_or_b32 exec_lo, exec_lo, s2
	s_wait_dscnt 0x0
	s_barrier_signal -1
	s_barrier_wait -1
	s_load_b32 s2, s[0:1], 0xc9c
	v_mov_b64_e32 v[2:3], 0x8000000000000000
	s_wait_kmcnt 0x0
	s_bfe_u32 s2, s2, 0xb0005
	s_delay_alu instid0(SALU_CYCLE_1)
	v_cmp_gt_u32_e32 vcc_lo, s2, v0
	s_and_saveexec_b32 s2, vcc_lo
; %bb.7:
	v_lshlrev_b32_e32 v2, 3, v10
	ds_load_b64 v[2:3], v2
; %bb.8:
	s_or_b32 exec_lo, exec_lo, s2
	s_delay_alu instid0(SALU_CYCLE_1)
	s_mov_b32 s2, exec_lo
	v_cmpx_gt_u32_e32 32, v0
	s_cbranch_execz .LBB7_10
; %bb.9:
	s_wait_dscnt 0x0
	ds_bpermute_b32 v4, v1, v2
	ds_bpermute_b32 v5, v1, v3
	s_wait_dscnt 0x0
	v_max_i64 v[2:3], v[2:3], v[4:5]
	ds_bpermute_b32 v4, v6, v2
	ds_bpermute_b32 v5, v6, v3
	s_wait_dscnt 0x0
	v_max_i64 v[2:3], v[2:3], v[4:5]
	;; [unrolled: 4-line block ×5, first 2 shown]
.LBB7_10:
	s_or_b32 exec_lo, exec_lo, s2
	s_delay_alu instid0(SALU_CYCLE_1)
	s_mov_b32 s2, exec_lo
	v_cmpx_eq_u32_e32 0, v0
	s_cbranch_execz .LBB7_12
; %bb.11:
	s_load_b64 s[0:1], s[0:1], s8 offset:0x8 scale_offset
	v_mov_b32_e32 v0, 0
	s_wait_dscnt 0x0
	s_wait_kmcnt 0x0
	global_store_b64 v0, v[2:3], s[0:1]
.LBB7_12:
	s_endpgm
	.section	.rodata,"a",@progbits
	.p2align	6, 0x0
	.amdhsa_kernel _ZN2at6native13lpmax_cleanupIlEEvPKT_NS0_19TensorListAddressesEi
		.amdhsa_group_segment_fixed_size 4096
		.amdhsa_private_segment_fixed_size 0
		.amdhsa_kernarg_size 3472
		.amdhsa_user_sgpr_count 2
		.amdhsa_user_sgpr_dispatch_ptr 0
		.amdhsa_user_sgpr_queue_ptr 0
		.amdhsa_user_sgpr_kernarg_segment_ptr 1
		.amdhsa_user_sgpr_dispatch_id 0
		.amdhsa_user_sgpr_kernarg_preload_length 0
		.amdhsa_user_sgpr_kernarg_preload_offset 0
		.amdhsa_user_sgpr_private_segment_size 0
		.amdhsa_wavefront_size32 1
		.amdhsa_uses_dynamic_stack 0
		.amdhsa_enable_private_segment 0
		.amdhsa_system_sgpr_workgroup_id_x 1
		.amdhsa_system_sgpr_workgroup_id_y 0
		.amdhsa_system_sgpr_workgroup_id_z 0
		.amdhsa_system_sgpr_workgroup_info 0
		.amdhsa_system_vgpr_workitem_id 0
		.amdhsa_next_free_vgpr 11
		.amdhsa_next_free_sgpr 12
		.amdhsa_named_barrier_count 0
		.amdhsa_reserve_vcc 1
		.amdhsa_float_round_mode_32 0
		.amdhsa_float_round_mode_16_64 0
		.amdhsa_float_denorm_mode_32 3
		.amdhsa_float_denorm_mode_16_64 3
		.amdhsa_fp16_overflow 0
		.amdhsa_memory_ordered 1
		.amdhsa_forward_progress 1
		.amdhsa_inst_pref_size 7
		.amdhsa_round_robin_scheduling 0
		.amdhsa_exception_fp_ieee_invalid_op 0
		.amdhsa_exception_fp_denorm_src 0
		.amdhsa_exception_fp_ieee_div_zero 0
		.amdhsa_exception_fp_ieee_overflow 0
		.amdhsa_exception_fp_ieee_underflow 0
		.amdhsa_exception_fp_ieee_inexact 0
		.amdhsa_exception_int_div_zero 0
	.end_amdhsa_kernel
	.section	.text._ZN2at6native13lpmax_cleanupIlEEvPKT_NS0_19TensorListAddressesEi,"axG",@progbits,_ZN2at6native13lpmax_cleanupIlEEvPKT_NS0_19TensorListAddressesEi,comdat
.Lfunc_end7:
	.size	_ZN2at6native13lpmax_cleanupIlEEvPKT_NS0_19TensorListAddressesEi, .Lfunc_end7-_ZN2at6native13lpmax_cleanupIlEEvPKT_NS0_19TensorListAddressesEi
                                        ; -- End function
	.set _ZN2at6native13lpmax_cleanupIlEEvPKT_NS0_19TensorListAddressesEi.num_vgpr, 11
	.set _ZN2at6native13lpmax_cleanupIlEEvPKT_NS0_19TensorListAddressesEi.num_agpr, 0
	.set _ZN2at6native13lpmax_cleanupIlEEvPKT_NS0_19TensorListAddressesEi.numbered_sgpr, 12
	.set _ZN2at6native13lpmax_cleanupIlEEvPKT_NS0_19TensorListAddressesEi.num_named_barrier, 0
	.set _ZN2at6native13lpmax_cleanupIlEEvPKT_NS0_19TensorListAddressesEi.private_seg_size, 0
	.set _ZN2at6native13lpmax_cleanupIlEEvPKT_NS0_19TensorListAddressesEi.uses_vcc, 1
	.set _ZN2at6native13lpmax_cleanupIlEEvPKT_NS0_19TensorListAddressesEi.uses_flat_scratch, 0
	.set _ZN2at6native13lpmax_cleanupIlEEvPKT_NS0_19TensorListAddressesEi.has_dyn_sized_stack, 0
	.set _ZN2at6native13lpmax_cleanupIlEEvPKT_NS0_19TensorListAddressesEi.has_recursion, 0
	.set _ZN2at6native13lpmax_cleanupIlEEvPKT_NS0_19TensorListAddressesEi.has_indirect_call, 0
	.section	.AMDGPU.csdata,"",@progbits
; Kernel info:
; codeLenInByte = 824
; TotalNumSgprs: 14
; NumVgprs: 11
; ScratchSize: 0
; MemoryBound: 0
; FloatMode: 240
; IeeeMode: 1
; LDSByteSize: 4096 bytes/workgroup (compile time only)
; SGPRBlocks: 0
; VGPRBlocks: 0
; NumSGPRsForWavesPerEU: 14
; NumVGPRsForWavesPerEU: 11
; NamedBarCnt: 0
; Occupancy: 16
; WaveLimiterHint : 0
; COMPUTE_PGM_RSRC2:SCRATCH_EN: 0
; COMPUTE_PGM_RSRC2:USER_SGPR: 2
; COMPUTE_PGM_RSRC2:TRAP_HANDLER: 0
; COMPUTE_PGM_RSRC2:TGID_X_EN: 1
; COMPUTE_PGM_RSRC2:TGID_Y_EN: 0
; COMPUTE_PGM_RSRC2:TGID_Z_EN: 0
; COMPUTE_PGM_RSRC2:TIDIG_COMP_CNT: 0
	.section	.text._ZN2at6native12_GLOBAL__N_125multi_tensor_apply_kernelINS1_18TensorListMetadataILi1EEENS0_12LpMaxFunctorIsLi1ELi1ELi0EEEJPsiEEEvT_T0_DpT1_,"axG",@progbits,_ZN2at6native12_GLOBAL__N_125multi_tensor_apply_kernelINS1_18TensorListMetadataILi1EEENS0_12LpMaxFunctorIsLi1ELi1ELi0EEEJPsiEEEvT_T0_DpT1_,comdat
	.globl	_ZN2at6native12_GLOBAL__N_125multi_tensor_apply_kernelINS1_18TensorListMetadataILi1EEENS0_12LpMaxFunctorIsLi1ELi1ELi0EEEJPsiEEEvT_T0_DpT1_ ; -- Begin function _ZN2at6native12_GLOBAL__N_125multi_tensor_apply_kernelINS1_18TensorListMetadataILi1EEENS0_12LpMaxFunctorIsLi1ELi1ELi0EEEJPsiEEEvT_T0_DpT1_
	.p2align	8
	.type	_ZN2at6native12_GLOBAL__N_125multi_tensor_apply_kernelINS1_18TensorListMetadataILi1EEENS0_12LpMaxFunctorIsLi1ELi1ELi0EEEJPsiEEEvT_T0_DpT1_,@function
_ZN2at6native12_GLOBAL__N_125multi_tensor_apply_kernelINS1_18TensorListMetadataILi1EEENS0_12LpMaxFunctorIsLi1ELi1ELi0EEEJPsiEEEvT_T0_DpT1_: ; @_ZN2at6native12_GLOBAL__N_125multi_tensor_apply_kernelINS1_18TensorListMetadataILi1EEENS0_12LpMaxFunctorIsLi1ELi1ELi0EEEJPsiEEEvT_T0_DpT1_
; %bb.0:
	s_bfe_u32 s2, ttmp6, 0x4000c
	s_and_b32 s3, ttmp6, 15
	s_add_co_i32 s2, s2, 1
	s_getreg_b32 s4, hwreg(HW_REG_IB_STS2, 6, 4)
	s_mul_i32 s2, ttmp9, s2
	s_delay_alu instid0(SALU_CYCLE_1)
	s_add_co_i32 s3, s3, s2
	s_cmp_eq_u32 s4, 0
	s_cselect_b32 s2, ttmp9, s3
	s_mov_b32 s3, 0
	v_mov_b32_e32 v1, s2
	s_add_nc_u64 s[4:5], s[0:1], s[2:3]
	s_mul_u64 s[6:7], s[2:3], 3
	s_delay_alu instid0(SALU_CYCLE_1) | instskip(SKIP_4) | instid1(SALU_CYCLE_1)
	s_add_nc_u64 s[4:5], s[4:5], s[6:7]
	global_load_u8 v11, v1, s[0:1] offset:1760
	s_load_b32 s4, s[4:5], 0x820
	s_wait_kmcnt 0x0
	s_ashr_i32 s5, s4, 31
	s_lshl_b64 s[10:11], s[4:5], 17
	s_wait_loadcnt 0x0
	v_readfirstlane_b32 s2, v11
	s_and_b32 s2, s2, 0xff
	s_clause 0x1
	s_load_b64 s[6:7], s[0:1], s2 offset:0x0 scale_offset
	s_load_b64 s[8:9], s[0:1], s2 offset:0x370 scale_offset
	s_wait_kmcnt 0x0
	s_add_nc_u64 s[6:7], s[6:7], s[10:11]
	s_and_b32 s2, s8, 3
	s_and_b64 s[10:11], s[6:7], 7
	s_delay_alu instid0(SALU_CYCLE_1)
	s_or_b64 s[2:3], s[2:3], s[10:11]
	s_lshl_b64 s[10:11], s[4:5], 16
	s_cmp_eq_u64 s[2:3], 0
	s_sub_nc_u64 s[8:9], s[8:9], s[10:11]
	s_cbranch_scc1 .LBB8_12
; %bb.1:
	v_cmp_lt_i64_e64 s2, s[8:9], 1
	s_and_b32 vcc_lo, exec_lo, s2
	s_cbranch_vccnz .LBB8_13
; %bb.2:
	s_load_b32 s2, s[0:1], 0xd4c
	v_min_i64 v[4:5], 0x10000, s[8:9]
	v_dual_mov_b32 v2, 0x80008000 :: v_dual_mov_b32 v9, 0
	s_mov_b32 s11, 0
	s_mov_b64 s[12:13], 0
	s_delay_alu instid0(VALU_DEP_1) | instskip(SKIP_2) | instid1(SALU_CYCLE_1)
	v_mov_b32_e32 v3, v2
	s_wait_kmcnt 0x0
	s_and_b32 s2, s2, 0xffff
	v_mad_u32 v6, s2, 3, v0
	v_lshl_add_u32 v10, s2, 1, v0
	v_add_nc_u32_e32 v12, s2, v0
	s_lshl_b32 s10, s2, 2
	s_branch .LBB8_4
.LBB8_3:                                ;   in Loop: Header=BB8_4 Depth=1
	s_or_b32 exec_lo, exec_lo, s2
	s_add_nc_u64 s[12:13], s[12:13], s[10:11]
	s_delay_alu instid0(SALU_CYCLE_1)
	v_cmp_lt_i64_e32 vcc_lo, s[12:13], v[4:5]
	s_cbranch_vccz .LBB8_14
.LBB8_4:                                ; =>This Inner Loop Header: Depth=1
	v_add_nc_u32_e32 v8, s12, v0
	s_delay_alu instid0(VALU_DEP_1) | instskip(SKIP_2) | instid1(SALU_CYCLE_1)
	v_cmp_gt_i64_e32 vcc_lo, s[8:9], v[8:9]
	v_cmp_gt_u32_e64 s2, 0x10000, v8
	s_and_b32 s3, s2, vcc_lo
	s_and_saveexec_b32 s2, s3
	s_cbranch_execz .LBB8_6
; %bb.5:                                ;   in Loop: Header=BB8_4 Depth=1
	v_lshl_add_u64 v[14:15], v[8:9], 1, s[6:7]
	global_load_u16 v1, v[14:15], off
	s_wait_loadcnt 0x0
	v_max_i16 v1, v2, v1
	s_delay_alu instid0(VALU_DEP_1)
	v_bfi_b32 v2, 0xffff, v1, v2
.LBB8_6:                                ;   in Loop: Header=BB8_4 Depth=1
	s_or_b32 exec_lo, exec_lo, s2
	v_add_nc_u32_e32 v8, s12, v12
	s_delay_alu instid0(VALU_DEP_1) | instskip(SKIP_2) | instid1(SALU_CYCLE_1)
	v_cmp_gt_i64_e32 vcc_lo, s[8:9], v[8:9]
	v_cmp_gt_u32_e64 s2, 0x10000, v8
	s_and_b32 s3, s2, vcc_lo
	s_and_saveexec_b32 s2, s3
	s_cbranch_execz .LBB8_8
; %bb.7:                                ;   in Loop: Header=BB8_4 Depth=1
	v_lshl_add_u64 v[14:15], v[8:9], 1, s[6:7]
	v_lshrrev_b32_e32 v7, 16, v2
	global_load_u16 v1, v[14:15], off
	s_wait_loadcnt 0x0
	v_max_i16 v1, v7, v1
	s_delay_alu instid0(VALU_DEP_1)
	v_perm_b32 v2, v1, v2, 0x5040100
.LBB8_8:                                ;   in Loop: Header=BB8_4 Depth=1
	s_or_b32 exec_lo, exec_lo, s2
	v_add_nc_u32_e32 v8, s12, v10
	s_delay_alu instid0(VALU_DEP_1) | instskip(SKIP_2) | instid1(SALU_CYCLE_1)
	v_cmp_gt_i64_e32 vcc_lo, s[8:9], v[8:9]
	v_cmp_gt_u32_e64 s2, 0x10000, v8
	s_and_b32 s3, s2, vcc_lo
	s_and_saveexec_b32 s2, s3
	s_cbranch_execz .LBB8_10
; %bb.9:                                ;   in Loop: Header=BB8_4 Depth=1
	v_lshl_add_u64 v[14:15], v[8:9], 1, s[6:7]
	global_load_u16 v1, v[14:15], off
	s_wait_loadcnt 0x0
	v_max_i16 v1, v3, v1
	s_delay_alu instid0(VALU_DEP_1)
	v_bfi_b32 v3, 0xffff, v1, v3
.LBB8_10:                               ;   in Loop: Header=BB8_4 Depth=1
	s_or_b32 exec_lo, exec_lo, s2
	v_add_nc_u32_e32 v8, s12, v6
	s_delay_alu instid0(VALU_DEP_1) | instskip(SKIP_2) | instid1(SALU_CYCLE_1)
	v_cmp_gt_i64_e32 vcc_lo, s[8:9], v[8:9]
	v_cmp_gt_u32_e64 s2, 0x10000, v8
	s_and_b32 s3, s2, vcc_lo
	s_and_saveexec_b32 s2, s3
	s_cbranch_execz .LBB8_3
; %bb.11:                               ;   in Loop: Header=BB8_4 Depth=1
	v_lshl_add_u64 v[14:15], v[8:9], 1, s[6:7]
	v_lshrrev_b32_e32 v7, 16, v3
	global_load_u16 v1, v[14:15], off
	s_wait_loadcnt 0x0
	v_max_i16 v1, v7, v1
	s_delay_alu instid0(VALU_DEP_1)
	v_perm_b32 v3, v1, v3, 0x5040100
	s_branch .LBB8_3
.LBB8_12:
                                        ; implicit-def: $vgpr2_vgpr3
	s_branch .LBB8_15
.LBB8_13:
	v_mov_b32_e32 v2, 0x80008000
	s_delay_alu instid0(VALU_DEP_1)
	v_mov_b32_e32 v3, v2
.LBB8_14:
	s_cbranch_execnz .LBB8_20
.LBB8_15:
	v_min_i64 v[4:5], 0x10000, s[8:9]
	v_dual_mov_b32 v2, 0x80008000 :: v_dual_mov_b32 v7, 0
	v_lshlrev_b32_e32 v6, 2, v0
	s_mov_b32 s5, exec_lo
	s_delay_alu instid0(VALU_DEP_2) | instskip(NEXT) | instid1(VALU_DEP_2)
	v_mov_b32_e32 v3, v2
	v_cmpx_lt_i64_e64 v[6:7], v[4:5]
	s_cbranch_execz .LBB8_19
; %bb.16:
	s_load_b32 s2, s[0:1], 0xd4c
	v_dual_mov_b32 v1, v7 :: v_dual_lshlrev_b32 v6, 3, v0
	v_mov_b32_e32 v3, 0x80008000
	s_mov_b32 s3, 0
	s_delay_alu instid0(VALU_DEP_2) | instskip(NEXT) | instid1(VALU_DEP_3)
	v_add_nc_u64_e32 v[6:7], s[6:7], v[6:7]
	v_mov_b64_e32 v[8:9], v[0:1]
	s_mov_b32 s7, s3
	s_mov_b32 s8, s3
	s_wait_kmcnt 0x0
	s_and_b32 s2, s2, 0xffff
	s_delay_alu instid0(SALU_CYCLE_1)
	s_lshl_b32 s6, s2, 3
.LBB8_17:                               ; =>This Inner Loop Header: Depth=1
	global_load_b64 v[12:13], v[6:7], off
	v_add_nc_u64_e32 v[8:9], s[2:3], v[8:9]
	s_wait_xcnt 0x0
	v_add_nc_u64_e32 v[6:7], s[6:7], v[6:7]
	s_delay_alu instid0(VALU_DEP_2) | instskip(NEXT) | instid1(VALU_DEP_1)
	v_lshlrev_b64_e32 v[14:15], 2, v[8:9]
	v_cmp_ge_i64_e32 vcc_lo, v[14:15], v[4:5]
	s_or_b32 s8, vcc_lo, s8
	s_wait_loadcnt 0x0
	v_pk_max_i16 v3, v3, v13
	v_pk_max_i16 v2, v2, v12
	s_and_not1_b32 exec_lo, exec_lo, s8
	s_cbranch_execnz .LBB8_17
; %bb.18:
	s_or_b32 exec_lo, exec_lo, s8
.LBB8_19:
	s_delay_alu instid0(SALU_CYCLE_1)
	s_or_b32 exec_lo, exec_lo, s5
.LBB8_20:
	s_delay_alu instid0(VALU_DEP_1) | instskip(SKIP_2) | instid1(VALU_DEP_2)
	v_dual_lshrrev_b32 v1, 16, v2 :: v_dual_lshrrev_b32 v4, 16, v3
	v_mbcnt_lo_u32_b32 v5, -1, 0
	s_mov_b32 s2, exec_lo
	v_max_i16 v1, v2, v1
	s_barrier_signal -1
	s_delay_alu instid0(VALU_DEP_2) | instskip(SKIP_1) | instid1(VALU_DEP_2)
	v_cmp_gt_u32_e32 vcc_lo, 24, v5
	s_barrier_wait -1
	v_max3_i16 v2, v1, v3, v4
	v_lshl_or_b32 v1, v5, 2, 64
	v_cndmask_b32_e64 v4, 0, 8, vcc_lo
	v_cmp_gt_u32_e32 vcc_lo, 28, v5
	s_delay_alu instid0(VALU_DEP_4)
	v_bfe_i32 v3, v2, 0, 16
	v_cndmask_b32_e64 v6, 0, 4, vcc_lo
	v_cmp_gt_u32_e32 vcc_lo, 30, v5
	ds_bpermute_b32 v3, v1, v3
	v_cndmask_b32_e64 v7, 0, 2, vcc_lo
	v_cmp_ne_u32_e32 vcc_lo, 31, v5
	s_wait_dscnt 0x0
	v_max_i16 v3, v2, v3
	v_add_lshl_u32 v2, v4, v5, 2
	s_delay_alu instid0(VALU_DEP_2) | instskip(SKIP_4) | instid1(VALU_DEP_2)
	v_bfe_i32 v4, v3, 0, 16
	ds_bpermute_b32 v4, v2, v4
	s_wait_dscnt 0x0
	v_max_i16 v4, v3, v4
	v_add_lshl_u32 v3, v6, v5, 2
	v_bfe_i32 v6, v4, 0, 16
	ds_bpermute_b32 v6, v3, v6
	s_wait_dscnt 0x0
	v_max_i16 v6, v4, v6
	v_add_lshl_u32 v4, v7, v5, 2
	v_add_co_ci_u32_e64 v5, null, 0, v5, vcc_lo
	s_delay_alu instid0(VALU_DEP_3) | instskip(NEXT) | instid1(VALU_DEP_2)
	v_bfe_i32 v7, v6, 0, 16
	v_lshlrev_b32_e32 v5, 2, v5
	ds_bpermute_b32 v7, v4, v7
	s_wait_dscnt 0x0
	v_max_i16 v6, v6, v7
	s_delay_alu instid0(VALU_DEP_1) | instskip(SKIP_2) | instid1(VALU_DEP_1)
	v_bfe_i32 v7, v6, 0, 16
	ds_bpermute_b32 v8, v5, v7
	v_and_b32_e32 v7, 31, v0
	v_cmpx_eq_u32_e32 0, v7
	s_cbranch_execz .LBB8_22
; %bb.21:
	v_lshrrev_b32_e32 v9, 4, v0
	s_wait_dscnt 0x0
	v_max_i16 v6, v6, v8
	ds_store_b16 v9, v6
.LBB8_22:
	s_or_b32 exec_lo, exec_lo, s2
	s_wait_dscnt 0x0
	s_barrier_signal -1
	s_barrier_wait -1
	s_load_b32 s2, s[0:1], 0xd4c
	v_mov_b32_e32 v6, 0xffff8000
	s_wait_kmcnt 0x0
	s_bfe_u32 s2, s2, 0xb0005
	s_delay_alu instid0(SALU_CYCLE_1)
	v_cmp_gt_u32_e32 vcc_lo, s2, v0
	s_and_saveexec_b32 s2, vcc_lo
; %bb.23:
	v_lshlrev_b32_e32 v6, 1, v7
	ds_load_u16 v6, v6
; %bb.24:
	s_or_b32 exec_lo, exec_lo, s2
	s_delay_alu instid0(SALU_CYCLE_1)
	s_mov_b32 s2, exec_lo
	v_cmpx_gt_u32_e32 32, v0
	s_cbranch_execz .LBB8_26
; %bb.25:
	s_wait_dscnt 0x0
	v_bfe_i32 v7, v6, 0, 16
	ds_bpermute_b32 v1, v1, v7
	s_wait_dscnt 0x0
	v_max_i16 v1, v6, v1
	s_delay_alu instid0(VALU_DEP_1) | instskip(SKIP_3) | instid1(VALU_DEP_1)
	v_bfe_i32 v6, v1, 0, 16
	ds_bpermute_b32 v2, v2, v6
	s_wait_dscnt 0x0
	v_max_i16 v1, v1, v2
	v_bfe_i32 v2, v1, 0, 16
	ds_bpermute_b32 v2, v3, v2
	s_wait_dscnt 0x0
	v_max_i16 v1, v1, v2
	s_delay_alu instid0(VALU_DEP_1) | instskip(SKIP_3) | instid1(VALU_DEP_1)
	v_bfe_i32 v2, v1, 0, 16
	ds_bpermute_b32 v2, v4, v2
	s_wait_dscnt 0x0
	v_max_i16 v1, v1, v2
	v_bfe_i32 v2, v1, 0, 16
	ds_bpermute_b32 v2, v5, v2
	s_wait_dscnt 0x0
	v_max_i16 v6, v1, v2
.LBB8_26:
	s_or_b32 exec_lo, exec_lo, s2
	s_delay_alu instid0(SALU_CYCLE_1)
	s_mov_b32 s2, exec_lo
	v_cmpx_eq_u32_e32 0, v0
	s_cbranch_execz .LBB8_28
; %bb.27:
	s_clause 0x1
	s_load_b32 s2, s[0:1], 0xd20
	s_load_b96 s[8:10], s[0:1], 0xd30
	v_and_b32_e32 v0, 0xff, v11
	s_wait_kmcnt 0x0
	s_delay_alu instid0(VALU_DEP_1) | instskip(NEXT) | instid1(VALU_DEP_1)
	v_add_nc_u32_e32 v0, s2, v0
	v_mul_lo_u32 v0, v0, s10
	s_delay_alu instid0(VALU_DEP_1)
	v_add_nc_u32_e32 v0, s4, v0
	s_wait_dscnt 0x0
	global_store_b16 v0, v6, s[8:9] scale_offset
.LBB8_28:
	s_endpgm
	.section	.rodata,"a",@progbits
	.p2align	6, 0x0
	.amdhsa_kernel _ZN2at6native12_GLOBAL__N_125multi_tensor_apply_kernelINS1_18TensorListMetadataILi1EEENS0_12LpMaxFunctorIsLi1ELi1ELi0EEEJPsiEEEvT_T0_DpT1_
		.amdhsa_group_segment_fixed_size 1024
		.amdhsa_private_segment_fixed_size 0
		.amdhsa_kernarg_size 3648
		.amdhsa_user_sgpr_count 2
		.amdhsa_user_sgpr_dispatch_ptr 0
		.amdhsa_user_sgpr_queue_ptr 0
		.amdhsa_user_sgpr_kernarg_segment_ptr 1
		.amdhsa_user_sgpr_dispatch_id 0
		.amdhsa_user_sgpr_kernarg_preload_length 0
		.amdhsa_user_sgpr_kernarg_preload_offset 0
		.amdhsa_user_sgpr_private_segment_size 0
		.amdhsa_wavefront_size32 1
		.amdhsa_uses_dynamic_stack 0
		.amdhsa_enable_private_segment 0
		.amdhsa_system_sgpr_workgroup_id_x 1
		.amdhsa_system_sgpr_workgroup_id_y 0
		.amdhsa_system_sgpr_workgroup_id_z 0
		.amdhsa_system_sgpr_workgroup_info 0
		.amdhsa_system_vgpr_workitem_id 0
		.amdhsa_next_free_vgpr 16
		.amdhsa_next_free_sgpr 14
		.amdhsa_named_barrier_count 0
		.amdhsa_reserve_vcc 1
		.amdhsa_float_round_mode_32 0
		.amdhsa_float_round_mode_16_64 0
		.amdhsa_float_denorm_mode_32 3
		.amdhsa_float_denorm_mode_16_64 3
		.amdhsa_fp16_overflow 0
		.amdhsa_memory_ordered 1
		.amdhsa_forward_progress 1
		.amdhsa_inst_pref_size 12
		.amdhsa_round_robin_scheduling 0
		.amdhsa_exception_fp_ieee_invalid_op 0
		.amdhsa_exception_fp_denorm_src 0
		.amdhsa_exception_fp_ieee_div_zero 0
		.amdhsa_exception_fp_ieee_overflow 0
		.amdhsa_exception_fp_ieee_underflow 0
		.amdhsa_exception_fp_ieee_inexact 0
		.amdhsa_exception_int_div_zero 0
	.end_amdhsa_kernel
	.section	.text._ZN2at6native12_GLOBAL__N_125multi_tensor_apply_kernelINS1_18TensorListMetadataILi1EEENS0_12LpMaxFunctorIsLi1ELi1ELi0EEEJPsiEEEvT_T0_DpT1_,"axG",@progbits,_ZN2at6native12_GLOBAL__N_125multi_tensor_apply_kernelINS1_18TensorListMetadataILi1EEENS0_12LpMaxFunctorIsLi1ELi1ELi0EEEJPsiEEEvT_T0_DpT1_,comdat
.Lfunc_end8:
	.size	_ZN2at6native12_GLOBAL__N_125multi_tensor_apply_kernelINS1_18TensorListMetadataILi1EEENS0_12LpMaxFunctorIsLi1ELi1ELi0EEEJPsiEEEvT_T0_DpT1_, .Lfunc_end8-_ZN2at6native12_GLOBAL__N_125multi_tensor_apply_kernelINS1_18TensorListMetadataILi1EEENS0_12LpMaxFunctorIsLi1ELi1ELi0EEEJPsiEEEvT_T0_DpT1_
                                        ; -- End function
	.set _ZN2at6native12_GLOBAL__N_125multi_tensor_apply_kernelINS1_18TensorListMetadataILi1EEENS0_12LpMaxFunctorIsLi1ELi1ELi0EEEJPsiEEEvT_T0_DpT1_.num_vgpr, 16
	.set _ZN2at6native12_GLOBAL__N_125multi_tensor_apply_kernelINS1_18TensorListMetadataILi1EEENS0_12LpMaxFunctorIsLi1ELi1ELi0EEEJPsiEEEvT_T0_DpT1_.num_agpr, 0
	.set _ZN2at6native12_GLOBAL__N_125multi_tensor_apply_kernelINS1_18TensorListMetadataILi1EEENS0_12LpMaxFunctorIsLi1ELi1ELi0EEEJPsiEEEvT_T0_DpT1_.numbered_sgpr, 14
	.set _ZN2at6native12_GLOBAL__N_125multi_tensor_apply_kernelINS1_18TensorListMetadataILi1EEENS0_12LpMaxFunctorIsLi1ELi1ELi0EEEJPsiEEEvT_T0_DpT1_.num_named_barrier, 0
	.set _ZN2at6native12_GLOBAL__N_125multi_tensor_apply_kernelINS1_18TensorListMetadataILi1EEENS0_12LpMaxFunctorIsLi1ELi1ELi0EEEJPsiEEEvT_T0_DpT1_.private_seg_size, 0
	.set _ZN2at6native12_GLOBAL__N_125multi_tensor_apply_kernelINS1_18TensorListMetadataILi1EEENS0_12LpMaxFunctorIsLi1ELi1ELi0EEEJPsiEEEvT_T0_DpT1_.uses_vcc, 1
	.set _ZN2at6native12_GLOBAL__N_125multi_tensor_apply_kernelINS1_18TensorListMetadataILi1EEENS0_12LpMaxFunctorIsLi1ELi1ELi0EEEJPsiEEEvT_T0_DpT1_.uses_flat_scratch, 0
	.set _ZN2at6native12_GLOBAL__N_125multi_tensor_apply_kernelINS1_18TensorListMetadataILi1EEENS0_12LpMaxFunctorIsLi1ELi1ELi0EEEJPsiEEEvT_T0_DpT1_.has_dyn_sized_stack, 0
	.set _ZN2at6native12_GLOBAL__N_125multi_tensor_apply_kernelINS1_18TensorListMetadataILi1EEENS0_12LpMaxFunctorIsLi1ELi1ELi0EEEJPsiEEEvT_T0_DpT1_.has_recursion, 0
	.set _ZN2at6native12_GLOBAL__N_125multi_tensor_apply_kernelINS1_18TensorListMetadataILi1EEENS0_12LpMaxFunctorIsLi1ELi1ELi0EEEJPsiEEEvT_T0_DpT1_.has_indirect_call, 0
	.section	.AMDGPU.csdata,"",@progbits
; Kernel info:
; codeLenInByte = 1536
; TotalNumSgprs: 16
; NumVgprs: 16
; ScratchSize: 0
; MemoryBound: 0
; FloatMode: 240
; IeeeMode: 1
; LDSByteSize: 1024 bytes/workgroup (compile time only)
; SGPRBlocks: 0
; VGPRBlocks: 0
; NumSGPRsForWavesPerEU: 16
; NumVGPRsForWavesPerEU: 16
; NamedBarCnt: 0
; Occupancy: 16
; WaveLimiterHint : 0
; COMPUTE_PGM_RSRC2:SCRATCH_EN: 0
; COMPUTE_PGM_RSRC2:USER_SGPR: 2
; COMPUTE_PGM_RSRC2:TRAP_HANDLER: 0
; COMPUTE_PGM_RSRC2:TGID_X_EN: 1
; COMPUTE_PGM_RSRC2:TGID_Y_EN: 0
; COMPUTE_PGM_RSRC2:TGID_Z_EN: 0
; COMPUTE_PGM_RSRC2:TIDIG_COMP_CNT: 0
	.section	.text._ZN2at6native13lpmax_cleanupIsEEvPKT_NS0_19TensorListAddressesEi,"axG",@progbits,_ZN2at6native13lpmax_cleanupIsEEvPKT_NS0_19TensorListAddressesEi,comdat
	.protected	_ZN2at6native13lpmax_cleanupIsEEvPKT_NS0_19TensorListAddressesEi ; -- Begin function _ZN2at6native13lpmax_cleanupIsEEvPKT_NS0_19TensorListAddressesEi
	.globl	_ZN2at6native13lpmax_cleanupIsEEvPKT_NS0_19TensorListAddressesEi
	.p2align	8
	.type	_ZN2at6native13lpmax_cleanupIsEEvPKT_NS0_19TensorListAddressesEi,@function
_ZN2at6native13lpmax_cleanupIsEEvPKT_NS0_19TensorListAddressesEi: ; @_ZN2at6native13lpmax_cleanupIsEEvPKT_NS0_19TensorListAddressesEi
; %bb.0:
	s_load_b32 s2, s[0:1], 0xc88
	s_bfe_u32 s3, ttmp6, 0x4000c
	s_and_b32 s4, ttmp6, 15
	s_add_co_i32 s3, s3, 1
	s_getreg_b32 s5, hwreg(HW_REG_IB_STS2, 6, 4)
	s_mul_i32 s3, ttmp9, s3
	v_mov_b32_e32 v6, 0xffff8000
	s_add_co_i32 s4, s4, s3
	s_cmp_eq_u32 s5, 0
	s_mov_b32 s5, 0
	s_cselect_b32 s8, ttmp9, s4
	s_mov_b32 s9, exec_lo
	s_wait_kmcnt 0x0
	v_cmpx_gt_u32_e64 s2, v0
	s_cbranch_execz .LBB9_4
; %bb.1:
	s_clause 0x1
	s_load_b64 s[6:7], s[0:1], 0x0
	s_load_b32 s4, s[0:1], 0xc9c
	v_dual_mov_b32 v1, 0 :: v_dual_lshlrev_b32 v2, 1, v0
	s_mul_i32 s10, s2, s8
	s_mov_b32 s11, s5
	s_delay_alu instid0(VALU_DEP_1)
	v_dual_mov_b32 v6, 0xffff8000 :: v_dual_mov_b32 v3, v1
	s_lshl_b64 s[10:11], s[10:11], 1
	v_mov_b64_e32 v[4:5], v[0:1]
	s_ashr_i32 s3, s2, 31
	s_wait_kmcnt 0x0
	s_add_nc_u64 s[6:7], s[6:7], s[10:11]
	s_and_b32 s4, s4, 0xffff
	v_add_nc_u64_e32 v[2:3], s[6:7], v[2:3]
	s_lshl_b32 s6, s4, 1
	s_mov_b32 s7, s5
	s_mov_b32 s10, s5
.LBB9_2:                                ; =>This Inner Loop Header: Depth=1
	global_load_u16 v1, v[2:3], off
	v_add_nc_u64_e32 v[4:5], s[4:5], v[4:5]
	s_wait_xcnt 0x0
	v_add_nc_u64_e32 v[2:3], s[6:7], v[2:3]
	s_delay_alu instid0(VALU_DEP_2)
	v_cmp_le_u64_e32 vcc_lo, s[2:3], v[4:5]
	s_or_b32 s10, vcc_lo, s10
	s_wait_loadcnt 0x0
	v_max_i16 v6, v6, v1
	s_and_not1_b32 exec_lo, exec_lo, s10
	s_cbranch_execnz .LBB9_2
; %bb.3:
	s_or_b32 exec_lo, exec_lo, s10
.LBB9_4:
	s_delay_alu instid0(SALU_CYCLE_1) | instskip(SKIP_4) | instid1(VALU_DEP_2)
	s_or_b32 exec_lo, exec_lo, s9
	v_mbcnt_lo_u32_b32 v5, -1, 0
	v_bfe_i32 v2, v6, 0, 16
	s_mov_b32 s2, exec_lo
	s_barrier_signal -1
	v_lshl_or_b32 v1, v5, 2, 64
	v_cmp_gt_u32_e32 vcc_lo, 24, v5
	s_barrier_wait -1
	ds_bpermute_b32 v2, v1, v2
	v_cndmask_b32_e64 v3, 0, 8, vcc_lo
	v_cmp_gt_u32_e32 vcc_lo, 28, v5
	s_wait_dscnt 0x0
	v_max_i16 v4, v6, v2
	s_delay_alu instid0(VALU_DEP_3) | instskip(SKIP_2) | instid1(VALU_DEP_4)
	v_add_lshl_u32 v2, v3, v5, 2
	v_cndmask_b32_e64 v6, 0, 4, vcc_lo
	v_cmp_gt_u32_e32 vcc_lo, 30, v5
	v_bfe_i32 v3, v4, 0, 16
	v_cndmask_b32_e64 v7, 0, 2, vcc_lo
	v_cmp_ne_u32_e32 vcc_lo, 31, v5
	ds_bpermute_b32 v3, v2, v3
	s_wait_dscnt 0x0
	v_max_i16 v4, v4, v3
	v_add_lshl_u32 v3, v6, v5, 2
	s_delay_alu instid0(VALU_DEP_2)
	v_bfe_i32 v6, v4, 0, 16
	ds_bpermute_b32 v6, v3, v6
	s_wait_dscnt 0x0
	v_max_i16 v6, v4, v6
	v_add_lshl_u32 v4, v7, v5, 2
	v_add_co_ci_u32_e64 v5, null, 0, v5, vcc_lo
	s_delay_alu instid0(VALU_DEP_3) | instskip(NEXT) | instid1(VALU_DEP_2)
	v_bfe_i32 v7, v6, 0, 16
	v_lshlrev_b32_e32 v5, 2, v5
	ds_bpermute_b32 v7, v4, v7
	s_wait_dscnt 0x0
	v_max_i16 v7, v6, v7
	s_delay_alu instid0(VALU_DEP_1) | instskip(SKIP_2) | instid1(VALU_DEP_1)
	v_bfe_i32 v6, v7, 0, 16
	ds_bpermute_b32 v8, v5, v6
	v_and_b32_e32 v6, 31, v0
	v_cmpx_eq_u32_e32 0, v6
	s_cbranch_execz .LBB9_6
; %bb.5:
	s_wait_dscnt 0x0
	v_max_i16 v7, v7, v8
	v_lshrrev_b32_e32 v8, 4, v0
	ds_store_b16 v8, v7
.LBB9_6:
	s_or_b32 exec_lo, exec_lo, s2
	s_wait_dscnt 0x0
	s_barrier_signal -1
	s_barrier_wait -1
	s_load_b32 s2, s[0:1], 0xc9c
	v_mov_b32_e32 v7, 0xffff8000
	s_wait_kmcnt 0x0
	s_bfe_u32 s2, s2, 0xb0005
	s_delay_alu instid0(SALU_CYCLE_1)
	v_cmp_gt_u32_e32 vcc_lo, s2, v0
	s_and_saveexec_b32 s2, vcc_lo
; %bb.7:
	v_lshlrev_b32_e32 v6, 1, v6
	ds_load_u16 v7, v6
; %bb.8:
	s_or_b32 exec_lo, exec_lo, s2
	s_delay_alu instid0(SALU_CYCLE_1)
	s_mov_b32 s2, exec_lo
	v_cmpx_gt_u32_e32 32, v0
	s_cbranch_execz .LBB9_10
; %bb.9:
	s_wait_dscnt 0x0
	v_bfe_i32 v6, v7, 0, 16
	ds_bpermute_b32 v1, v1, v6
	s_wait_dscnt 0x0
	v_max_i16 v1, v7, v1
	s_delay_alu instid0(VALU_DEP_1) | instskip(SKIP_3) | instid1(VALU_DEP_1)
	v_bfe_i32 v6, v1, 0, 16
	ds_bpermute_b32 v2, v2, v6
	s_wait_dscnt 0x0
	v_max_i16 v1, v1, v2
	v_bfe_i32 v2, v1, 0, 16
	ds_bpermute_b32 v2, v3, v2
	s_wait_dscnt 0x0
	v_max_i16 v1, v1, v2
	s_delay_alu instid0(VALU_DEP_1) | instskip(SKIP_3) | instid1(VALU_DEP_1)
	v_bfe_i32 v2, v1, 0, 16
	ds_bpermute_b32 v2, v4, v2
	s_wait_dscnt 0x0
	v_max_i16 v1, v1, v2
	v_bfe_i32 v2, v1, 0, 16
	ds_bpermute_b32 v2, v5, v2
	s_wait_dscnt 0x0
	v_max_i16 v7, v1, v2
.LBB9_10:
	s_or_b32 exec_lo, exec_lo, s2
	s_delay_alu instid0(SALU_CYCLE_1)
	s_mov_b32 s2, exec_lo
	v_cmpx_eq_u32_e32 0, v0
	s_cbranch_execz .LBB9_12
; %bb.11:
	s_load_b64 s[0:1], s[0:1], s8 offset:0x8 scale_offset
	v_mov_b32_e32 v0, 0
	s_wait_dscnt 0x0
	s_wait_kmcnt 0x0
	global_store_b16 v0, v7, s[0:1]
.LBB9_12:
	s_endpgm
	.section	.rodata,"a",@progbits
	.p2align	6, 0x0
	.amdhsa_kernel _ZN2at6native13lpmax_cleanupIsEEvPKT_NS0_19TensorListAddressesEi
		.amdhsa_group_segment_fixed_size 1024
		.amdhsa_private_segment_fixed_size 0
		.amdhsa_kernarg_size 3472
		.amdhsa_user_sgpr_count 2
		.amdhsa_user_sgpr_dispatch_ptr 0
		.amdhsa_user_sgpr_queue_ptr 0
		.amdhsa_user_sgpr_kernarg_segment_ptr 1
		.amdhsa_user_sgpr_dispatch_id 0
		.amdhsa_user_sgpr_kernarg_preload_length 0
		.amdhsa_user_sgpr_kernarg_preload_offset 0
		.amdhsa_user_sgpr_private_segment_size 0
		.amdhsa_wavefront_size32 1
		.amdhsa_uses_dynamic_stack 0
		.amdhsa_enable_private_segment 0
		.amdhsa_system_sgpr_workgroup_id_x 1
		.amdhsa_system_sgpr_workgroup_id_y 0
		.amdhsa_system_sgpr_workgroup_id_z 0
		.amdhsa_system_sgpr_workgroup_info 0
		.amdhsa_system_vgpr_workitem_id 0
		.amdhsa_next_free_vgpr 9
		.amdhsa_next_free_sgpr 12
		.amdhsa_named_barrier_count 0
		.amdhsa_reserve_vcc 1
		.amdhsa_float_round_mode_32 0
		.amdhsa_float_round_mode_16_64 0
		.amdhsa_float_denorm_mode_32 3
		.amdhsa_float_denorm_mode_16_64 3
		.amdhsa_fp16_overflow 0
		.amdhsa_memory_ordered 1
		.amdhsa_forward_progress 1
		.amdhsa_inst_pref_size 7
		.amdhsa_round_robin_scheduling 0
		.amdhsa_exception_fp_ieee_invalid_op 0
		.amdhsa_exception_fp_denorm_src 0
		.amdhsa_exception_fp_ieee_div_zero 0
		.amdhsa_exception_fp_ieee_overflow 0
		.amdhsa_exception_fp_ieee_underflow 0
		.amdhsa_exception_fp_ieee_inexact 0
		.amdhsa_exception_int_div_zero 0
	.end_amdhsa_kernel
	.section	.text._ZN2at6native13lpmax_cleanupIsEEvPKT_NS0_19TensorListAddressesEi,"axG",@progbits,_ZN2at6native13lpmax_cleanupIsEEvPKT_NS0_19TensorListAddressesEi,comdat
.Lfunc_end9:
	.size	_ZN2at6native13lpmax_cleanupIsEEvPKT_NS0_19TensorListAddressesEi, .Lfunc_end9-_ZN2at6native13lpmax_cleanupIsEEvPKT_NS0_19TensorListAddressesEi
                                        ; -- End function
	.set _ZN2at6native13lpmax_cleanupIsEEvPKT_NS0_19TensorListAddressesEi.num_vgpr, 9
	.set _ZN2at6native13lpmax_cleanupIsEEvPKT_NS0_19TensorListAddressesEi.num_agpr, 0
	.set _ZN2at6native13lpmax_cleanupIsEEvPKT_NS0_19TensorListAddressesEi.numbered_sgpr, 12
	.set _ZN2at6native13lpmax_cleanupIsEEvPKT_NS0_19TensorListAddressesEi.num_named_barrier, 0
	.set _ZN2at6native13lpmax_cleanupIsEEvPKT_NS0_19TensorListAddressesEi.private_seg_size, 0
	.set _ZN2at6native13lpmax_cleanupIsEEvPKT_NS0_19TensorListAddressesEi.uses_vcc, 1
	.set _ZN2at6native13lpmax_cleanupIsEEvPKT_NS0_19TensorListAddressesEi.uses_flat_scratch, 0
	.set _ZN2at6native13lpmax_cleanupIsEEvPKT_NS0_19TensorListAddressesEi.has_dyn_sized_stack, 0
	.set _ZN2at6native13lpmax_cleanupIsEEvPKT_NS0_19TensorListAddressesEi.has_recursion, 0
	.set _ZN2at6native13lpmax_cleanupIsEEvPKT_NS0_19TensorListAddressesEi.has_indirect_call, 0
	.section	.AMDGPU.csdata,"",@progbits
; Kernel info:
; codeLenInByte = 820
; TotalNumSgprs: 14
; NumVgprs: 9
; ScratchSize: 0
; MemoryBound: 0
; FloatMode: 240
; IeeeMode: 1
; LDSByteSize: 1024 bytes/workgroup (compile time only)
; SGPRBlocks: 0
; VGPRBlocks: 0
; NumSGPRsForWavesPerEU: 14
; NumVGPRsForWavesPerEU: 9
; NamedBarCnt: 0
; Occupancy: 16
; WaveLimiterHint : 0
; COMPUTE_PGM_RSRC2:SCRATCH_EN: 0
; COMPUTE_PGM_RSRC2:USER_SGPR: 2
; COMPUTE_PGM_RSRC2:TRAP_HANDLER: 0
; COMPUTE_PGM_RSRC2:TGID_X_EN: 1
; COMPUTE_PGM_RSRC2:TGID_Y_EN: 0
; COMPUTE_PGM_RSRC2:TGID_Z_EN: 0
; COMPUTE_PGM_RSRC2:TIDIG_COMP_CNT: 0
	.section	.text._ZN2at6native12_GLOBAL__N_125multi_tensor_apply_kernelINS1_18TensorListMetadataILi1EEENS0_12LpMaxFunctorIdLi1ELi1ELi0EEEJPdiEEEvT_T0_DpT1_,"axG",@progbits,_ZN2at6native12_GLOBAL__N_125multi_tensor_apply_kernelINS1_18TensorListMetadataILi1EEENS0_12LpMaxFunctorIdLi1ELi1ELi0EEEJPdiEEEvT_T0_DpT1_,comdat
	.globl	_ZN2at6native12_GLOBAL__N_125multi_tensor_apply_kernelINS1_18TensorListMetadataILi1EEENS0_12LpMaxFunctorIdLi1ELi1ELi0EEEJPdiEEEvT_T0_DpT1_ ; -- Begin function _ZN2at6native12_GLOBAL__N_125multi_tensor_apply_kernelINS1_18TensorListMetadataILi1EEENS0_12LpMaxFunctorIdLi1ELi1ELi0EEEJPdiEEEvT_T0_DpT1_
	.p2align	8
	.type	_ZN2at6native12_GLOBAL__N_125multi_tensor_apply_kernelINS1_18TensorListMetadataILi1EEENS0_12LpMaxFunctorIdLi1ELi1ELi0EEEJPdiEEEvT_T0_DpT1_,@function
_ZN2at6native12_GLOBAL__N_125multi_tensor_apply_kernelINS1_18TensorListMetadataILi1EEENS0_12LpMaxFunctorIdLi1ELi1ELi0EEEJPdiEEEvT_T0_DpT1_: ; @_ZN2at6native12_GLOBAL__N_125multi_tensor_apply_kernelINS1_18TensorListMetadataILi1EEENS0_12LpMaxFunctorIdLi1ELi1ELi0EEEJPdiEEEvT_T0_DpT1_
; %bb.0:
	s_bfe_u32 s2, ttmp6, 0x4000c
	s_and_b32 s3, ttmp6, 15
	s_add_co_i32 s2, s2, 1
	s_getreg_b32 s4, hwreg(HW_REG_IB_STS2, 6, 4)
	s_mul_i32 s2, ttmp9, s2
	s_delay_alu instid0(SALU_CYCLE_1)
	s_add_co_i32 s3, s3, s2
	s_cmp_eq_u32 s4, 0
	s_cselect_b32 s2, ttmp9, s3
	s_mov_b32 s3, 0
	v_mov_b32_e32 v1, s2
	s_add_nc_u64 s[4:5], s[0:1], s[2:3]
	s_mul_u64 s[6:7], s[2:3], 3
	s_delay_alu instid0(SALU_CYCLE_1) | instskip(SKIP_4) | instid1(SALU_CYCLE_1)
	s_add_nc_u64 s[4:5], s[4:5], s[6:7]
	global_load_u8 v17, v1, s[0:1] offset:1760
	s_load_b32 s10, s[4:5], 0x820
	s_wait_kmcnt 0x0
	s_ashr_i32 s11, s10, 31
	s_lshl_b64 s[8:9], s[10:11], 19
	s_wait_loadcnt 0x0
	v_readfirstlane_b32 s2, v17
	s_and_b32 s2, s2, 0xff
	s_clause 0x1
	s_load_b64 s[4:5], s[0:1], s2 offset:0x0 scale_offset
	s_load_b64 s[6:7], s[0:1], s2 offset:0x370 scale_offset
	s_wait_kmcnt 0x0
	s_add_nc_u64 s[4:5], s[4:5], s[8:9]
	s_and_b32 s2, s6, 3
	s_and_b64 s[8:9], s[4:5], 31
	s_delay_alu instid0(SALU_CYCLE_1)
	s_or_b64 s[2:3], s[2:3], s[8:9]
	s_lshl_b64 s[8:9], s[10:11], 16
	s_cmp_eq_u64 s[2:3], 0
	s_sub_nc_u64 s[6:7], s[6:7], s[8:9]
	s_cbranch_scc1 .LBB10_12
; %bb.1:
	v_cmp_lt_i64_e64 s2, s[6:7], 1
	s_and_b32 vcc_lo, exec_lo, s2
	s_cbranch_vccnz .LBB10_13
; %bb.2:
	s_load_b32 s2, s[0:1], 0xd4c
	v_min_i64 v[10:11], 0x10000, s[6:7]
	v_dual_mov_b32 v13, 0 :: v_dual_mov_b32 v2, -1
	s_mov_b32 s9, 0
	s_mov_b64 s[12:13], 0
	s_wait_kmcnt 0x0
	s_and_b32 s2, s2, 0xffff
	s_delay_alu instid0(SALU_CYCLE_1) | instskip(SKIP_2) | instid1(VALU_DEP_3)
	v_dual_mov_b32 v3, 0xffefffff :: v_dual_add_nc_u32 v18, s2, v0
	v_mad_u32 v16, s2, 3, v0
	v_lshl_add_u32 v14, s2, 1, v0
	v_dual_mov_b32 v4, v2 :: v_dual_mov_b32 v5, v3
	v_dual_mov_b32 v6, v2 :: v_dual_mov_b32 v7, v3
	;; [unrolled: 1-line block ×3, first 2 shown]
	s_lshl_b32 s8, s2, 2
	s_branch .LBB10_4
.LBB10_3:                               ;   in Loop: Header=BB10_4 Depth=1
	s_or_b32 exec_lo, exec_lo, s3
	s_add_nc_u64 s[12:13], s[12:13], s[8:9]
	s_delay_alu instid0(SALU_CYCLE_1)
	v_cmp_lt_i64_e32 vcc_lo, s[12:13], v[10:11]
	s_cbranch_vccz .LBB10_14
.LBB10_4:                               ; =>This Inner Loop Header: Depth=1
	v_add_nc_u32_e32 v12, s12, v0
	s_delay_alu instid0(VALU_DEP_1) | instskip(SKIP_2) | instid1(SALU_CYCLE_1)
	v_cmp_gt_i64_e32 vcc_lo, s[6:7], v[12:13]
	v_cmp_gt_u32_e64 s2, 0x10000, v12
	s_and_b32 s2, s2, vcc_lo
	s_and_saveexec_b32 s3, s2
	s_cbranch_execz .LBB10_6
; %bb.5:                                ;   in Loop: Header=BB10_4 Depth=1
	v_lshl_add_u64 v[20:21], v[12:13], 3, s[4:5]
	global_load_b64 v[20:21], v[20:21], off
	s_wait_loadcnt 0x0
	v_cmp_u_f64_e32 vcc_lo, v[20:21], v[20:21]
	v_cmp_lt_f64_e64 s2, v[2:3], v[20:21]
	s_or_b32 vcc_lo, vcc_lo, s2
	v_dual_cndmask_b32 v3, v3, v21 :: v_dual_cndmask_b32 v2, v2, v20
.LBB10_6:                               ;   in Loop: Header=BB10_4 Depth=1
	s_or_b32 exec_lo, exec_lo, s3
	v_add_nc_u32_e32 v12, s12, v18
	s_delay_alu instid0(VALU_DEP_1) | instskip(SKIP_2) | instid1(SALU_CYCLE_1)
	v_cmp_gt_i64_e32 vcc_lo, s[6:7], v[12:13]
	v_cmp_gt_u32_e64 s2, 0x10000, v12
	s_and_b32 s2, s2, vcc_lo
	s_and_saveexec_b32 s3, s2
	s_cbranch_execz .LBB10_8
; %bb.7:                                ;   in Loop: Header=BB10_4 Depth=1
	v_lshl_add_u64 v[20:21], v[12:13], 3, s[4:5]
	global_load_b64 v[20:21], v[20:21], off
	s_wait_loadcnt 0x0
	v_cmp_u_f64_e32 vcc_lo, v[20:21], v[20:21]
	v_cmp_lt_f64_e64 s2, v[4:5], v[20:21]
	s_or_b32 vcc_lo, vcc_lo, s2
	v_dual_cndmask_b32 v5, v5, v21 :: v_dual_cndmask_b32 v4, v4, v20
.LBB10_8:                               ;   in Loop: Header=BB10_4 Depth=1
	s_or_b32 exec_lo, exec_lo, s3
	v_add_nc_u32_e32 v12, s12, v14
	s_delay_alu instid0(VALU_DEP_1) | instskip(SKIP_2) | instid1(SALU_CYCLE_1)
	v_cmp_gt_i64_e32 vcc_lo, s[6:7], v[12:13]
	v_cmp_gt_u32_e64 s2, 0x10000, v12
	s_and_b32 s2, s2, vcc_lo
	s_and_saveexec_b32 s3, s2
	s_cbranch_execz .LBB10_10
; %bb.9:                                ;   in Loop: Header=BB10_4 Depth=1
	v_lshl_add_u64 v[20:21], v[12:13], 3, s[4:5]
	global_load_b64 v[20:21], v[20:21], off
	s_wait_loadcnt 0x0
	v_cmp_u_f64_e32 vcc_lo, v[20:21], v[20:21]
	v_cmp_lt_f64_e64 s2, v[6:7], v[20:21]
	s_or_b32 vcc_lo, vcc_lo, s2
	v_dual_cndmask_b32 v7, v7, v21 :: v_dual_cndmask_b32 v6, v6, v20
.LBB10_10:                              ;   in Loop: Header=BB10_4 Depth=1
	s_or_b32 exec_lo, exec_lo, s3
	v_add_nc_u32_e32 v12, s12, v16
	s_delay_alu instid0(VALU_DEP_1) | instskip(SKIP_2) | instid1(SALU_CYCLE_1)
	v_cmp_gt_i64_e32 vcc_lo, s[6:7], v[12:13]
	v_cmp_gt_u32_e64 s2, 0x10000, v12
	s_and_b32 s2, s2, vcc_lo
	s_and_saveexec_b32 s3, s2
	s_cbranch_execz .LBB10_3
; %bb.11:                               ;   in Loop: Header=BB10_4 Depth=1
	v_lshl_add_u64 v[20:21], v[12:13], 3, s[4:5]
	global_load_b64 v[20:21], v[20:21], off
	s_wait_loadcnt 0x0
	v_cmp_u_f64_e32 vcc_lo, v[20:21], v[20:21]
	v_cmp_lt_f64_e64 s2, v[8:9], v[20:21]
	s_or_b32 vcc_lo, vcc_lo, s2
	v_dual_cndmask_b32 v9, v9, v21 :: v_dual_cndmask_b32 v8, v8, v20
	s_branch .LBB10_3
.LBB10_12:
                                        ; implicit-def: $vgpr2_vgpr3_vgpr4_vgpr5_vgpr6_vgpr7_vgpr8_vgpr9
	s_branch .LBB10_15
.LBB10_13:
	v_dual_mov_b32 v2, -1 :: v_dual_mov_b32 v3, 0xffefffff
	s_delay_alu instid0(VALU_DEP_1)
	v_dual_mov_b32 v4, v2 :: v_dual_mov_b32 v5, v3
	v_dual_mov_b32 v6, v2 :: v_dual_mov_b32 v7, v3
	;; [unrolled: 1-line block ×3, first 2 shown]
.LBB10_14:
	s_cbranch_execnz .LBB10_20
.LBB10_15:
	v_min_i64 v[10:11], 0x10000, s[6:7]
	v_dual_mov_b32 v2, -1 :: v_dual_mov_b32 v3, 0xffefffff
	v_dual_mov_b32 v13, 0 :: v_dual_lshlrev_b32 v12, 2, v0
	s_mov_b32 s11, exec_lo
	s_delay_alu instid0(VALU_DEP_2)
	v_dual_mov_b32 v4, v2 :: v_dual_mov_b32 v5, v3
	v_dual_mov_b32 v6, v2 :: v_dual_mov_b32 v7, v3
	;; [unrolled: 1-line block ×3, first 2 shown]
	v_cmpx_lt_i64_e64 v[12:13], v[10:11]
	s_cbranch_execz .LBB10_19
; %bb.16:
	s_load_b32 s2, s[0:1], 0xd4c
	v_dual_mov_b32 v1, v13 :: v_dual_lshlrev_b32 v12, 5, v0
	v_mov_b64_e32 v[2:3], 0xffefffffffffffff
	v_mov_b64_e32 v[4:5], 0xffefffffffffffff
	;; [unrolled: 1-line block ×3, first 2 shown]
	s_delay_alu instid0(VALU_DEP_4) | instskip(SKIP_2) | instid1(SALU_CYCLE_1)
	v_add_nc_u64_e32 v[14:15], s[4:5], v[12:13]
	v_mov_b64_e32 v[8:9], 0xffefffffffffffff
	s_mov_b32 s13, 0
	s_mov_b32 s15, s13
	;; [unrolled: 1-line block ×3, first 2 shown]
	s_delay_alu instid0(VALU_DEP_2) | instskip(SKIP_3) | instid1(SALU_CYCLE_1)
	v_add_nc_u64_e32 v[12:13], 16, v[14:15]
	v_mov_b64_e32 v[14:15], v[0:1]
	s_wait_kmcnt 0x0
	s_and_b32 s12, s2, 0xffff
	s_lshl_b32 s14, s12, 5
.LBB10_17:                              ; =>This Inner Loop Header: Depth=1
	s_clause 0x1
	global_load_b128 v[18:21], v[12:13], off offset:-16
	global_load_b128 v[22:25], v[12:13], off
	v_add_nc_u64_e32 v[14:15], s[12:13], v[14:15]
	s_wait_xcnt 0x0
	v_add_nc_u64_e32 v[12:13], s[14:15], v[12:13]
	s_delay_alu instid0(VALU_DEP_2) | instskip(NEXT) | instid1(VALU_DEP_1)
	v_lshlrev_b64_e32 v[26:27], 2, v[14:15]
	v_cmp_ge_i64_e64 s9, v[26:27], v[10:11]
	s_wait_loadcnt 0x1
	v_cmp_u_f64_e32 vcc_lo, v[18:19], v[18:19]
	v_cmp_lt_f64_e64 s2, v[2:3], v[18:19]
	v_cmp_u_f64_e64 s3, v[20:21], v[20:21]
	v_cmp_lt_f64_e64 s4, v[4:5], v[20:21]
	s_wait_loadcnt 0x0
	v_cmp_u_f64_e64 s5, v[22:23], v[22:23]
	v_cmp_lt_f64_e64 s6, v[6:7], v[22:23]
	v_cmp_u_f64_e64 s7, v[24:25], v[24:25]
	v_cmp_lt_f64_e64 s8, v[8:9], v[24:25]
	s_or_b32 vcc_lo, vcc_lo, s2
	s_or_b32 s2, s3, s4
	s_delay_alu instid0(SALU_CYCLE_1) | instskip(SKIP_2) | instid1(SALU_CYCLE_1)
	v_dual_cndmask_b32 v3, v3, v19, vcc_lo :: v_dual_cndmask_b32 v5, v5, v21, s2
	s_or_b32 s3, s5, s6
	s_or_b32 s4, s7, s8
	v_dual_cndmask_b32 v7, v7, v23, s3 :: v_dual_cndmask_b32 v9, v9, v25, s4
	v_dual_cndmask_b32 v2, v2, v18, vcc_lo :: v_dual_cndmask_b32 v4, v4, v20, s2
	v_dual_cndmask_b32 v6, v6, v22, s3 :: v_dual_cndmask_b32 v8, v8, v24, s4
	s_or_b32 s16, s9, s16
	s_delay_alu instid0(SALU_CYCLE_1)
	s_and_not1_b32 exec_lo, exec_lo, s16
	s_cbranch_execnz .LBB10_17
; %bb.18:
	s_or_b32 exec_lo, exec_lo, s16
.LBB10_19:
	s_delay_alu instid0(SALU_CYCLE_1)
	s_or_b32 exec_lo, exec_lo, s11
.LBB10_20:
	s_mov_b64 s[2:3], 0xffefffffffffffff
	v_cmp_u_f64_e32 vcc_lo, v[2:3], v[2:3]
	v_cmp_lt_f64_e64 s2, s[2:3], v[2:3]
	v_mbcnt_lo_u32_b32 v10, -1, 0
	s_barrier_signal -1
	s_barrier_wait -1
	s_delay_alu instid0(VALU_DEP_1)
	v_lshl_or_b32 v1, v10, 2, 64
	v_cmp_gt_u32_e64 s3, 24, v10
	s_or_b32 vcc_lo, vcc_lo, s2
	v_cndmask_b32_e32 v3, 0xffefffff, v3, vcc_lo
	v_cndmask_b32_e32 v2, -1, v2, vcc_lo
	v_cmp_u_f64_e32 vcc_lo, v[4:5], v[4:5]
	s_delay_alu instid0(VALU_DEP_2) | instskip(SKIP_3) | instid1(VALU_DEP_2)
	v_cmp_lt_f64_e64 s2, v[2:3], v[4:5]
	s_or_b32 vcc_lo, vcc_lo, s2
	v_dual_cndmask_b32 v3, v3, v5 :: v_dual_cndmask_b32 v2, v2, v4
	v_cmp_u_f64_e32 vcc_lo, v[6:7], v[6:7]
	v_cmp_lt_f64_e64 s2, v[2:3], v[6:7]
	s_or_b32 vcc_lo, vcc_lo, s2
	v_dual_cndmask_b32 v3, v3, v7 :: v_dual_cndmask_b32 v2, v2, v6
	v_cmp_u_f64_e32 vcc_lo, v[8:9], v[8:9]
	v_cndmask_b32_e64 v6, 0, 8, s3
	v_cmp_gt_u32_e64 s3, 28, v10
	s_delay_alu instid0(VALU_DEP_4) | instskip(NEXT) | instid1(VALU_DEP_3)
	v_cmp_lt_f64_e64 s2, v[2:3], v[8:9]
	v_add_lshl_u32 v6, v6, v10, 2
	s_delay_alu instid0(VALU_DEP_3) | instskip(SKIP_1) | instid1(VALU_DEP_2)
	v_cndmask_b32_e64 v7, 0, 4, s3
	v_cmp_gt_u32_e64 s3, 30, v10
	v_add_lshl_u32 v7, v7, v10, 2
	s_or_b32 vcc_lo, vcc_lo, s2
	v_cndmask_b32_e32 v3, v3, v9, vcc_lo
	ds_bpermute_b32 v5, v1, v3
	v_cndmask_b32_e32 v2, v2, v8, vcc_lo
	v_cndmask_b32_e64 v8, 0, 2, s3
	v_cmp_ne_u32_e64 s3, 31, v10
	ds_bpermute_b32 v4, v1, v2
	v_add_lshl_u32 v8, v8, v10, 2
	v_add_co_ci_u32_e64 v9, null, 0, v10, s3
	v_and_b32_e32 v10, 31, v0
	s_mov_b32 s3, exec_lo
	s_delay_alu instid0(VALU_DEP_2)
	v_lshlrev_b32_e32 v9, 2, v9
	s_wait_dscnt 0x0
	v_cmp_u_f64_e32 vcc_lo, v[4:5], v[4:5]
	v_cmp_lt_f64_e64 s2, v[2:3], v[4:5]
	s_or_b32 vcc_lo, vcc_lo, s2
	v_cndmask_b32_e32 v3, v3, v5, vcc_lo
	ds_bpermute_b32 v5, v6, v3
	v_cndmask_b32_e32 v2, v2, v4, vcc_lo
	ds_bpermute_b32 v4, v6, v2
	s_wait_dscnt 0x0
	v_cmp_u_f64_e32 vcc_lo, v[4:5], v[4:5]
	v_cmp_lt_f64_e64 s2, v[2:3], v[4:5]
	s_or_b32 vcc_lo, vcc_lo, s2
	v_cndmask_b32_e32 v3, v3, v5, vcc_lo
	ds_bpermute_b32 v5, v7, v3
	v_cndmask_b32_e32 v2, v2, v4, vcc_lo
	ds_bpermute_b32 v4, v7, v2
	s_wait_dscnt 0x0
	v_cmp_u_f64_e32 vcc_lo, v[4:5], v[4:5]
	v_cmp_lt_f64_e64 s2, v[2:3], v[4:5]
	s_or_b32 vcc_lo, vcc_lo, s2
	v_dual_cndmask_b32 v3, v3, v5 :: v_dual_cndmask_b32 v2, v2, v4
	ds_bpermute_b32 v5, v8, v3
	ds_bpermute_b32 v4, v8, v2
	s_wait_dscnt 0x0
	v_cmp_u_f64_e32 vcc_lo, v[4:5], v[4:5]
	v_cmp_lt_f64_e64 s2, v[2:3], v[4:5]
	s_or_b32 vcc_lo, vcc_lo, s2
	v_dual_cndmask_b32 v3, v3, v5 :: v_dual_cndmask_b32 v2, v2, v4
	ds_bpermute_b32 v5, v9, v3
	ds_bpermute_b32 v4, v9, v2
	v_cmpx_eq_u32_e32 0, v10
	s_cbranch_execz .LBB10_22
; %bb.21:
	s_wait_dscnt 0x0
	v_cmp_u_f64_e32 vcc_lo, v[4:5], v[4:5]
	v_cmp_lt_f64_e64 s2, v[2:3], v[4:5]
	s_or_b32 vcc_lo, vcc_lo, s2
	s_delay_alu instid0(SALU_CYCLE_1)
	v_dual_lshrrev_b32 v11, 2, v0 :: v_dual_cndmask_b32 v3, v3, v5, vcc_lo
	v_cndmask_b32_e32 v2, v2, v4, vcc_lo
	ds_store_b64 v11, v[2:3]
.LBB10_22:
	s_or_b32 exec_lo, exec_lo, s3
	s_wait_dscnt 0x0
	s_barrier_signal -1
	s_barrier_wait -1
	s_load_b32 s2, s[0:1], 0xd4c
	v_mov_b64_e32 v[2:3], 0xffefffffffffffff
	s_wait_kmcnt 0x0
	s_bfe_u32 s2, s2, 0xb0005
	s_delay_alu instid0(SALU_CYCLE_1)
	v_cmp_gt_u32_e32 vcc_lo, s2, v0
	s_and_saveexec_b32 s2, vcc_lo
; %bb.23:
	v_lshlrev_b32_e32 v2, 3, v10
	ds_load_b64 v[2:3], v2
; %bb.24:
	s_or_b32 exec_lo, exec_lo, s2
	s_delay_alu instid0(SALU_CYCLE_1)
	s_mov_b32 s3, exec_lo
	v_cmpx_gt_u32_e32 32, v0
	s_cbranch_execz .LBB10_26
; %bb.25:
	s_wait_dscnt 0x0
	ds_bpermute_b32 v4, v1, v2
	ds_bpermute_b32 v5, v1, v3
	s_wait_dscnt 0x0
	v_cmp_u_f64_e32 vcc_lo, v[4:5], v[4:5]
	v_cmp_lt_f64_e64 s2, v[2:3], v[4:5]
	s_or_b32 vcc_lo, vcc_lo, s2
	v_dual_cndmask_b32 v3, v3, v5 :: v_dual_cndmask_b32 v2, v2, v4
	ds_bpermute_b32 v5, v6, v3
	ds_bpermute_b32 v4, v6, v2
	s_wait_dscnt 0x0
	v_cmp_u_f64_e32 vcc_lo, v[4:5], v[4:5]
	v_cmp_lt_f64_e64 s2, v[2:3], v[4:5]
	s_or_b32 vcc_lo, vcc_lo, s2
	v_dual_cndmask_b32 v3, v3, v5 :: v_dual_cndmask_b32 v2, v2, v4
	;; [unrolled: 7-line block ×5, first 2 shown]
.LBB10_26:
	s_or_b32 exec_lo, exec_lo, s3
	s_delay_alu instid0(SALU_CYCLE_1)
	s_mov_b32 s2, exec_lo
	v_cmpx_eq_u32_e32 0, v0
	s_cbranch_execz .LBB10_28
; %bb.27:
	s_clause 0x1
	s_load_b32 s2, s[0:1], 0xd20
	s_load_b96 s[4:6], s[0:1], 0xd30
	v_and_b32_e32 v0, 0xff, v17
	s_wait_kmcnt 0x0
	s_delay_alu instid0(VALU_DEP_1) | instskip(NEXT) | instid1(VALU_DEP_1)
	v_add_nc_u32_e32 v0, s2, v0
	v_mul_lo_u32 v0, v0, s6
	s_delay_alu instid0(VALU_DEP_1)
	v_add_nc_u32_e32 v0, s10, v0
	s_wait_dscnt 0x0
	global_store_b64 v0, v[2:3], s[4:5] scale_offset
.LBB10_28:
	s_endpgm
	.section	.rodata,"a",@progbits
	.p2align	6, 0x0
	.amdhsa_kernel _ZN2at6native12_GLOBAL__N_125multi_tensor_apply_kernelINS1_18TensorListMetadataILi1EEENS0_12LpMaxFunctorIdLi1ELi1ELi0EEEJPdiEEEvT_T0_DpT1_
		.amdhsa_group_segment_fixed_size 4096
		.amdhsa_private_segment_fixed_size 0
		.amdhsa_kernarg_size 3648
		.amdhsa_user_sgpr_count 2
		.amdhsa_user_sgpr_dispatch_ptr 0
		.amdhsa_user_sgpr_queue_ptr 0
		.amdhsa_user_sgpr_kernarg_segment_ptr 1
		.amdhsa_user_sgpr_dispatch_id 0
		.amdhsa_user_sgpr_kernarg_preload_length 0
		.amdhsa_user_sgpr_kernarg_preload_offset 0
		.amdhsa_user_sgpr_private_segment_size 0
		.amdhsa_wavefront_size32 1
		.amdhsa_uses_dynamic_stack 0
		.amdhsa_enable_private_segment 0
		.amdhsa_system_sgpr_workgroup_id_x 1
		.amdhsa_system_sgpr_workgroup_id_y 0
		.amdhsa_system_sgpr_workgroup_id_z 0
		.amdhsa_system_sgpr_workgroup_info 0
		.amdhsa_system_vgpr_workitem_id 0
		.amdhsa_next_free_vgpr 28
		.amdhsa_next_free_sgpr 17
		.amdhsa_named_barrier_count 0
		.amdhsa_reserve_vcc 1
		.amdhsa_float_round_mode_32 0
		.amdhsa_float_round_mode_16_64 0
		.amdhsa_float_denorm_mode_32 3
		.amdhsa_float_denorm_mode_16_64 3
		.amdhsa_fp16_overflow 0
		.amdhsa_memory_ordered 1
		.amdhsa_forward_progress 1
		.amdhsa_inst_pref_size 16
		.amdhsa_round_robin_scheduling 0
		.amdhsa_exception_fp_ieee_invalid_op 0
		.amdhsa_exception_fp_denorm_src 0
		.amdhsa_exception_fp_ieee_div_zero 0
		.amdhsa_exception_fp_ieee_overflow 0
		.amdhsa_exception_fp_ieee_underflow 0
		.amdhsa_exception_fp_ieee_inexact 0
		.amdhsa_exception_int_div_zero 0
	.end_amdhsa_kernel
	.section	.text._ZN2at6native12_GLOBAL__N_125multi_tensor_apply_kernelINS1_18TensorListMetadataILi1EEENS0_12LpMaxFunctorIdLi1ELi1ELi0EEEJPdiEEEvT_T0_DpT1_,"axG",@progbits,_ZN2at6native12_GLOBAL__N_125multi_tensor_apply_kernelINS1_18TensorListMetadataILi1EEENS0_12LpMaxFunctorIdLi1ELi1ELi0EEEJPdiEEEvT_T0_DpT1_,comdat
.Lfunc_end10:
	.size	_ZN2at6native12_GLOBAL__N_125multi_tensor_apply_kernelINS1_18TensorListMetadataILi1EEENS0_12LpMaxFunctorIdLi1ELi1ELi0EEEJPdiEEEvT_T0_DpT1_, .Lfunc_end10-_ZN2at6native12_GLOBAL__N_125multi_tensor_apply_kernelINS1_18TensorListMetadataILi1EEENS0_12LpMaxFunctorIdLi1ELi1ELi0EEEJPdiEEEvT_T0_DpT1_
                                        ; -- End function
	.set _ZN2at6native12_GLOBAL__N_125multi_tensor_apply_kernelINS1_18TensorListMetadataILi1EEENS0_12LpMaxFunctorIdLi1ELi1ELi0EEEJPdiEEEvT_T0_DpT1_.num_vgpr, 28
	.set _ZN2at6native12_GLOBAL__N_125multi_tensor_apply_kernelINS1_18TensorListMetadataILi1EEENS0_12LpMaxFunctorIdLi1ELi1ELi0EEEJPdiEEEvT_T0_DpT1_.num_agpr, 0
	.set _ZN2at6native12_GLOBAL__N_125multi_tensor_apply_kernelINS1_18TensorListMetadataILi1EEENS0_12LpMaxFunctorIdLi1ELi1ELi0EEEJPdiEEEvT_T0_DpT1_.numbered_sgpr, 17
	.set _ZN2at6native12_GLOBAL__N_125multi_tensor_apply_kernelINS1_18TensorListMetadataILi1EEENS0_12LpMaxFunctorIdLi1ELi1ELi0EEEJPdiEEEvT_T0_DpT1_.num_named_barrier, 0
	.set _ZN2at6native12_GLOBAL__N_125multi_tensor_apply_kernelINS1_18TensorListMetadataILi1EEENS0_12LpMaxFunctorIdLi1ELi1ELi0EEEJPdiEEEvT_T0_DpT1_.private_seg_size, 0
	.set _ZN2at6native12_GLOBAL__N_125multi_tensor_apply_kernelINS1_18TensorListMetadataILi1EEENS0_12LpMaxFunctorIdLi1ELi1ELi0EEEJPdiEEEvT_T0_DpT1_.uses_vcc, 1
	.set _ZN2at6native12_GLOBAL__N_125multi_tensor_apply_kernelINS1_18TensorListMetadataILi1EEENS0_12LpMaxFunctorIdLi1ELi1ELi0EEEJPdiEEEvT_T0_DpT1_.uses_flat_scratch, 0
	.set _ZN2at6native12_GLOBAL__N_125multi_tensor_apply_kernelINS1_18TensorListMetadataILi1EEENS0_12LpMaxFunctorIdLi1ELi1ELi0EEEJPdiEEEvT_T0_DpT1_.has_dyn_sized_stack, 0
	.set _ZN2at6native12_GLOBAL__N_125multi_tensor_apply_kernelINS1_18TensorListMetadataILi1EEENS0_12LpMaxFunctorIdLi1ELi1ELi0EEEJPdiEEEvT_T0_DpT1_.has_recursion, 0
	.set _ZN2at6native12_GLOBAL__N_125multi_tensor_apply_kernelINS1_18TensorListMetadataILi1EEENS0_12LpMaxFunctorIdLi1ELi1ELi0EEEJPdiEEEvT_T0_DpT1_.has_indirect_call, 0
	.section	.AMDGPU.csdata,"",@progbits
; Kernel info:
; codeLenInByte = 2044
; TotalNumSgprs: 19
; NumVgprs: 28
; ScratchSize: 0
; MemoryBound: 0
; FloatMode: 240
; IeeeMode: 1
; LDSByteSize: 4096 bytes/workgroup (compile time only)
; SGPRBlocks: 0
; VGPRBlocks: 1
; NumSGPRsForWavesPerEU: 19
; NumVGPRsForWavesPerEU: 28
; NamedBarCnt: 0
; Occupancy: 16
; WaveLimiterHint : 0
; COMPUTE_PGM_RSRC2:SCRATCH_EN: 0
; COMPUTE_PGM_RSRC2:USER_SGPR: 2
; COMPUTE_PGM_RSRC2:TRAP_HANDLER: 0
; COMPUTE_PGM_RSRC2:TGID_X_EN: 1
; COMPUTE_PGM_RSRC2:TGID_Y_EN: 0
; COMPUTE_PGM_RSRC2:TGID_Z_EN: 0
; COMPUTE_PGM_RSRC2:TIDIG_COMP_CNT: 0
	.section	.text._ZN2at6native13lpmax_cleanupIdEEvPKT_NS0_19TensorListAddressesEi,"axG",@progbits,_ZN2at6native13lpmax_cleanupIdEEvPKT_NS0_19TensorListAddressesEi,comdat
	.protected	_ZN2at6native13lpmax_cleanupIdEEvPKT_NS0_19TensorListAddressesEi ; -- Begin function _ZN2at6native13lpmax_cleanupIdEEvPKT_NS0_19TensorListAddressesEi
	.globl	_ZN2at6native13lpmax_cleanupIdEEvPKT_NS0_19TensorListAddressesEi
	.p2align	8
	.type	_ZN2at6native13lpmax_cleanupIdEEvPKT_NS0_19TensorListAddressesEi,@function
_ZN2at6native13lpmax_cleanupIdEEvPKT_NS0_19TensorListAddressesEi: ; @_ZN2at6native13lpmax_cleanupIdEEvPKT_NS0_19TensorListAddressesEi
; %bb.0:
	s_load_b32 s4, s[0:1], 0xc88
	s_bfe_u32 s2, ttmp6, 0x4000c
	s_and_b32 s3, ttmp6, 15
	s_add_co_i32 s2, s2, 1
	v_mov_b64_e32 v[2:3], 0xffefffffffffffff
	s_mul_i32 s2, ttmp9, s2
	s_mov_b32 s7, 0
	s_add_co_i32 s3, s3, s2
	s_getreg_b32 s2, hwreg(HW_REG_IB_STS2, 6, 4)
	s_mov_b32 s11, exec_lo
	s_cmp_eq_u32 s2, 0
	s_cselect_b32 s10, ttmp9, s3
	s_wait_kmcnt 0x0
	v_cmpx_gt_u32_e64 s4, v0
	s_cbranch_execz .LBB11_4
; %bb.1:
	s_clause 0x1
	s_load_b64 s[2:3], s[0:1], 0x0
	s_load_b32 s6, s[0:1], 0xc9c
	v_dual_mov_b32 v1, 0 :: v_dual_lshlrev_b32 v2, 3, v0
	s_mul_i32 s8, s4, s10
	s_mov_b32 s9, s7
	s_ashr_i32 s5, s4, 31
	s_delay_alu instid0(VALU_DEP_1)
	v_mov_b32_e32 v3, v1
	s_lshl_b64 s[8:9], s[8:9], 3
	v_mov_b64_e32 v[6:7], v[0:1]
	s_mov_b32 s12, s7
	s_wait_kmcnt 0x0
	s_add_nc_u64 s[2:3], s[2:3], s[8:9]
	s_and_b32 s6, s6, 0xffff
	v_add_nc_u64_e32 v[4:5], s[2:3], v[2:3]
	v_mov_b64_e32 v[2:3], 0xffefffffffffffff
	s_lshl_b32 s8, s6, 3
	s_mov_b32 s9, s7
.LBB11_2:                               ; =>This Inner Loop Header: Depth=1
	global_load_b64 v[8:9], v[4:5], off
	v_add_nc_u64_e32 v[6:7], s[6:7], v[6:7]
	s_wait_xcnt 0x0
	v_add_nc_u64_e32 v[4:5], s[8:9], v[4:5]
	s_delay_alu instid0(VALU_DEP_2)
	v_cmp_le_u64_e64 s3, s[4:5], v[6:7]
	s_wait_loadcnt 0x0
	v_cmp_u_f64_e32 vcc_lo, v[8:9], v[8:9]
	v_cmp_lt_f64_e64 s2, v[2:3], v[8:9]
	s_or_b32 vcc_lo, vcc_lo, s2
	s_or_b32 s12, s3, s12
	v_dual_cndmask_b32 v3, v3, v9 :: v_dual_cndmask_b32 v2, v2, v8
	s_and_not1_b32 exec_lo, exec_lo, s12
	s_cbranch_execnz .LBB11_2
; %bb.3:
	s_or_b32 exec_lo, exec_lo, s12
.LBB11_4:
	s_delay_alu instid0(SALU_CYCLE_1) | instskip(SKIP_3) | instid1(VALU_DEP_1)
	s_or_b32 exec_lo, exec_lo, s11
	v_mbcnt_lo_u32_b32 v9, -1, 0
	s_barrier_signal -1
	s_barrier_wait -1
	v_lshl_or_b32 v1, v9, 2, 64
	v_cmp_gt_u32_e64 s3, 24, v9
	v_and_b32_e32 v10, 31, v0
	ds_bpermute_b32 v4, v1, v2
	ds_bpermute_b32 v5, v1, v3
	v_cndmask_b32_e64 v6, 0, 8, s3
	v_cmp_gt_u32_e64 s3, 28, v9
	s_delay_alu instid0(VALU_DEP_2) | instskip(NEXT) | instid1(VALU_DEP_2)
	v_add_lshl_u32 v6, v6, v9, 2
	v_cndmask_b32_e64 v7, 0, 4, s3
	v_cmp_gt_u32_e64 s3, 30, v9
	s_delay_alu instid0(VALU_DEP_2) | instskip(NEXT) | instid1(VALU_DEP_2)
	v_add_lshl_u32 v7, v7, v9, 2
	v_cndmask_b32_e64 v8, 0, 2, s3
	v_cmp_ne_u32_e64 s3, 31, v9
	s_delay_alu instid0(VALU_DEP_2) | instskip(NEXT) | instid1(VALU_DEP_2)
	v_add_lshl_u32 v8, v8, v9, 2
	v_add_co_ci_u32_e64 v9, null, 0, v9, s3
	s_wait_dscnt 0x0
	v_cmp_u_f64_e32 vcc_lo, v[4:5], v[4:5]
	v_cmp_lt_f64_e64 s2, v[2:3], v[4:5]
	s_mov_b32 s3, exec_lo
	s_or_b32 vcc_lo, vcc_lo, s2
	v_dual_cndmask_b32 v3, v3, v5 :: v_dual_cndmask_b32 v2, v2, v4
	ds_bpermute_b32 v5, v6, v3
	ds_bpermute_b32 v4, v6, v2
	s_wait_dscnt 0x0
	v_cmp_u_f64_e32 vcc_lo, v[4:5], v[4:5]
	v_cmp_lt_f64_e64 s2, v[2:3], v[4:5]
	s_or_b32 vcc_lo, vcc_lo, s2
	v_dual_cndmask_b32 v3, v3, v5 :: v_dual_cndmask_b32 v2, v2, v4
	ds_bpermute_b32 v5, v7, v3
	ds_bpermute_b32 v4, v7, v2
	s_wait_dscnt 0x0
	v_cmp_u_f64_e32 vcc_lo, v[4:5], v[4:5]
	v_cmp_lt_f64_e64 s2, v[2:3], v[4:5]
	;; [unrolled: 7-line block ×3, first 2 shown]
	s_or_b32 vcc_lo, vcc_lo, s2
	v_dual_cndmask_b32 v2, v2, v4 :: v_dual_lshlrev_b32 v9, 2, v9
	v_cndmask_b32_e32 v3, v3, v5, vcc_lo
	ds_bpermute_b32 v4, v9, v2
	ds_bpermute_b32 v5, v9, v3
	v_cmpx_eq_u32_e32 0, v10
	s_cbranch_execz .LBB11_6
; %bb.5:
	s_wait_dscnt 0x0
	v_cmp_u_f64_e32 vcc_lo, v[4:5], v[4:5]
	v_cmp_lt_f64_e64 s2, v[2:3], v[4:5]
	s_or_b32 vcc_lo, vcc_lo, s2
	s_delay_alu instid0(SALU_CYCLE_1)
	v_dual_lshrrev_b32 v11, 2, v0 :: v_dual_cndmask_b32 v3, v3, v5, vcc_lo
	v_cndmask_b32_e32 v2, v2, v4, vcc_lo
	ds_store_b64 v11, v[2:3]
.LBB11_6:
	s_or_b32 exec_lo, exec_lo, s3
	s_wait_dscnt 0x0
	s_barrier_signal -1
	s_barrier_wait -1
	s_load_b32 s2, s[0:1], 0xc9c
	v_mov_b64_e32 v[2:3], 0xffefffffffffffff
	s_wait_kmcnt 0x0
	s_bfe_u32 s2, s2, 0xb0005
	s_delay_alu instid0(SALU_CYCLE_1)
	v_cmp_gt_u32_e32 vcc_lo, s2, v0
	s_and_saveexec_b32 s2, vcc_lo
; %bb.7:
	v_lshlrev_b32_e32 v2, 3, v10
	ds_load_b64 v[2:3], v2
; %bb.8:
	s_or_b32 exec_lo, exec_lo, s2
	s_delay_alu instid0(SALU_CYCLE_1)
	s_mov_b32 s3, exec_lo
	v_cmpx_gt_u32_e32 32, v0
	s_cbranch_execz .LBB11_10
; %bb.9:
	s_wait_dscnt 0x0
	ds_bpermute_b32 v4, v1, v2
	ds_bpermute_b32 v5, v1, v3
	s_wait_dscnt 0x0
	v_cmp_u_f64_e32 vcc_lo, v[4:5], v[4:5]
	v_cmp_lt_f64_e64 s2, v[2:3], v[4:5]
	s_or_b32 vcc_lo, vcc_lo, s2
	v_dual_cndmask_b32 v3, v3, v5 :: v_dual_cndmask_b32 v2, v2, v4
	ds_bpermute_b32 v5, v6, v3
	ds_bpermute_b32 v4, v6, v2
	s_wait_dscnt 0x0
	v_cmp_u_f64_e32 vcc_lo, v[4:5], v[4:5]
	v_cmp_lt_f64_e64 s2, v[2:3], v[4:5]
	s_or_b32 vcc_lo, vcc_lo, s2
	v_dual_cndmask_b32 v3, v3, v5 :: v_dual_cndmask_b32 v2, v2, v4
	;; [unrolled: 7-line block ×5, first 2 shown]
.LBB11_10:
	s_or_b32 exec_lo, exec_lo, s3
	s_delay_alu instid0(SALU_CYCLE_1)
	s_mov_b32 s2, exec_lo
	v_cmpx_eq_u32_e32 0, v0
	s_cbranch_execz .LBB11_12
; %bb.11:
	s_load_b64 s[0:1], s[0:1], s10 offset:0x8 scale_offset
	v_mov_b32_e32 v0, 0
	s_wait_dscnt 0x0
	s_wait_kmcnt 0x0
	global_store_b64 v0, v[2:3], s[0:1]
.LBB11_12:
	s_endpgm
	.section	.rodata,"a",@progbits
	.p2align	6, 0x0
	.amdhsa_kernel _ZN2at6native13lpmax_cleanupIdEEvPKT_NS0_19TensorListAddressesEi
		.amdhsa_group_segment_fixed_size 4096
		.amdhsa_private_segment_fixed_size 0
		.amdhsa_kernarg_size 3472
		.amdhsa_user_sgpr_count 2
		.amdhsa_user_sgpr_dispatch_ptr 0
		.amdhsa_user_sgpr_queue_ptr 0
		.amdhsa_user_sgpr_kernarg_segment_ptr 1
		.amdhsa_user_sgpr_dispatch_id 0
		.amdhsa_user_sgpr_kernarg_preload_length 0
		.amdhsa_user_sgpr_kernarg_preload_offset 0
		.amdhsa_user_sgpr_private_segment_size 0
		.amdhsa_wavefront_size32 1
		.amdhsa_uses_dynamic_stack 0
		.amdhsa_enable_private_segment 0
		.amdhsa_system_sgpr_workgroup_id_x 1
		.amdhsa_system_sgpr_workgroup_id_y 0
		.amdhsa_system_sgpr_workgroup_id_z 0
		.amdhsa_system_sgpr_workgroup_info 0
		.amdhsa_system_vgpr_workitem_id 0
		.amdhsa_next_free_vgpr 12
		.amdhsa_next_free_sgpr 13
		.amdhsa_named_barrier_count 0
		.amdhsa_reserve_vcc 1
		.amdhsa_float_round_mode_32 0
		.amdhsa_float_round_mode_16_64 0
		.amdhsa_float_denorm_mode_32 3
		.amdhsa_float_denorm_mode_16_64 3
		.amdhsa_fp16_overflow 0
		.amdhsa_memory_ordered 1
		.amdhsa_forward_progress 1
		.amdhsa_inst_pref_size 8
		.amdhsa_round_robin_scheduling 0
		.amdhsa_exception_fp_ieee_invalid_op 0
		.amdhsa_exception_fp_denorm_src 0
		.amdhsa_exception_fp_ieee_div_zero 0
		.amdhsa_exception_fp_ieee_overflow 0
		.amdhsa_exception_fp_ieee_underflow 0
		.amdhsa_exception_fp_ieee_inexact 0
		.amdhsa_exception_int_div_zero 0
	.end_amdhsa_kernel
	.section	.text._ZN2at6native13lpmax_cleanupIdEEvPKT_NS0_19TensorListAddressesEi,"axG",@progbits,_ZN2at6native13lpmax_cleanupIdEEvPKT_NS0_19TensorListAddressesEi,comdat
.Lfunc_end11:
	.size	_ZN2at6native13lpmax_cleanupIdEEvPKT_NS0_19TensorListAddressesEi, .Lfunc_end11-_ZN2at6native13lpmax_cleanupIdEEvPKT_NS0_19TensorListAddressesEi
                                        ; -- End function
	.set _ZN2at6native13lpmax_cleanupIdEEvPKT_NS0_19TensorListAddressesEi.num_vgpr, 12
	.set _ZN2at6native13lpmax_cleanupIdEEvPKT_NS0_19TensorListAddressesEi.num_agpr, 0
	.set _ZN2at6native13lpmax_cleanupIdEEvPKT_NS0_19TensorListAddressesEi.numbered_sgpr, 13
	.set _ZN2at6native13lpmax_cleanupIdEEvPKT_NS0_19TensorListAddressesEi.num_named_barrier, 0
	.set _ZN2at6native13lpmax_cleanupIdEEvPKT_NS0_19TensorListAddressesEi.private_seg_size, 0
	.set _ZN2at6native13lpmax_cleanupIdEEvPKT_NS0_19TensorListAddressesEi.uses_vcc, 1
	.set _ZN2at6native13lpmax_cleanupIdEEvPKT_NS0_19TensorListAddressesEi.uses_flat_scratch, 0
	.set _ZN2at6native13lpmax_cleanupIdEEvPKT_NS0_19TensorListAddressesEi.has_dyn_sized_stack, 0
	.set _ZN2at6native13lpmax_cleanupIdEEvPKT_NS0_19TensorListAddressesEi.has_recursion, 0
	.set _ZN2at6native13lpmax_cleanupIdEEvPKT_NS0_19TensorListAddressesEi.has_indirect_call, 0
	.section	.AMDGPU.csdata,"",@progbits
; Kernel info:
; codeLenInByte = 1024
; TotalNumSgprs: 15
; NumVgprs: 12
; ScratchSize: 0
; MemoryBound: 0
; FloatMode: 240
; IeeeMode: 1
; LDSByteSize: 4096 bytes/workgroup (compile time only)
; SGPRBlocks: 0
; VGPRBlocks: 0
; NumSGPRsForWavesPerEU: 15
; NumVGPRsForWavesPerEU: 12
; NamedBarCnt: 0
; Occupancy: 16
; WaveLimiterHint : 0
; COMPUTE_PGM_RSRC2:SCRATCH_EN: 0
; COMPUTE_PGM_RSRC2:USER_SGPR: 2
; COMPUTE_PGM_RSRC2:TRAP_HANDLER: 0
; COMPUTE_PGM_RSRC2:TGID_X_EN: 1
; COMPUTE_PGM_RSRC2:TGID_Y_EN: 0
; COMPUTE_PGM_RSRC2:TGID_Z_EN: 0
; COMPUTE_PGM_RSRC2:TIDIG_COMP_CNT: 0
	.section	.text._ZN2at6native12_GLOBAL__N_125multi_tensor_apply_kernelINS1_18TensorListMetadataILi1EEENS0_12LpMaxFunctorIfLi1ELi1ELi0EEEJPfiEEEvT_T0_DpT1_,"axG",@progbits,_ZN2at6native12_GLOBAL__N_125multi_tensor_apply_kernelINS1_18TensorListMetadataILi1EEENS0_12LpMaxFunctorIfLi1ELi1ELi0EEEJPfiEEEvT_T0_DpT1_,comdat
	.globl	_ZN2at6native12_GLOBAL__N_125multi_tensor_apply_kernelINS1_18TensorListMetadataILi1EEENS0_12LpMaxFunctorIfLi1ELi1ELi0EEEJPfiEEEvT_T0_DpT1_ ; -- Begin function _ZN2at6native12_GLOBAL__N_125multi_tensor_apply_kernelINS1_18TensorListMetadataILi1EEENS0_12LpMaxFunctorIfLi1ELi1ELi0EEEJPfiEEEvT_T0_DpT1_
	.p2align	8
	.type	_ZN2at6native12_GLOBAL__N_125multi_tensor_apply_kernelINS1_18TensorListMetadataILi1EEENS0_12LpMaxFunctorIfLi1ELi1ELi0EEEJPfiEEEvT_T0_DpT1_,@function
_ZN2at6native12_GLOBAL__N_125multi_tensor_apply_kernelINS1_18TensorListMetadataILi1EEENS0_12LpMaxFunctorIfLi1ELi1ELi0EEEJPfiEEEvT_T0_DpT1_: ; @_ZN2at6native12_GLOBAL__N_125multi_tensor_apply_kernelINS1_18TensorListMetadataILi1EEENS0_12LpMaxFunctorIfLi1ELi1ELi0EEEJPfiEEEvT_T0_DpT1_
; %bb.0:
	s_bfe_u32 s2, ttmp6, 0x4000c
	s_and_b32 s3, ttmp6, 15
	s_add_co_i32 s2, s2, 1
	s_getreg_b32 s4, hwreg(HW_REG_IB_STS2, 6, 4)
	s_mul_i32 s2, ttmp9, s2
	s_delay_alu instid0(SALU_CYCLE_1)
	s_add_co_i32 s3, s3, s2
	s_cmp_eq_u32 s4, 0
	s_cselect_b32 s2, ttmp9, s3
	s_mov_b32 s3, 0
	v_mov_b32_e32 v1, s2
	s_add_nc_u64 s[4:5], s[0:1], s[2:3]
	s_mul_u64 s[6:7], s[2:3], 3
	s_delay_alu instid0(SALU_CYCLE_1) | instskip(SKIP_4) | instid1(SALU_CYCLE_1)
	s_add_nc_u64 s[4:5], s[4:5], s[6:7]
	global_load_u8 v13, v1, s[0:1] offset:1760
	s_load_b32 s10, s[4:5], 0x820
	s_wait_kmcnt 0x0
	s_ashr_i32 s11, s10, 31
	s_lshl_b64 s[8:9], s[10:11], 18
	s_wait_loadcnt 0x0
	v_readfirstlane_b32 s2, v13
	s_and_b32 s2, s2, 0xff
	s_clause 0x1
	s_load_b64 s[4:5], s[0:1], s2 offset:0x0 scale_offset
	s_load_b64 s[6:7], s[0:1], s2 offset:0x370 scale_offset
	s_wait_kmcnt 0x0
	s_add_nc_u64 s[4:5], s[4:5], s[8:9]
	s_and_b32 s2, s6, 3
	s_and_b64 s[8:9], s[4:5], 15
	s_delay_alu instid0(SALU_CYCLE_1)
	s_or_b64 s[2:3], s[2:3], s[8:9]
	s_lshl_b64 s[8:9], s[10:11], 16
	s_cmp_eq_u64 s[2:3], 0
	s_sub_nc_u64 s[6:7], s[6:7], s[8:9]
	s_cbranch_scc1 .LBB12_12
; %bb.1:
	v_cmp_lt_i64_e64 s2, s[6:7], 1
	s_and_b32 vcc_lo, exec_lo, s2
	s_cbranch_vccnz .LBB12_13
; %bb.2:
	s_load_b32 s2, s[0:1], 0xd4c
	v_min_i64 v[6:7], 0x10000, s[6:7]
	v_dual_mov_b32 v2, 0xff7fffff :: v_dual_mov_b32 v11, 0
	s_mov_b32 s9, 0
	s_mov_b64 s[12:13], 0
	s_delay_alu instid0(VALU_DEP_1) | instskip(SKIP_3) | instid1(SALU_CYCLE_1)
	v_dual_mov_b32 v4, v2 :: v_dual_mov_b32 v5, v2
	v_mov_b32_e32 v3, v2
	s_wait_kmcnt 0x0
	s_and_b32 s2, s2, 0xffff
	v_mad_u32 v8, s2, 3, v0
	v_lshl_add_u32 v12, s2, 1, v0
	v_add_nc_u32_e32 v14, s2, v0
	s_lshl_b32 s8, s2, 2
	s_branch .LBB12_4
.LBB12_3:                               ;   in Loop: Header=BB12_4 Depth=1
	s_or_b32 exec_lo, exec_lo, s3
	s_add_nc_u64 s[12:13], s[12:13], s[8:9]
	s_delay_alu instid0(SALU_CYCLE_1)
	v_cmp_lt_i64_e32 vcc_lo, s[12:13], v[6:7]
	s_cbranch_vccz .LBB12_14
.LBB12_4:                               ; =>This Inner Loop Header: Depth=1
	v_add_nc_u32_e32 v10, s12, v0
	s_delay_alu instid0(VALU_DEP_1) | instskip(SKIP_2) | instid1(SALU_CYCLE_1)
	v_cmp_gt_i64_e32 vcc_lo, s[6:7], v[10:11]
	v_cmp_gt_u32_e64 s2, 0x10000, v10
	s_and_b32 s2, s2, vcc_lo
	s_and_saveexec_b32 s3, s2
	s_cbranch_execz .LBB12_6
; %bb.5:                                ;   in Loop: Header=BB12_4 Depth=1
	v_lshl_add_u64 v[16:17], v[10:11], 2, s[4:5]
	global_load_b32 v1, v[16:17], off
	s_wait_loadcnt 0x0
	v_cmp_u_f32_e32 vcc_lo, v1, v1
	v_cmp_lt_f32_e64 s2, v2, v1
	s_or_b32 vcc_lo, vcc_lo, s2
	v_cndmask_b32_e32 v2, v2, v1, vcc_lo
.LBB12_6:                               ;   in Loop: Header=BB12_4 Depth=1
	s_or_b32 exec_lo, exec_lo, s3
	v_add_nc_u32_e32 v10, s12, v14
	s_delay_alu instid0(VALU_DEP_1) | instskip(SKIP_2) | instid1(SALU_CYCLE_1)
	v_cmp_gt_i64_e32 vcc_lo, s[6:7], v[10:11]
	v_cmp_gt_u32_e64 s2, 0x10000, v10
	s_and_b32 s2, s2, vcc_lo
	s_and_saveexec_b32 s3, s2
	s_cbranch_execz .LBB12_8
; %bb.7:                                ;   in Loop: Header=BB12_4 Depth=1
	v_lshl_add_u64 v[16:17], v[10:11], 2, s[4:5]
	global_load_b32 v1, v[16:17], off
	s_wait_loadcnt 0x0
	v_cmp_u_f32_e32 vcc_lo, v1, v1
	v_cmp_lt_f32_e64 s2, v3, v1
	s_or_b32 vcc_lo, vcc_lo, s2
	v_cndmask_b32_e32 v3, v3, v1, vcc_lo
.LBB12_8:                               ;   in Loop: Header=BB12_4 Depth=1
	s_or_b32 exec_lo, exec_lo, s3
	v_add_nc_u32_e32 v10, s12, v12
	s_delay_alu instid0(VALU_DEP_1) | instskip(SKIP_2) | instid1(SALU_CYCLE_1)
	v_cmp_gt_i64_e32 vcc_lo, s[6:7], v[10:11]
	v_cmp_gt_u32_e64 s2, 0x10000, v10
	s_and_b32 s2, s2, vcc_lo
	s_and_saveexec_b32 s3, s2
	s_cbranch_execz .LBB12_10
; %bb.9:                                ;   in Loop: Header=BB12_4 Depth=1
	v_lshl_add_u64 v[16:17], v[10:11], 2, s[4:5]
	global_load_b32 v1, v[16:17], off
	s_wait_loadcnt 0x0
	v_cmp_u_f32_e32 vcc_lo, v1, v1
	v_cmp_lt_f32_e64 s2, v4, v1
	s_or_b32 vcc_lo, vcc_lo, s2
	v_cndmask_b32_e32 v4, v4, v1, vcc_lo
.LBB12_10:                              ;   in Loop: Header=BB12_4 Depth=1
	s_or_b32 exec_lo, exec_lo, s3
	v_add_nc_u32_e32 v10, s12, v8
	s_delay_alu instid0(VALU_DEP_1) | instskip(SKIP_2) | instid1(SALU_CYCLE_1)
	v_cmp_gt_i64_e32 vcc_lo, s[6:7], v[10:11]
	v_cmp_gt_u32_e64 s2, 0x10000, v10
	s_and_b32 s2, s2, vcc_lo
	s_and_saveexec_b32 s3, s2
	s_cbranch_execz .LBB12_3
; %bb.11:                               ;   in Loop: Header=BB12_4 Depth=1
	v_lshl_add_u64 v[16:17], v[10:11], 2, s[4:5]
	global_load_b32 v1, v[16:17], off
	s_wait_loadcnt 0x0
	v_cmp_u_f32_e32 vcc_lo, v1, v1
	v_cmp_lt_f32_e64 s2, v5, v1
	s_or_b32 vcc_lo, vcc_lo, s2
	v_cndmask_b32_e32 v5, v5, v1, vcc_lo
	s_branch .LBB12_3
.LBB12_12:
                                        ; implicit-def: $vgpr2_vgpr3_vgpr4_vgpr5
	s_branch .LBB12_15
.LBB12_13:
	v_mov_b32_e32 v2, 0xff7fffff
	s_delay_alu instid0(VALU_DEP_1)
	v_dual_mov_b32 v3, v2 :: v_dual_mov_b32 v4, v2
	v_mov_b32_e32 v5, v2
.LBB12_14:
	s_cbranch_execnz .LBB12_20
.LBB12_15:
	v_min_i64 v[6:7], 0x10000, s[6:7]
	v_dual_mov_b32 v2, 0xff7fffff :: v_dual_mov_b32 v9, 0
	v_lshlrev_b32_e32 v8, 2, v0
	s_mov_b32 s11, exec_lo
	s_delay_alu instid0(VALU_DEP_2) | instskip(SKIP_1) | instid1(VALU_DEP_3)
	v_dual_mov_b32 v3, v2 :: v_dual_mov_b32 v4, v2
	v_mov_b32_e32 v5, v2
	v_cmpx_lt_i64_e64 v[8:9], v[6:7]
	s_cbranch_execz .LBB12_19
; %bb.16:
	s_load_b32 s2, s[0:1], 0xd4c
	v_dual_mov_b32 v1, v9 :: v_dual_lshlrev_b32 v8, 4, v0
	v_dual_mov_b32 v3, 0xff7fffff :: v_dual_mov_b32 v4, 0xff7fffff
	v_mov_b32_e32 v5, 0xff7fffff
	s_delay_alu instid0(VALU_DEP_3) | instskip(SKIP_1) | instid1(SALU_CYCLE_1)
	v_add_nc_u64_e32 v[10:11], s[4:5], v[8:9]
	s_mov_b32 s13, 0
	s_mov_b32 s15, s13
	;; [unrolled: 1-line block ×3, first 2 shown]
	s_delay_alu instid0(VALU_DEP_1) | instskip(SKIP_3) | instid1(SALU_CYCLE_1)
	v_add_nc_u64_e32 v[8:9], 8, v[10:11]
	v_mov_b64_e32 v[10:11], v[0:1]
	s_wait_kmcnt 0x0
	s_and_b32 s12, s2, 0xffff
	s_lshl_b32 s14, s12, 4
.LBB12_17:                              ; =>This Inner Loop Header: Depth=1
	global_load_b128 v[14:17], v[8:9], off offset:-8
	v_add_nc_u64_e32 v[10:11], s[12:13], v[10:11]
	s_wait_xcnt 0x0
	v_add_nc_u64_e32 v[8:9], s[14:15], v[8:9]
	s_delay_alu instid0(VALU_DEP_2) | instskip(NEXT) | instid1(VALU_DEP_1)
	v_lshlrev_b64_e32 v[18:19], 2, v[10:11]
	v_cmp_ge_i64_e32 vcc_lo, v[18:19], v[6:7]
	s_wait_loadcnt 0x0
	v_cmp_u_f32_e64 s2, v17, v17
	v_cmp_lt_f32_e64 s5, v5, v17
	v_cmp_u_f32_e64 s3, v16, v16
	v_cmp_lt_f32_e64 s7, v4, v16
	;; [unrolled: 2-line block ×3, first 2 shown]
	s_or_b32 s2, s2, s5
	v_cmp_u_f32_e64 s6, v14, v14
	v_cmp_lt_f32_e64 s9, v2, v14
	v_cndmask_b32_e64 v5, v5, v17, s2
	s_or_b32 s2, s3, s7
	s_delay_alu instid0(SALU_CYCLE_1) | instskip(SKIP_1) | instid1(SALU_CYCLE_1)
	v_cndmask_b32_e64 v4, v4, v16, s2
	s_or_b32 s2, s4, s8
	v_cndmask_b32_e64 v3, v3, v15, s2
	s_or_b32 s2, s6, s9
	s_or_b32 s16, vcc_lo, s16
	v_cndmask_b32_e64 v2, v2, v14, s2
	s_and_not1_b32 exec_lo, exec_lo, s16
	s_cbranch_execnz .LBB12_17
; %bb.18:
	s_or_b32 exec_lo, exec_lo, s16
.LBB12_19:
	s_delay_alu instid0(SALU_CYCLE_1)
	s_or_b32 exec_lo, exec_lo, s11
.LBB12_20:
	v_cmp_u_f32_e32 vcc_lo, v2, v2
	v_cmp_lt_f32_e64 s2, 0xff7fffff, v2
	v_mbcnt_lo_u32_b32 v6, -1, 0
	s_barrier_signal -1
	s_barrier_wait -1
	s_or_b32 vcc_lo, vcc_lo, s2
	s_delay_alu instid0(VALU_DEP_1) | instskip(SKIP_2) | instid1(VALU_DEP_3)
	v_cmp_ne_u32_e64 s3, 31, v6
	v_cndmask_b32_e32 v1, 0xff7fffff, v2, vcc_lo
	v_cmp_u_f32_e32 vcc_lo, v3, v3
	v_add_co_ci_u32_e64 v8, null, 0, v6, s3
	s_delay_alu instid0(VALU_DEP_3) | instskip(SKIP_4) | instid1(VALU_DEP_2)
	v_cmp_lt_f32_e64 s2, v1, v3
	s_mov_b32 s3, exec_lo
	s_or_b32 vcc_lo, vcc_lo, s2
	v_cndmask_b32_e32 v1, v1, v3, vcc_lo
	v_cmp_u_f32_e32 vcc_lo, v4, v4
	v_cmp_lt_f32_e64 s2, v1, v4
	s_or_b32 vcc_lo, vcc_lo, s2
	v_cndmask_b32_e32 v2, v1, v4, vcc_lo
	v_cmp_u_f32_e32 vcc_lo, v5, v5
	v_lshl_or_b32 v1, v6, 2, 64
	s_delay_alu instid0(VALU_DEP_3)
	v_cmp_lt_f32_e64 s2, v2, v5
	s_or_b32 vcc_lo, vcc_lo, s2
	v_cndmask_b32_e32 v3, v2, v5, vcc_lo
	v_cmp_gt_u32_e32 vcc_lo, 24, v6
	ds_bpermute_b32 v4, v1, v3
	v_cndmask_b32_e64 v2, 0, 8, vcc_lo
	s_delay_alu instid0(VALU_DEP_1)
	v_add_lshl_u32 v2, v2, v6, 2
	s_wait_dscnt 0x0
	v_cmp_u_f32_e32 vcc_lo, v4, v4
	v_cmp_lt_f32_e64 s2, v3, v4
	s_or_b32 vcc_lo, vcc_lo, s2
	v_cndmask_b32_e32 v4, v3, v4, vcc_lo
	v_cmp_gt_u32_e32 vcc_lo, 28, v6
	ds_bpermute_b32 v5, v2, v4
	v_cndmask_b32_e64 v3, 0, 4, vcc_lo
	s_delay_alu instid0(VALU_DEP_1)
	v_add_lshl_u32 v3, v3, v6, 2
	s_wait_dscnt 0x0
	v_cmp_u_f32_e32 vcc_lo, v5, v5
	;; [unrolled: 10-line block ×3, first 2 shown]
	v_cmp_lt_f32_e64 s2, v5, v7
	s_or_b32 vcc_lo, vcc_lo, s2
	v_cndmask_b32_e32 v5, v5, v7, vcc_lo
	ds_bpermute_b32 v7, v4, v5
	s_wait_dscnt 0x0
	v_cmp_u_f32_e32 vcc_lo, v7, v7
	v_cmp_lt_f32_e64 s2, v5, v7
	s_or_b32 vcc_lo, vcc_lo, s2
	v_dual_cndmask_b32 v6, v5, v7 :: v_dual_lshlrev_b32 v5, 2, v8
	v_and_b32_e32 v7, 31, v0
	ds_bpermute_b32 v8, v5, v6
	v_cmpx_eq_u32_e32 0, v7
	s_cbranch_execz .LBB12_22
; %bb.21:
	s_wait_dscnt 0x0
	v_cmp_u_f32_e32 vcc_lo, v8, v8
	v_cmp_lt_f32_e64 s2, v6, v8
	v_lshrrev_b32_e32 v9, 3, v0
	s_or_b32 vcc_lo, vcc_lo, s2
	v_cndmask_b32_e32 v6, v6, v8, vcc_lo
	ds_store_b32 v9, v6
.LBB12_22:
	s_or_b32 exec_lo, exec_lo, s3
	s_wait_dscnt 0x0
	s_barrier_signal -1
	s_barrier_wait -1
	s_load_b32 s2, s[0:1], 0xd4c
	v_mov_b32_e32 v6, 0xff7fffff
	s_wait_kmcnt 0x0
	s_bfe_u32 s2, s2, 0xb0005
	s_delay_alu instid0(SALU_CYCLE_1)
	v_cmp_gt_u32_e32 vcc_lo, s2, v0
	s_and_saveexec_b32 s2, vcc_lo
; %bb.23:
	v_lshlrev_b32_e32 v6, 2, v7
	ds_load_b32 v6, v6
; %bb.24:
	s_or_b32 exec_lo, exec_lo, s2
	s_delay_alu instid0(SALU_CYCLE_1)
	s_mov_b32 s3, exec_lo
	v_cmpx_gt_u32_e32 32, v0
	s_cbranch_execz .LBB12_26
; %bb.25:
	s_wait_dscnt 0x0
	ds_bpermute_b32 v1, v1, v6
	s_wait_dscnt 0x0
	v_cmp_u_f32_e32 vcc_lo, v1, v1
	v_cmp_lt_f32_e64 s2, v6, v1
	s_or_b32 vcc_lo, vcc_lo, s2
	v_cndmask_b32_e32 v1, v6, v1, vcc_lo
	ds_bpermute_b32 v2, v2, v1
	s_wait_dscnt 0x0
	v_cmp_u_f32_e32 vcc_lo, v2, v2
	v_cmp_lt_f32_e64 s2, v1, v2
	s_or_b32 vcc_lo, vcc_lo, s2
	v_cndmask_b32_e32 v1, v1, v2, vcc_lo
	;; [unrolled: 6-line block ×5, first 2 shown]
.LBB12_26:
	s_or_b32 exec_lo, exec_lo, s3
	s_delay_alu instid0(SALU_CYCLE_1)
	s_mov_b32 s2, exec_lo
	v_cmpx_eq_u32_e32 0, v0
	s_cbranch_execz .LBB12_28
; %bb.27:
	s_clause 0x1
	s_load_b32 s2, s[0:1], 0xd20
	s_load_b96 s[4:6], s[0:1], 0xd30
	v_and_b32_e32 v0, 0xff, v13
	s_wait_kmcnt 0x0
	s_delay_alu instid0(VALU_DEP_1) | instskip(NEXT) | instid1(VALU_DEP_1)
	v_add_nc_u32_e32 v0, s2, v0
	v_mul_lo_u32 v0, v0, s6
	s_delay_alu instid0(VALU_DEP_1)
	v_add_nc_u32_e32 v0, s10, v0
	s_wait_dscnt 0x0
	global_store_b32 v0, v6, s[4:5] scale_offset
.LBB12_28:
	s_endpgm
	.section	.rodata,"a",@progbits
	.p2align	6, 0x0
	.amdhsa_kernel _ZN2at6native12_GLOBAL__N_125multi_tensor_apply_kernelINS1_18TensorListMetadataILi1EEENS0_12LpMaxFunctorIfLi1ELi1ELi0EEEJPfiEEEvT_T0_DpT1_
		.amdhsa_group_segment_fixed_size 2048
		.amdhsa_private_segment_fixed_size 0
		.amdhsa_kernarg_size 3648
		.amdhsa_user_sgpr_count 2
		.amdhsa_user_sgpr_dispatch_ptr 0
		.amdhsa_user_sgpr_queue_ptr 0
		.amdhsa_user_sgpr_kernarg_segment_ptr 1
		.amdhsa_user_sgpr_dispatch_id 0
		.amdhsa_user_sgpr_kernarg_preload_length 0
		.amdhsa_user_sgpr_kernarg_preload_offset 0
		.amdhsa_user_sgpr_private_segment_size 0
		.amdhsa_wavefront_size32 1
		.amdhsa_uses_dynamic_stack 0
		.amdhsa_enable_private_segment 0
		.amdhsa_system_sgpr_workgroup_id_x 1
		.amdhsa_system_sgpr_workgroup_id_y 0
		.amdhsa_system_sgpr_workgroup_id_z 0
		.amdhsa_system_sgpr_workgroup_info 0
		.amdhsa_system_vgpr_workitem_id 0
		.amdhsa_next_free_vgpr 20
		.amdhsa_next_free_sgpr 17
		.amdhsa_named_barrier_count 0
		.amdhsa_reserve_vcc 1
		.amdhsa_float_round_mode_32 0
		.amdhsa_float_round_mode_16_64 0
		.amdhsa_float_denorm_mode_32 3
		.amdhsa_float_denorm_mode_16_64 3
		.amdhsa_fp16_overflow 0
		.amdhsa_memory_ordered 1
		.amdhsa_forward_progress 1
		.amdhsa_inst_pref_size 14
		.amdhsa_round_robin_scheduling 0
		.amdhsa_exception_fp_ieee_invalid_op 0
		.amdhsa_exception_fp_denorm_src 0
		.amdhsa_exception_fp_ieee_div_zero 0
		.amdhsa_exception_fp_ieee_overflow 0
		.amdhsa_exception_fp_ieee_underflow 0
		.amdhsa_exception_fp_ieee_inexact 0
		.amdhsa_exception_int_div_zero 0
	.end_amdhsa_kernel
	.section	.text._ZN2at6native12_GLOBAL__N_125multi_tensor_apply_kernelINS1_18TensorListMetadataILi1EEENS0_12LpMaxFunctorIfLi1ELi1ELi0EEEJPfiEEEvT_T0_DpT1_,"axG",@progbits,_ZN2at6native12_GLOBAL__N_125multi_tensor_apply_kernelINS1_18TensorListMetadataILi1EEENS0_12LpMaxFunctorIfLi1ELi1ELi0EEEJPfiEEEvT_T0_DpT1_,comdat
.Lfunc_end12:
	.size	_ZN2at6native12_GLOBAL__N_125multi_tensor_apply_kernelINS1_18TensorListMetadataILi1EEENS0_12LpMaxFunctorIfLi1ELi1ELi0EEEJPfiEEEvT_T0_DpT1_, .Lfunc_end12-_ZN2at6native12_GLOBAL__N_125multi_tensor_apply_kernelINS1_18TensorListMetadataILi1EEENS0_12LpMaxFunctorIfLi1ELi1ELi0EEEJPfiEEEvT_T0_DpT1_
                                        ; -- End function
	.set _ZN2at6native12_GLOBAL__N_125multi_tensor_apply_kernelINS1_18TensorListMetadataILi1EEENS0_12LpMaxFunctorIfLi1ELi1ELi0EEEJPfiEEEvT_T0_DpT1_.num_vgpr, 20
	.set _ZN2at6native12_GLOBAL__N_125multi_tensor_apply_kernelINS1_18TensorListMetadataILi1EEENS0_12LpMaxFunctorIfLi1ELi1ELi0EEEJPfiEEEvT_T0_DpT1_.num_agpr, 0
	.set _ZN2at6native12_GLOBAL__N_125multi_tensor_apply_kernelINS1_18TensorListMetadataILi1EEENS0_12LpMaxFunctorIfLi1ELi1ELi0EEEJPfiEEEvT_T0_DpT1_.numbered_sgpr, 17
	.set _ZN2at6native12_GLOBAL__N_125multi_tensor_apply_kernelINS1_18TensorListMetadataILi1EEENS0_12LpMaxFunctorIfLi1ELi1ELi0EEEJPfiEEEvT_T0_DpT1_.num_named_barrier, 0
	.set _ZN2at6native12_GLOBAL__N_125multi_tensor_apply_kernelINS1_18TensorListMetadataILi1EEENS0_12LpMaxFunctorIfLi1ELi1ELi0EEEJPfiEEEvT_T0_DpT1_.private_seg_size, 0
	.set _ZN2at6native12_GLOBAL__N_125multi_tensor_apply_kernelINS1_18TensorListMetadataILi1EEENS0_12LpMaxFunctorIfLi1ELi1ELi0EEEJPfiEEEvT_T0_DpT1_.uses_vcc, 1
	.set _ZN2at6native12_GLOBAL__N_125multi_tensor_apply_kernelINS1_18TensorListMetadataILi1EEENS0_12LpMaxFunctorIfLi1ELi1ELi0EEEJPfiEEEvT_T0_DpT1_.uses_flat_scratch, 0
	.set _ZN2at6native12_GLOBAL__N_125multi_tensor_apply_kernelINS1_18TensorListMetadataILi1EEENS0_12LpMaxFunctorIfLi1ELi1ELi0EEEJPfiEEEvT_T0_DpT1_.has_dyn_sized_stack, 0
	.set _ZN2at6native12_GLOBAL__N_125multi_tensor_apply_kernelINS1_18TensorListMetadataILi1EEENS0_12LpMaxFunctorIfLi1ELi1ELi0EEEJPfiEEEvT_T0_DpT1_.has_recursion, 0
	.set _ZN2at6native12_GLOBAL__N_125multi_tensor_apply_kernelINS1_18TensorListMetadataILi1EEENS0_12LpMaxFunctorIfLi1ELi1ELi0EEEJPfiEEEvT_T0_DpT1_.has_indirect_call, 0
	.section	.AMDGPU.csdata,"",@progbits
; Kernel info:
; codeLenInByte = 1748
; TotalNumSgprs: 19
; NumVgprs: 20
; ScratchSize: 0
; MemoryBound: 0
; FloatMode: 240
; IeeeMode: 1
; LDSByteSize: 2048 bytes/workgroup (compile time only)
; SGPRBlocks: 0
; VGPRBlocks: 1
; NumSGPRsForWavesPerEU: 19
; NumVGPRsForWavesPerEU: 20
; NamedBarCnt: 0
; Occupancy: 16
; WaveLimiterHint : 0
; COMPUTE_PGM_RSRC2:SCRATCH_EN: 0
; COMPUTE_PGM_RSRC2:USER_SGPR: 2
; COMPUTE_PGM_RSRC2:TRAP_HANDLER: 0
; COMPUTE_PGM_RSRC2:TGID_X_EN: 1
; COMPUTE_PGM_RSRC2:TGID_Y_EN: 0
; COMPUTE_PGM_RSRC2:TGID_Z_EN: 0
; COMPUTE_PGM_RSRC2:TIDIG_COMP_CNT: 0
	.section	.text._ZN2at6native13lpmax_cleanupIfEEvPKT_NS0_19TensorListAddressesEi,"axG",@progbits,_ZN2at6native13lpmax_cleanupIfEEvPKT_NS0_19TensorListAddressesEi,comdat
	.protected	_ZN2at6native13lpmax_cleanupIfEEvPKT_NS0_19TensorListAddressesEi ; -- Begin function _ZN2at6native13lpmax_cleanupIfEEvPKT_NS0_19TensorListAddressesEi
	.globl	_ZN2at6native13lpmax_cleanupIfEEvPKT_NS0_19TensorListAddressesEi
	.p2align	8
	.type	_ZN2at6native13lpmax_cleanupIfEEvPKT_NS0_19TensorListAddressesEi,@function
_ZN2at6native13lpmax_cleanupIfEEvPKT_NS0_19TensorListAddressesEi: ; @_ZN2at6native13lpmax_cleanupIfEEvPKT_NS0_19TensorListAddressesEi
; %bb.0:
	s_load_b32 s4, s[0:1], 0xc88
	s_bfe_u32 s2, ttmp6, 0x4000c
	s_and_b32 s3, ttmp6, 15
	s_add_co_i32 s2, s2, 1
	s_getreg_b32 s5, hwreg(HW_REG_IB_STS2, 6, 4)
	s_mul_i32 s2, ttmp9, s2
	v_mov_b32_e32 v6, 0xff7fffff
	s_add_co_i32 s3, s3, s2
	s_cmp_eq_u32 s5, 0
	s_mov_b32 s7, 0
	s_cselect_b32 s10, ttmp9, s3
	s_mov_b32 s11, exec_lo
	s_wait_kmcnt 0x0
	v_cmpx_gt_u32_e64 s4, v0
	s_cbranch_execz .LBB13_4
; %bb.1:
	s_clause 0x1
	s_load_b64 s[2:3], s[0:1], 0x0
	s_load_b32 s6, s[0:1], 0xc9c
	v_dual_mov_b32 v1, 0 :: v_dual_lshlrev_b32 v2, 2, v0
	s_mul_i32 s8, s4, s10
	s_mov_b32 s9, s7
	s_delay_alu instid0(VALU_DEP_1)
	v_dual_mov_b32 v6, 0xff7fffff :: v_dual_mov_b32 v3, v1
	s_lshl_b64 s[8:9], s[8:9], 2
	v_mov_b64_e32 v[4:5], v[0:1]
	s_ashr_i32 s5, s4, 31
	s_mov_b32 s12, s7
	s_wait_kmcnt 0x0
	s_add_nc_u64 s[2:3], s[2:3], s[8:9]
	s_and_b32 s6, s6, 0xffff
	v_add_nc_u64_e32 v[2:3], s[2:3], v[2:3]
	s_lshl_b32 s8, s6, 2
	s_mov_b32 s9, s7
.LBB13_2:                               ; =>This Inner Loop Header: Depth=1
	global_load_b32 v1, v[2:3], off
	v_add_nc_u64_e32 v[4:5], s[6:7], v[4:5]
	s_wait_xcnt 0x0
	v_add_nc_u64_e32 v[2:3], s[8:9], v[2:3]
	s_delay_alu instid0(VALU_DEP_2)
	v_cmp_le_u64_e32 vcc_lo, s[4:5], v[4:5]
	s_wait_loadcnt 0x0
	v_cmp_u_f32_e64 s2, v1, v1
	v_cmp_lt_f32_e64 s3, v6, v1
	s_or_b32 s2, s2, s3
	s_or_b32 s12, vcc_lo, s12
	v_cndmask_b32_e64 v6, v6, v1, s2
	s_and_not1_b32 exec_lo, exec_lo, s12
	s_cbranch_execnz .LBB13_2
; %bb.3:
	s_or_b32 exec_lo, exec_lo, s12
.LBB13_4:
	s_delay_alu instid0(SALU_CYCLE_1) | instskip(SKIP_3) | instid1(VALU_DEP_1)
	s_or_b32 exec_lo, exec_lo, s11
	v_mbcnt_lo_u32_b32 v5, -1, 0
	s_barrier_signal -1
	s_barrier_wait -1
	v_lshl_or_b32 v1, v5, 2, 64
	v_cmp_gt_u32_e32 vcc_lo, 24, v5
	v_cmp_ne_u32_e64 s3, 31, v5
	ds_bpermute_b32 v3, v1, v6
	v_cndmask_b32_e64 v2, 0, 8, vcc_lo
	s_delay_alu instid0(VALU_DEP_1)
	v_add_lshl_u32 v2, v2, v5, 2
	s_wait_dscnt 0x0
	v_cmp_u_f32_e32 vcc_lo, v3, v3
	v_cmp_lt_f32_e64 s2, v6, v3
	s_or_b32 vcc_lo, vcc_lo, s2
	v_cndmask_b32_e32 v4, v6, v3, vcc_lo
	v_cmp_gt_u32_e32 vcc_lo, 28, v5
	ds_bpermute_b32 v6, v2, v4
	v_cndmask_b32_e64 v3, 0, 4, vcc_lo
	s_delay_alu instid0(VALU_DEP_1)
	v_add_lshl_u32 v3, v3, v5, 2
	s_wait_dscnt 0x0
	v_cmp_u_f32_e32 vcc_lo, v6, v6
	v_cmp_lt_f32_e64 s2, v4, v6
	s_or_b32 vcc_lo, vcc_lo, s2
	v_cndmask_b32_e32 v6, v4, v6, vcc_lo
	v_cmp_gt_u32_e32 vcc_lo, 30, v5
	ds_bpermute_b32 v7, v3, v6
	v_cndmask_b32_e64 v4, 0, 2, vcc_lo
	s_delay_alu instid0(VALU_DEP_1)
	v_add_lshl_u32 v4, v4, v5, 2
	v_add_co_ci_u32_e64 v5, null, 0, v5, s3
	s_mov_b32 s3, exec_lo
	v_lshlrev_b32_e32 v5, 2, v5
	s_wait_dscnt 0x0
	v_cmp_u_f32_e32 vcc_lo, v7, v7
	v_cmp_lt_f32_e64 s2, v6, v7
	s_or_b32 vcc_lo, vcc_lo, s2
	v_cndmask_b32_e32 v6, v6, v7, vcc_lo
	ds_bpermute_b32 v7, v4, v6
	s_wait_dscnt 0x0
	v_cmp_u_f32_e32 vcc_lo, v7, v7
	v_cmp_lt_f32_e64 s2, v6, v7
	s_or_b32 vcc_lo, vcc_lo, s2
	s_delay_alu instid0(SALU_CYCLE_1)
	v_dual_cndmask_b32 v7, v6, v7, vcc_lo :: v_dual_bitop2_b32 v6, 31, v0 bitop3:0x40
	ds_bpermute_b32 v8, v5, v7
	v_cmpx_eq_u32_e32 0, v6
	s_cbranch_execz .LBB13_6
; %bb.5:
	s_wait_dscnt 0x0
	v_cmp_u_f32_e32 vcc_lo, v8, v8
	v_cmp_lt_f32_e64 s2, v7, v8
	s_or_b32 vcc_lo, vcc_lo, s2
	v_cndmask_b32_e32 v7, v7, v8, vcc_lo
	v_lshrrev_b32_e32 v8, 3, v0
	ds_store_b32 v8, v7
.LBB13_6:
	s_or_b32 exec_lo, exec_lo, s3
	s_wait_dscnt 0x0
	s_barrier_signal -1
	s_barrier_wait -1
	s_load_b32 s2, s[0:1], 0xc9c
	v_mov_b32_e32 v7, 0xff7fffff
	s_wait_kmcnt 0x0
	s_bfe_u32 s2, s2, 0xb0005
	s_delay_alu instid0(SALU_CYCLE_1)
	v_cmp_gt_u32_e32 vcc_lo, s2, v0
	s_and_saveexec_b32 s2, vcc_lo
; %bb.7:
	v_lshlrev_b32_e32 v6, 2, v6
	ds_load_b32 v7, v6
; %bb.8:
	s_or_b32 exec_lo, exec_lo, s2
	s_delay_alu instid0(SALU_CYCLE_1)
	s_mov_b32 s3, exec_lo
	v_cmpx_gt_u32_e32 32, v0
	s_cbranch_execz .LBB13_10
; %bb.9:
	s_wait_dscnt 0x0
	ds_bpermute_b32 v1, v1, v7
	s_wait_dscnt 0x0
	v_cmp_u_f32_e32 vcc_lo, v1, v1
	v_cmp_lt_f32_e64 s2, v7, v1
	s_or_b32 vcc_lo, vcc_lo, s2
	v_cndmask_b32_e32 v1, v7, v1, vcc_lo
	ds_bpermute_b32 v2, v2, v1
	s_wait_dscnt 0x0
	v_cmp_u_f32_e32 vcc_lo, v2, v2
	v_cmp_lt_f32_e64 s2, v1, v2
	s_or_b32 vcc_lo, vcc_lo, s2
	v_cndmask_b32_e32 v1, v1, v2, vcc_lo
	;; [unrolled: 6-line block ×5, first 2 shown]
.LBB13_10:
	s_or_b32 exec_lo, exec_lo, s3
	s_delay_alu instid0(SALU_CYCLE_1)
	s_mov_b32 s2, exec_lo
	v_cmpx_eq_u32_e32 0, v0
	s_cbranch_execz .LBB13_12
; %bb.11:
	s_load_b64 s[0:1], s[0:1], s10 offset:0x8 scale_offset
	v_mov_b32_e32 v0, 0
	s_wait_dscnt 0x0
	s_wait_kmcnt 0x0
	global_store_b32 v0, v7, s[0:1]
.LBB13_12:
	s_endpgm
	.section	.rodata,"a",@progbits
	.p2align	6, 0x0
	.amdhsa_kernel _ZN2at6native13lpmax_cleanupIfEEvPKT_NS0_19TensorListAddressesEi
		.amdhsa_group_segment_fixed_size 2048
		.amdhsa_private_segment_fixed_size 0
		.amdhsa_kernarg_size 3472
		.amdhsa_user_sgpr_count 2
		.amdhsa_user_sgpr_dispatch_ptr 0
		.amdhsa_user_sgpr_queue_ptr 0
		.amdhsa_user_sgpr_kernarg_segment_ptr 1
		.amdhsa_user_sgpr_dispatch_id 0
		.amdhsa_user_sgpr_kernarg_preload_length 0
		.amdhsa_user_sgpr_kernarg_preload_offset 0
		.amdhsa_user_sgpr_private_segment_size 0
		.amdhsa_wavefront_size32 1
		.amdhsa_uses_dynamic_stack 0
		.amdhsa_enable_private_segment 0
		.amdhsa_system_sgpr_workgroup_id_x 1
		.amdhsa_system_sgpr_workgroup_id_y 0
		.amdhsa_system_sgpr_workgroup_id_z 0
		.amdhsa_system_sgpr_workgroup_info 0
		.amdhsa_system_vgpr_workitem_id 0
		.amdhsa_next_free_vgpr 9
		.amdhsa_next_free_sgpr 13
		.amdhsa_named_barrier_count 0
		.amdhsa_reserve_vcc 1
		.amdhsa_float_round_mode_32 0
		.amdhsa_float_round_mode_16_64 0
		.amdhsa_float_denorm_mode_32 3
		.amdhsa_float_denorm_mode_16_64 3
		.amdhsa_fp16_overflow 0
		.amdhsa_memory_ordered 1
		.amdhsa_forward_progress 1
		.amdhsa_inst_pref_size 7
		.amdhsa_round_robin_scheduling 0
		.amdhsa_exception_fp_ieee_invalid_op 0
		.amdhsa_exception_fp_denorm_src 0
		.amdhsa_exception_fp_ieee_div_zero 0
		.amdhsa_exception_fp_ieee_overflow 0
		.amdhsa_exception_fp_ieee_underflow 0
		.amdhsa_exception_fp_ieee_inexact 0
		.amdhsa_exception_int_div_zero 0
	.end_amdhsa_kernel
	.section	.text._ZN2at6native13lpmax_cleanupIfEEvPKT_NS0_19TensorListAddressesEi,"axG",@progbits,_ZN2at6native13lpmax_cleanupIfEEvPKT_NS0_19TensorListAddressesEi,comdat
.Lfunc_end13:
	.size	_ZN2at6native13lpmax_cleanupIfEEvPKT_NS0_19TensorListAddressesEi, .Lfunc_end13-_ZN2at6native13lpmax_cleanupIfEEvPKT_NS0_19TensorListAddressesEi
                                        ; -- End function
	.set _ZN2at6native13lpmax_cleanupIfEEvPKT_NS0_19TensorListAddressesEi.num_vgpr, 9
	.set _ZN2at6native13lpmax_cleanupIfEEvPKT_NS0_19TensorListAddressesEi.num_agpr, 0
	.set _ZN2at6native13lpmax_cleanupIfEEvPKT_NS0_19TensorListAddressesEi.numbered_sgpr, 13
	.set _ZN2at6native13lpmax_cleanupIfEEvPKT_NS0_19TensorListAddressesEi.num_named_barrier, 0
	.set _ZN2at6native13lpmax_cleanupIfEEvPKT_NS0_19TensorListAddressesEi.private_seg_size, 0
	.set _ZN2at6native13lpmax_cleanupIfEEvPKT_NS0_19TensorListAddressesEi.uses_vcc, 1
	.set _ZN2at6native13lpmax_cleanupIfEEvPKT_NS0_19TensorListAddressesEi.uses_flat_scratch, 0
	.set _ZN2at6native13lpmax_cleanupIfEEvPKT_NS0_19TensorListAddressesEi.has_dyn_sized_stack, 0
	.set _ZN2at6native13lpmax_cleanupIfEEvPKT_NS0_19TensorListAddressesEi.has_recursion, 0
	.set _ZN2at6native13lpmax_cleanupIfEEvPKT_NS0_19TensorListAddressesEi.has_indirect_call, 0
	.section	.AMDGPU.csdata,"",@progbits
; Kernel info:
; codeLenInByte = 880
; TotalNumSgprs: 15
; NumVgprs: 9
; ScratchSize: 0
; MemoryBound: 0
; FloatMode: 240
; IeeeMode: 1
; LDSByteSize: 2048 bytes/workgroup (compile time only)
; SGPRBlocks: 0
; VGPRBlocks: 0
; NumSGPRsForWavesPerEU: 15
; NumVGPRsForWavesPerEU: 9
; NamedBarCnt: 0
; Occupancy: 16
; WaveLimiterHint : 0
; COMPUTE_PGM_RSRC2:SCRATCH_EN: 0
; COMPUTE_PGM_RSRC2:USER_SGPR: 2
; COMPUTE_PGM_RSRC2:TRAP_HANDLER: 0
; COMPUTE_PGM_RSRC2:TGID_X_EN: 1
; COMPUTE_PGM_RSRC2:TGID_Y_EN: 0
; COMPUTE_PGM_RSRC2:TGID_Z_EN: 0
; COMPUTE_PGM_RSRC2:TIDIG_COMP_CNT: 0
	.section	.text._ZN2at6native12_GLOBAL__N_125multi_tensor_apply_kernelINS1_18TensorListMetadataILi1EEENS0_12LpMaxFunctorIN3c104HalfELi1ELi1ELi0EEEJPS7_iEEEvT_T0_DpT1_,"axG",@progbits,_ZN2at6native12_GLOBAL__N_125multi_tensor_apply_kernelINS1_18TensorListMetadataILi1EEENS0_12LpMaxFunctorIN3c104HalfELi1ELi1ELi0EEEJPS7_iEEEvT_T0_DpT1_,comdat
	.globl	_ZN2at6native12_GLOBAL__N_125multi_tensor_apply_kernelINS1_18TensorListMetadataILi1EEENS0_12LpMaxFunctorIN3c104HalfELi1ELi1ELi0EEEJPS7_iEEEvT_T0_DpT1_ ; -- Begin function _ZN2at6native12_GLOBAL__N_125multi_tensor_apply_kernelINS1_18TensorListMetadataILi1EEENS0_12LpMaxFunctorIN3c104HalfELi1ELi1ELi0EEEJPS7_iEEEvT_T0_DpT1_
	.p2align	8
	.type	_ZN2at6native12_GLOBAL__N_125multi_tensor_apply_kernelINS1_18TensorListMetadataILi1EEENS0_12LpMaxFunctorIN3c104HalfELi1ELi1ELi0EEEJPS7_iEEEvT_T0_DpT1_,@function
_ZN2at6native12_GLOBAL__N_125multi_tensor_apply_kernelINS1_18TensorListMetadataILi1EEENS0_12LpMaxFunctorIN3c104HalfELi1ELi1ELi0EEEJPS7_iEEEvT_T0_DpT1_: ; @_ZN2at6native12_GLOBAL__N_125multi_tensor_apply_kernelINS1_18TensorListMetadataILi1EEENS0_12LpMaxFunctorIN3c104HalfELi1ELi1ELi0EEEJPS7_iEEEvT_T0_DpT1_
; %bb.0:
	s_bfe_u32 s2, ttmp6, 0x4000c
	s_and_b32 s3, ttmp6, 15
	s_add_co_i32 s2, s2, 1
	s_getreg_b32 s4, hwreg(HW_REG_IB_STS2, 6, 4)
	s_mul_i32 s2, ttmp9, s2
	s_delay_alu instid0(SALU_CYCLE_1)
	s_add_co_i32 s3, s3, s2
	s_cmp_eq_u32 s4, 0
	s_cselect_b32 s2, ttmp9, s3
	s_mov_b32 s3, 0
	v_mov_b32_e32 v1, s2
	s_add_nc_u64 s[4:5], s[0:1], s[2:3]
	s_mul_u64 s[6:7], s[2:3], 3
	s_delay_alu instid0(SALU_CYCLE_1) | instskip(SKIP_4) | instid1(SALU_CYCLE_1)
	s_add_nc_u64 s[4:5], s[4:5], s[6:7]
	global_load_u8 v9, v1, s[0:1] offset:1760
	s_load_b32 s8, s[4:5], 0x820
	s_wait_kmcnt 0x0
	s_ashr_i32 s9, s8, 31
	s_lshl_b64 s[10:11], s[8:9], 17
	s_wait_loadcnt 0x0
	v_readfirstlane_b32 s2, v9
	s_and_b32 s2, s2, 0xff
	s_clause 0x1
	s_load_b64 s[4:5], s[0:1], s2 offset:0x0 scale_offset
	s_load_b64 s[6:7], s[0:1], s2 offset:0x370 scale_offset
	s_wait_kmcnt 0x0
	s_add_nc_u64 s[4:5], s[4:5], s[10:11]
	s_and_b32 s2, s6, 3
	s_and_b64 s[10:11], s[4:5], 7
	s_delay_alu instid0(SALU_CYCLE_1)
	s_or_b64 s[2:3], s[2:3], s[10:11]
	s_lshl_b64 s[10:11], s[8:9], 16
	s_cmp_eq_u64 s[2:3], 0
	s_sub_nc_u64 s[6:7], s[6:7], s[10:11]
	s_cbranch_scc1 .LBB14_12
; %bb.1:
	v_cmp_lt_i64_e64 s2, s[6:7], 1
	s_and_b32 vcc_lo, exec_lo, s2
	s_cbranch_vccnz .LBB14_13
; %bb.2:
	s_load_b32 s2, s[0:1], 0xd4c
	v_min_i64 v[2:3], 0x10000, s[6:7]
	v_dual_mov_b32 v11, 0xfffffbff :: v_dual_mov_b32 v12, 0xfffffbff
	v_dual_mov_b32 v13, 0xfffffbff :: v_dual_mov_b32 v14, 0xfffffbff
	s_mov_b32 s11, 0
	s_mov_b64 s[12:13], 0
	s_wait_kmcnt 0x0
	s_and_b32 s2, s2, 0xffff
	s_delay_alu instid0(SALU_CYCLE_1)
	v_dual_mov_b32 v5, 0 :: v_dual_add_nc_u32 v10, s2, v0
	v_mad_u32 v6, s2, 3, v0
	v_lshl_add_u32 v8, s2, 1, v0
	s_lshl_b32 s10, s2, 2
	s_branch .LBB14_4
.LBB14_3:                               ;   in Loop: Header=BB14_4 Depth=1
	s_or_b32 exec_lo, exec_lo, s3
	s_add_nc_u64 s[12:13], s[12:13], s[10:11]
	s_delay_alu instid0(SALU_CYCLE_1)
	v_cmp_lt_i64_e32 vcc_lo, s[12:13], v[2:3]
	s_cbranch_vccz .LBB14_14
.LBB14_4:                               ; =>This Inner Loop Header: Depth=1
	v_add_nc_u32_e32 v4, s12, v0
	s_delay_alu instid0(VALU_DEP_1) | instskip(SKIP_2) | instid1(SALU_CYCLE_1)
	v_cmp_gt_i64_e32 vcc_lo, s[6:7], v[4:5]
	v_cmp_gt_u32_e64 s2, 0x10000, v4
	s_and_b32 s2, s2, vcc_lo
	s_and_saveexec_b32 s3, s2
	s_cbranch_execz .LBB14_6
; %bb.5:                                ;   in Loop: Header=BB14_4 Depth=1
	v_lshl_add_u64 v[16:17], v[4:5], 1, s[4:5]
	global_load_u16 v1, v[16:17], off
	s_wait_loadcnt 0x0
	v_cmp_u_f16_e32 vcc_lo, v1, v1
	v_cmp_lt_f16_e64 s2, v14, v1
	s_or_b32 vcc_lo, vcc_lo, s2
	v_cndmask_b32_e32 v14, v14, v1, vcc_lo
.LBB14_6:                               ;   in Loop: Header=BB14_4 Depth=1
	s_or_b32 exec_lo, exec_lo, s3
	v_add_nc_u32_e32 v4, s12, v10
	s_delay_alu instid0(VALU_DEP_1) | instskip(SKIP_2) | instid1(SALU_CYCLE_1)
	v_cmp_gt_i64_e32 vcc_lo, s[6:7], v[4:5]
	v_cmp_gt_u32_e64 s2, 0x10000, v4
	s_and_b32 s2, s2, vcc_lo
	s_and_saveexec_b32 s3, s2
	s_cbranch_execz .LBB14_8
; %bb.7:                                ;   in Loop: Header=BB14_4 Depth=1
	v_lshl_add_u64 v[16:17], v[4:5], 1, s[4:5]
	global_load_u16 v1, v[16:17], off
	s_wait_loadcnt 0x0
	v_cmp_u_f16_e32 vcc_lo, v1, v1
	v_cmp_lt_f16_e64 s2, v13, v1
	s_or_b32 vcc_lo, vcc_lo, s2
	v_cndmask_b32_e32 v13, v13, v1, vcc_lo
.LBB14_8:                               ;   in Loop: Header=BB14_4 Depth=1
	s_or_b32 exec_lo, exec_lo, s3
	v_add_nc_u32_e32 v4, s12, v8
	s_delay_alu instid0(VALU_DEP_1) | instskip(SKIP_2) | instid1(SALU_CYCLE_1)
	v_cmp_gt_i64_e32 vcc_lo, s[6:7], v[4:5]
	v_cmp_gt_u32_e64 s2, 0x10000, v4
	s_and_b32 s2, s2, vcc_lo
	s_and_saveexec_b32 s3, s2
	s_cbranch_execz .LBB14_10
; %bb.9:                                ;   in Loop: Header=BB14_4 Depth=1
	v_lshl_add_u64 v[16:17], v[4:5], 1, s[4:5]
	global_load_u16 v1, v[16:17], off
	s_wait_loadcnt 0x0
	v_cmp_u_f16_e32 vcc_lo, v1, v1
	v_cmp_lt_f16_e64 s2, v12, v1
	s_or_b32 vcc_lo, vcc_lo, s2
	v_cndmask_b32_e32 v12, v12, v1, vcc_lo
.LBB14_10:                              ;   in Loop: Header=BB14_4 Depth=1
	s_or_b32 exec_lo, exec_lo, s3
	v_add_nc_u32_e32 v4, s12, v6
	s_delay_alu instid0(VALU_DEP_1) | instskip(SKIP_2) | instid1(SALU_CYCLE_1)
	v_cmp_gt_i64_e32 vcc_lo, s[6:7], v[4:5]
	v_cmp_gt_u32_e64 s2, 0x10000, v4
	s_and_b32 s2, s2, vcc_lo
	s_and_saveexec_b32 s3, s2
	s_cbranch_execz .LBB14_3
; %bb.11:                               ;   in Loop: Header=BB14_4 Depth=1
	v_lshl_add_u64 v[16:17], v[4:5], 1, s[4:5]
	global_load_u16 v1, v[16:17], off
	s_wait_loadcnt 0x0
	v_cmp_u_f16_e32 vcc_lo, v1, v1
	v_cmp_lt_f16_e64 s2, v11, v1
	s_or_b32 vcc_lo, vcc_lo, s2
	v_cndmask_b32_e32 v11, v11, v1, vcc_lo
	s_branch .LBB14_3
.LBB14_12:
                                        ; implicit-def: $vgpr14
                                        ; implicit-def: $vgpr13
                                        ; implicit-def: $vgpr12
                                        ; implicit-def: $vgpr11
	s_branch .LBB14_15
.LBB14_13:
	v_dual_mov_b32 v14, 0xfffffbff :: v_dual_mov_b32 v13, 0xfffffbff
	v_dual_mov_b32 v12, 0xfffffbff :: v_dual_mov_b32 v11, 0xfffffbff
.LBB14_14:
	s_cbranch_execnz .LBB14_20
.LBB14_15:
	v_min_i64 v[2:3], 0x10000, s[6:7]
	v_dual_mov_b32 v5, 0 :: v_dual_lshlrev_b32 v4, 2, v0
	v_dual_mov_b32 v14, 0xfffffbff :: v_dual_mov_b32 v13, 0xfffffbff
	v_dual_mov_b32 v12, 0xfffffbff :: v_dual_mov_b32 v11, 0xfffffbff
	s_mov_b32 s9, exec_lo
	s_delay_alu instid0(VALU_DEP_3)
	v_cmpx_lt_i64_e64 v[4:5], v[2:3]
	s_cbranch_execz .LBB14_19
; %bb.16:
	s_load_b32 s2, s[0:1], 0xd4c
	v_dual_mov_b32 v1, v5 :: v_dual_lshlrev_b32 v4, 3, v0
	v_dual_mov_b32 v11, 0xfffffbff :: v_dual_mov_b32 v12, 0xfffffbff
	v_dual_mov_b32 v13, 0xfffffbff :: v_dual_mov_b32 v14, 0xfffffbff
	s_delay_alu instid0(VALU_DEP_3) | instskip(NEXT) | instid1(VALU_DEP_4)
	v_add_nc_u64_e32 v[4:5], s[4:5], v[4:5]
	v_mov_b64_e32 v[6:7], v[0:1]
	s_mov_b32 s11, 0
	s_delay_alu instid0(SALU_CYCLE_1) | instskip(SKIP_3) | instid1(SALU_CYCLE_1)
	s_mov_b32 s13, s11
	s_mov_b32 s14, s11
	s_wait_kmcnt 0x0
	s_and_b32 s10, s2, 0xffff
	s_lshl_b32 s12, s10, 3
.LBB14_17:                              ; =>This Inner Loop Header: Depth=1
	global_load_b64 v[16:17], v[4:5], off
	v_add_nc_u64_e32 v[6:7], s[10:11], v[6:7]
	s_wait_xcnt 0x0
	v_add_nc_u64_e32 v[4:5], s[12:13], v[4:5]
	s_delay_alu instid0(VALU_DEP_2) | instskip(NEXT) | instid1(VALU_DEP_1)
	v_lshlrev_b64_e32 v[18:19], 2, v[6:7]
	v_cmp_ge_i64_e32 vcc_lo, v[18:19], v[2:3]
	s_wait_loadcnt 0x0
	v_cmp_u_f16_e64 s2, v16, v16
	v_cmp_lt_f16_e64 s3, v14, v16
	v_dual_lshrrev_b32 v1, 16, v16 :: v_dual_lshrrev_b32 v8, 16, v17
	v_cmp_u_f16_e64 s4, v17, v17
	v_cmp_lt_f16_e64 s5, v12, v17
	s_or_b32 s2, s2, s3
	v_cmp_lt_f16_e64 s3, v13, v1
	v_cmp_u_f16_e64 s6, v8, v8
	v_cmp_lt_f16_e64 s7, v11, v8
	s_or_b32 s4, s4, s5
	s_delay_alu instid0(SALU_CYCLE_1) | instskip(SKIP_2) | instid1(SALU_CYCLE_1)
	v_dual_cndmask_b32 v14, v14, v16, s2 :: v_dual_cndmask_b32 v12, v12, v17, s4
	v_cmp_u_f16_e64 s2, v1, v1
	s_or_b32 s2, s2, s3
	v_cndmask_b32_e64 v13, v13, v1, s2
	s_or_b32 s2, s6, s7
	s_or_b32 s14, vcc_lo, s14
	v_cndmask_b32_e64 v11, v11, v8, s2
	s_and_not1_b32 exec_lo, exec_lo, s14
	s_cbranch_execnz .LBB14_17
; %bb.18:
	s_or_b32 exec_lo, exec_lo, s14
.LBB14_19:
	s_delay_alu instid0(SALU_CYCLE_1)
	s_or_b32 exec_lo, exec_lo, s9
.LBB14_20:
	s_delay_alu instid0(VALU_DEP_2)
	v_cmp_u_f16_e32 vcc_lo, v14, v14
	v_cmp_lt_f16_e64 s2, 0xfbff, v14
	v_mbcnt_lo_u32_b32 v5, -1, 0
	s_barrier_signal -1
	s_barrier_wait -1
	s_or_b32 vcc_lo, vcc_lo, s2
	s_delay_alu instid0(VALU_DEP_1) | instskip(SKIP_2) | instid1(VALU_DEP_3)
	v_cmp_gt_u32_e64 s3, 24, v5
	v_cndmask_b32_e32 v1, 0xfffffbff, v14, vcc_lo
	v_cmp_u_f16_e32 vcc_lo, v13, v13
	v_cndmask_b32_e64 v4, 0, 8, s3
	s_delay_alu instid0(VALU_DEP_3)
	v_cmp_lt_f16_e64 s2, v1, v13
	v_cmp_gt_u32_e64 s3, 28, v5
	s_or_b32 vcc_lo, vcc_lo, s2
	v_cndmask_b32_e64 v6, 0, 4, s3
	v_cndmask_b32_e32 v1, v1, v13, vcc_lo
	v_cmp_u_f16_e32 vcc_lo, v12, v12
	v_cmp_gt_u32_e64 s3, 30, v5
	s_delay_alu instid0(VALU_DEP_3) | instskip(NEXT) | instid1(VALU_DEP_2)
	v_cmp_lt_f16_e64 s2, v1, v12
	v_cndmask_b32_e64 v7, 0, 2, s3
	s_mov_b32 s3, exec_lo
	s_or_b32 vcc_lo, vcc_lo, s2
	v_cndmask_b32_e32 v1, v1, v12, vcc_lo
	v_cmp_u_f16_e32 vcc_lo, v11, v11
	s_delay_alu instid0(VALU_DEP_2) | instskip(SKIP_3) | instid1(VALU_DEP_2)
	v_cmp_lt_f16_e64 s2, v1, v11
	s_or_b32 vcc_lo, vcc_lo, s2
	v_cndmask_b32_e32 v2, v1, v11, vcc_lo
	v_lshl_or_b32 v1, v5, 2, 64
	v_and_b32_e32 v3, 0xffff, v2
	ds_bpermute_b32 v3, v1, v3
	s_wait_dscnt 0x0
	v_cmp_u_f16_e32 vcc_lo, v3, v3
	v_cmp_lt_f16_e64 s2, v2, v3
	s_or_b32 vcc_lo, vcc_lo, s2
	v_cndmask_b32_e32 v3, v2, v3, vcc_lo
	v_add_lshl_u32 v2, v4, v5, 2
	s_delay_alu instid0(VALU_DEP_2)
	v_and_b32_e32 v4, 0xffff, v3
	ds_bpermute_b32 v4, v2, v4
	s_wait_dscnt 0x0
	v_cmp_u_f16_e32 vcc_lo, v4, v4
	v_cmp_lt_f16_e64 s2, v3, v4
	s_or_b32 vcc_lo, vcc_lo, s2
	v_cndmask_b32_e32 v4, v3, v4, vcc_lo
	v_add_lshl_u32 v3, v6, v5, 2
	s_delay_alu instid0(VALU_DEP_2)
	;; [unrolled: 9-line block ×3, first 2 shown]
	v_and_b32_e32 v7, 0xffff, v6
	ds_bpermute_b32 v7, v4, v7
	s_wait_dscnt 0x0
	v_cmp_u_f16_e32 vcc_lo, v7, v7
	v_cmp_lt_f16_e64 s2, v6, v7
	s_or_b32 vcc_lo, vcc_lo, s2
	v_cndmask_b32_e32 v6, v6, v7, vcc_lo
	v_cmp_ne_u32_e32 vcc_lo, 31, v5
	v_add_co_ci_u32_e64 v5, null, 0, v5, vcc_lo
	s_delay_alu instid0(VALU_DEP_1) | instskip(NEXT) | instid1(VALU_DEP_4)
	v_lshlrev_b32_e32 v5, 2, v5
	v_and_b32_e32 v7, 0xffff, v6
	ds_bpermute_b32 v8, v5, v7
	v_and_b32_e32 v7, 31, v0
	s_delay_alu instid0(VALU_DEP_1)
	v_cmpx_eq_u32_e32 0, v7
	s_cbranch_execz .LBB14_22
; %bb.21:
	s_wait_dscnt 0x0
	v_cmp_u_f16_e32 vcc_lo, v8, v8
	v_cmp_lt_f16_e64 s2, v6, v8
	v_lshrrev_b32_e32 v10, 4, v0
	s_or_b32 vcc_lo, vcc_lo, s2
	v_cndmask_b32_e32 v6, v6, v8, vcc_lo
	ds_store_b16 v10, v6
.LBB14_22:
	s_or_b32 exec_lo, exec_lo, s3
	s_wait_dscnt 0x0
	s_barrier_signal -1
	s_barrier_wait -1
	s_load_b32 s2, s[0:1], 0xd4c
	v_mov_b32_e32 v6, 0xfffffbff
	s_wait_kmcnt 0x0
	s_bfe_u32 s2, s2, 0xb0005
	s_delay_alu instid0(SALU_CYCLE_1)
	v_cmp_gt_u32_e32 vcc_lo, s2, v0
	s_and_saveexec_b32 s2, vcc_lo
; %bb.23:
	v_lshlrev_b32_e32 v6, 1, v7
	ds_load_u16 v6, v6
; %bb.24:
	s_or_b32 exec_lo, exec_lo, s2
	s_delay_alu instid0(SALU_CYCLE_1)
	s_mov_b32 s3, exec_lo
	v_cmpx_gt_u32_e32 32, v0
	s_cbranch_execz .LBB14_26
; %bb.25:
	s_wait_dscnt 0x0
	v_and_b32_e32 v7, 0xffff, v6
	ds_bpermute_b32 v1, v1, v7
	s_wait_dscnt 0x0
	v_cmp_u_f16_e32 vcc_lo, v1, v1
	v_cmp_lt_f16_e64 s2, v6, v1
	s_or_b32 vcc_lo, vcc_lo, s2
	v_cndmask_b32_e32 v1, v6, v1, vcc_lo
	s_delay_alu instid0(VALU_DEP_1)
	v_and_b32_e32 v6, 0xffff, v1
	ds_bpermute_b32 v2, v2, v6
	s_wait_dscnt 0x0
	v_cmp_u_f16_e32 vcc_lo, v2, v2
	v_cmp_lt_f16_e64 s2, v1, v2
	s_or_b32 vcc_lo, vcc_lo, s2
	v_cndmask_b32_e32 v1, v1, v2, vcc_lo
	s_delay_alu instid0(VALU_DEP_1)
	;; [unrolled: 8-line block ×4, first 2 shown]
	v_and_b32_e32 v2, 0xffff, v1
	ds_bpermute_b32 v2, v5, v2
	s_wait_dscnt 0x0
	v_cmp_u_f16_e32 vcc_lo, v2, v2
	v_cmp_lt_f16_e64 s2, v1, v2
	s_or_b32 vcc_lo, vcc_lo, s2
	v_cndmask_b32_e32 v6, v1, v2, vcc_lo
.LBB14_26:
	s_or_b32 exec_lo, exec_lo, s3
	s_delay_alu instid0(SALU_CYCLE_1)
	s_mov_b32 s2, exec_lo
	v_cmpx_eq_u32_e32 0, v0
	s_cbranch_execz .LBB14_28
; %bb.27:
	s_clause 0x1
	s_load_b32 s2, s[0:1], 0xd20
	s_load_b96 s[4:6], s[0:1], 0xd30
	v_and_b32_e32 v0, 0xff, v9
	s_wait_kmcnt 0x0
	s_delay_alu instid0(VALU_DEP_1) | instskip(NEXT) | instid1(VALU_DEP_1)
	v_add_nc_u32_e32 v0, s2, v0
	v_mul_lo_u32 v0, v0, s6
	s_delay_alu instid0(VALU_DEP_1)
	v_add_nc_u32_e32 v0, s8, v0
	s_wait_dscnt 0x0
	global_store_b16 v0, v6, s[4:5] scale_offset
.LBB14_28:
	s_endpgm
	.section	.rodata,"a",@progbits
	.p2align	6, 0x0
	.amdhsa_kernel _ZN2at6native12_GLOBAL__N_125multi_tensor_apply_kernelINS1_18TensorListMetadataILi1EEENS0_12LpMaxFunctorIN3c104HalfELi1ELi1ELi0EEEJPS7_iEEEvT_T0_DpT1_
		.amdhsa_group_segment_fixed_size 1024
		.amdhsa_private_segment_fixed_size 0
		.amdhsa_kernarg_size 3648
		.amdhsa_user_sgpr_count 2
		.amdhsa_user_sgpr_dispatch_ptr 0
		.amdhsa_user_sgpr_queue_ptr 0
		.amdhsa_user_sgpr_kernarg_segment_ptr 1
		.amdhsa_user_sgpr_dispatch_id 0
		.amdhsa_user_sgpr_kernarg_preload_length 0
		.amdhsa_user_sgpr_kernarg_preload_offset 0
		.amdhsa_user_sgpr_private_segment_size 0
		.amdhsa_wavefront_size32 1
		.amdhsa_uses_dynamic_stack 0
		.amdhsa_enable_private_segment 0
		.amdhsa_system_sgpr_workgroup_id_x 1
		.amdhsa_system_sgpr_workgroup_id_y 0
		.amdhsa_system_sgpr_workgroup_id_z 0
		.amdhsa_system_sgpr_workgroup_info 0
		.amdhsa_system_vgpr_workitem_id 0
		.amdhsa_next_free_vgpr 20
		.amdhsa_next_free_sgpr 15
		.amdhsa_named_barrier_count 0
		.amdhsa_reserve_vcc 1
		.amdhsa_float_round_mode_32 0
		.amdhsa_float_round_mode_16_64 0
		.amdhsa_float_denorm_mode_32 3
		.amdhsa_float_denorm_mode_16_64 3
		.amdhsa_fp16_overflow 0
		.amdhsa_memory_ordered 1
		.amdhsa_forward_progress 1
		.amdhsa_inst_pref_size 15
		.amdhsa_round_robin_scheduling 0
		.amdhsa_exception_fp_ieee_invalid_op 0
		.amdhsa_exception_fp_denorm_src 0
		.amdhsa_exception_fp_ieee_div_zero 0
		.amdhsa_exception_fp_ieee_overflow 0
		.amdhsa_exception_fp_ieee_underflow 0
		.amdhsa_exception_fp_ieee_inexact 0
		.amdhsa_exception_int_div_zero 0
	.end_amdhsa_kernel
	.section	.text._ZN2at6native12_GLOBAL__N_125multi_tensor_apply_kernelINS1_18TensorListMetadataILi1EEENS0_12LpMaxFunctorIN3c104HalfELi1ELi1ELi0EEEJPS7_iEEEvT_T0_DpT1_,"axG",@progbits,_ZN2at6native12_GLOBAL__N_125multi_tensor_apply_kernelINS1_18TensorListMetadataILi1EEENS0_12LpMaxFunctorIN3c104HalfELi1ELi1ELi0EEEJPS7_iEEEvT_T0_DpT1_,comdat
.Lfunc_end14:
	.size	_ZN2at6native12_GLOBAL__N_125multi_tensor_apply_kernelINS1_18TensorListMetadataILi1EEENS0_12LpMaxFunctorIN3c104HalfELi1ELi1ELi0EEEJPS7_iEEEvT_T0_DpT1_, .Lfunc_end14-_ZN2at6native12_GLOBAL__N_125multi_tensor_apply_kernelINS1_18TensorListMetadataILi1EEENS0_12LpMaxFunctorIN3c104HalfELi1ELi1ELi0EEEJPS7_iEEEvT_T0_DpT1_
                                        ; -- End function
	.set _ZN2at6native12_GLOBAL__N_125multi_tensor_apply_kernelINS1_18TensorListMetadataILi1EEENS0_12LpMaxFunctorIN3c104HalfELi1ELi1ELi0EEEJPS7_iEEEvT_T0_DpT1_.num_vgpr, 20
	.set _ZN2at6native12_GLOBAL__N_125multi_tensor_apply_kernelINS1_18TensorListMetadataILi1EEENS0_12LpMaxFunctorIN3c104HalfELi1ELi1ELi0EEEJPS7_iEEEvT_T0_DpT1_.num_agpr, 0
	.set _ZN2at6native12_GLOBAL__N_125multi_tensor_apply_kernelINS1_18TensorListMetadataILi1EEENS0_12LpMaxFunctorIN3c104HalfELi1ELi1ELi0EEEJPS7_iEEEvT_T0_DpT1_.numbered_sgpr, 15
	.set _ZN2at6native12_GLOBAL__N_125multi_tensor_apply_kernelINS1_18TensorListMetadataILi1EEENS0_12LpMaxFunctorIN3c104HalfELi1ELi1ELi0EEEJPS7_iEEEvT_T0_DpT1_.num_named_barrier, 0
	.set _ZN2at6native12_GLOBAL__N_125multi_tensor_apply_kernelINS1_18TensorListMetadataILi1EEENS0_12LpMaxFunctorIN3c104HalfELi1ELi1ELi0EEEJPS7_iEEEvT_T0_DpT1_.private_seg_size, 0
	.set _ZN2at6native12_GLOBAL__N_125multi_tensor_apply_kernelINS1_18TensorListMetadataILi1EEENS0_12LpMaxFunctorIN3c104HalfELi1ELi1ELi0EEEJPS7_iEEEvT_T0_DpT1_.uses_vcc, 1
	.set _ZN2at6native12_GLOBAL__N_125multi_tensor_apply_kernelINS1_18TensorListMetadataILi1EEENS0_12LpMaxFunctorIN3c104HalfELi1ELi1ELi0EEEJPS7_iEEEvT_T0_DpT1_.uses_flat_scratch, 0
	.set _ZN2at6native12_GLOBAL__N_125multi_tensor_apply_kernelINS1_18TensorListMetadataILi1EEENS0_12LpMaxFunctorIN3c104HalfELi1ELi1ELi0EEEJPS7_iEEEvT_T0_DpT1_.has_dyn_sized_stack, 0
	.set _ZN2at6native12_GLOBAL__N_125multi_tensor_apply_kernelINS1_18TensorListMetadataILi1EEENS0_12LpMaxFunctorIN3c104HalfELi1ELi1ELi0EEEJPS7_iEEEvT_T0_DpT1_.has_recursion, 0
	.set _ZN2at6native12_GLOBAL__N_125multi_tensor_apply_kernelINS1_18TensorListMetadataILi1EEENS0_12LpMaxFunctorIN3c104HalfELi1ELi1ELi0EEEJPS7_iEEEvT_T0_DpT1_.has_indirect_call, 0
	.section	.AMDGPU.csdata,"",@progbits
; Kernel info:
; codeLenInByte = 1884
; TotalNumSgprs: 17
; NumVgprs: 20
; ScratchSize: 0
; MemoryBound: 0
; FloatMode: 240
; IeeeMode: 1
; LDSByteSize: 1024 bytes/workgroup (compile time only)
; SGPRBlocks: 0
; VGPRBlocks: 1
; NumSGPRsForWavesPerEU: 17
; NumVGPRsForWavesPerEU: 20
; NamedBarCnt: 0
; Occupancy: 16
; WaveLimiterHint : 0
; COMPUTE_PGM_RSRC2:SCRATCH_EN: 0
; COMPUTE_PGM_RSRC2:USER_SGPR: 2
; COMPUTE_PGM_RSRC2:TRAP_HANDLER: 0
; COMPUTE_PGM_RSRC2:TGID_X_EN: 1
; COMPUTE_PGM_RSRC2:TGID_Y_EN: 0
; COMPUTE_PGM_RSRC2:TGID_Z_EN: 0
; COMPUTE_PGM_RSRC2:TIDIG_COMP_CNT: 0
	.section	.text._ZN2at6native13lpmax_cleanupIN3c104HalfEEEvPKT_NS0_19TensorListAddressesEi,"axG",@progbits,_ZN2at6native13lpmax_cleanupIN3c104HalfEEEvPKT_NS0_19TensorListAddressesEi,comdat
	.protected	_ZN2at6native13lpmax_cleanupIN3c104HalfEEEvPKT_NS0_19TensorListAddressesEi ; -- Begin function _ZN2at6native13lpmax_cleanupIN3c104HalfEEEvPKT_NS0_19TensorListAddressesEi
	.globl	_ZN2at6native13lpmax_cleanupIN3c104HalfEEEvPKT_NS0_19TensorListAddressesEi
	.p2align	8
	.type	_ZN2at6native13lpmax_cleanupIN3c104HalfEEEvPKT_NS0_19TensorListAddressesEi,@function
_ZN2at6native13lpmax_cleanupIN3c104HalfEEEvPKT_NS0_19TensorListAddressesEi: ; @_ZN2at6native13lpmax_cleanupIN3c104HalfEEEvPKT_NS0_19TensorListAddressesEi
; %bb.0:
	s_load_b32 s4, s[0:1], 0xc88
	s_bfe_u32 s2, ttmp6, 0x4000c
	s_and_b32 s3, ttmp6, 15
	s_add_co_i32 s2, s2, 1
	s_getreg_b32 s5, hwreg(HW_REG_IB_STS2, 6, 4)
	s_mul_i32 s2, ttmp9, s2
	v_mov_b32_e32 v6, 0xfffffbff
	s_add_co_i32 s3, s3, s2
	s_cmp_eq_u32 s5, 0
	s_mov_b32 s7, 0
	s_cselect_b32 s10, ttmp9, s3
	s_mov_b32 s11, exec_lo
	s_wait_kmcnt 0x0
	v_cmpx_gt_u32_e64 s4, v0
	s_cbranch_execz .LBB15_4
; %bb.1:
	s_clause 0x1
	s_load_b64 s[2:3], s[0:1], 0x0
	s_load_b32 s6, s[0:1], 0xc9c
	v_dual_mov_b32 v1, 0 :: v_dual_lshlrev_b32 v2, 1, v0
	s_mul_i32 s8, s4, s10
	s_mov_b32 s9, s7
	s_delay_alu instid0(VALU_DEP_1)
	v_dual_mov_b32 v6, 0xfffffbff :: v_dual_mov_b32 v3, v1
	s_lshl_b64 s[8:9], s[8:9], 1
	v_mov_b64_e32 v[4:5], v[0:1]
	s_ashr_i32 s5, s4, 31
	s_mov_b32 s12, s7
	s_wait_kmcnt 0x0
	s_add_nc_u64 s[2:3], s[2:3], s[8:9]
	s_and_b32 s6, s6, 0xffff
	v_add_nc_u64_e32 v[2:3], s[2:3], v[2:3]
	s_lshl_b32 s8, s6, 1
	s_mov_b32 s9, s7
.LBB15_2:                               ; =>This Inner Loop Header: Depth=1
	global_load_u16 v1, v[2:3], off
	v_add_nc_u64_e32 v[4:5], s[6:7], v[4:5]
	s_wait_xcnt 0x0
	v_add_nc_u64_e32 v[2:3], s[8:9], v[2:3]
	s_delay_alu instid0(VALU_DEP_2)
	v_cmp_le_u64_e32 vcc_lo, s[4:5], v[4:5]
	s_wait_loadcnt 0x0
	v_cmp_u_f16_e64 s2, v1, v1
	v_cmp_lt_f16_e64 s3, v6, v1
	s_or_b32 s2, s2, s3
	s_or_b32 s12, vcc_lo, s12
	v_cndmask_b32_e64 v6, v6, v1, s2
	s_and_not1_b32 exec_lo, exec_lo, s12
	s_cbranch_execnz .LBB15_2
; %bb.3:
	s_or_b32 exec_lo, exec_lo, s12
.LBB15_4:
	s_delay_alu instid0(SALU_CYCLE_1) | instskip(SKIP_4) | instid1(VALU_DEP_2)
	s_or_b32 exec_lo, exec_lo, s11
	v_mbcnt_lo_u32_b32 v5, -1, 0
	v_and_b32_e32 v2, 0xffff, v6
	s_barrier_signal -1
	s_barrier_wait -1
	v_lshl_or_b32 v1, v5, 2, 64
	v_cmp_gt_u32_e64 s3, 24, v5
	ds_bpermute_b32 v2, v1, v2
	v_cndmask_b32_e64 v3, 0, 8, s3
	v_cmp_gt_u32_e64 s3, 28, v5
	s_wait_dscnt 0x0
	v_cmp_u_f16_e32 vcc_lo, v2, v2
	v_cmp_lt_f16_e64 s2, v6, v2
	s_or_b32 vcc_lo, vcc_lo, s2
	v_cndmask_b32_e32 v4, v6, v2, vcc_lo
	v_add_lshl_u32 v2, v3, v5, 2
	v_cndmask_b32_e64 v6, 0, 4, s3
	v_cmp_gt_u32_e64 s3, 30, v5
	s_delay_alu instid0(VALU_DEP_4) | instskip(NEXT) | instid1(VALU_DEP_2)
	v_and_b32_e32 v3, 0xffff, v4
	v_cndmask_b32_e64 v7, 0, 2, s3
	s_mov_b32 s3, exec_lo
	ds_bpermute_b32 v3, v2, v3
	s_wait_dscnt 0x0
	v_cmp_u_f16_e32 vcc_lo, v3, v3
	v_cmp_lt_f16_e64 s2, v4, v3
	s_or_b32 vcc_lo, vcc_lo, s2
	v_cndmask_b32_e32 v4, v4, v3, vcc_lo
	v_add_lshl_u32 v3, v6, v5, 2
	s_delay_alu instid0(VALU_DEP_2)
	v_and_b32_e32 v6, 0xffff, v4
	ds_bpermute_b32 v6, v3, v6
	s_wait_dscnt 0x0
	v_cmp_u_f16_e32 vcc_lo, v6, v6
	v_cmp_lt_f16_e64 s2, v4, v6
	s_or_b32 vcc_lo, vcc_lo, s2
	v_cndmask_b32_e32 v6, v4, v6, vcc_lo
	v_add_lshl_u32 v4, v7, v5, 2
	s_delay_alu instid0(VALU_DEP_2)
	v_and_b32_e32 v7, 0xffff, v6
	ds_bpermute_b32 v7, v4, v7
	s_wait_dscnt 0x0
	v_cmp_u_f16_e32 vcc_lo, v7, v7
	v_cmp_lt_f16_e64 s2, v6, v7
	s_or_b32 vcc_lo, vcc_lo, s2
	v_cndmask_b32_e32 v7, v6, v7, vcc_lo
	v_cmp_ne_u32_e32 vcc_lo, 31, v5
	s_delay_alu instid0(VALU_DEP_2) | instskip(SKIP_1) | instid1(VALU_DEP_1)
	v_and_b32_e32 v6, 0xffff, v7
	v_add_co_ci_u32_e64 v5, null, 0, v5, vcc_lo
	v_lshlrev_b32_e32 v5, 2, v5
	ds_bpermute_b32 v8, v5, v6
	v_and_b32_e32 v6, 31, v0
	s_delay_alu instid0(VALU_DEP_1)
	v_cmpx_eq_u32_e32 0, v6
	s_cbranch_execz .LBB15_6
; %bb.5:
	s_wait_dscnt 0x0
	v_cmp_u_f16_e32 vcc_lo, v8, v8
	v_cmp_lt_f16_e64 s2, v7, v8
	v_lshrrev_b32_e32 v9, 4, v0
	s_or_b32 vcc_lo, vcc_lo, s2
	v_cndmask_b32_e32 v7, v7, v8, vcc_lo
	ds_store_b16 v9, v7
.LBB15_6:
	s_or_b32 exec_lo, exec_lo, s3
	s_wait_dscnt 0x0
	s_barrier_signal -1
	s_barrier_wait -1
	s_load_b32 s2, s[0:1], 0xc9c
	v_mov_b32_e32 v7, 0xfffffbff
	s_wait_kmcnt 0x0
	s_bfe_u32 s2, s2, 0xb0005
	s_delay_alu instid0(SALU_CYCLE_1)
	v_cmp_gt_u32_e32 vcc_lo, s2, v0
	s_and_saveexec_b32 s2, vcc_lo
; %bb.7:
	v_lshlrev_b32_e32 v6, 1, v6
	ds_load_u16 v7, v6
; %bb.8:
	s_or_b32 exec_lo, exec_lo, s2
	s_delay_alu instid0(SALU_CYCLE_1)
	s_mov_b32 s3, exec_lo
	v_cmpx_gt_u32_e32 32, v0
	s_cbranch_execz .LBB15_10
; %bb.9:
	s_wait_dscnt 0x0
	v_and_b32_e32 v6, 0xffff, v7
	ds_bpermute_b32 v1, v1, v6
	s_wait_dscnt 0x0
	v_cmp_u_f16_e32 vcc_lo, v1, v1
	v_cmp_lt_f16_e64 s2, v7, v1
	s_or_b32 vcc_lo, vcc_lo, s2
	v_cndmask_b32_e32 v1, v7, v1, vcc_lo
	s_delay_alu instid0(VALU_DEP_1)
	v_and_b32_e32 v6, 0xffff, v1
	ds_bpermute_b32 v2, v2, v6
	s_wait_dscnt 0x0
	v_cmp_u_f16_e32 vcc_lo, v2, v2
	v_cmp_lt_f16_e64 s2, v1, v2
	s_or_b32 vcc_lo, vcc_lo, s2
	v_cndmask_b32_e32 v1, v1, v2, vcc_lo
	s_delay_alu instid0(VALU_DEP_1)
	;; [unrolled: 8-line block ×4, first 2 shown]
	v_and_b32_e32 v2, 0xffff, v1
	ds_bpermute_b32 v2, v5, v2
	s_wait_dscnt 0x0
	v_cmp_u_f16_e32 vcc_lo, v2, v2
	v_cmp_lt_f16_e64 s2, v1, v2
	s_or_b32 vcc_lo, vcc_lo, s2
	v_cndmask_b32_e32 v7, v1, v2, vcc_lo
.LBB15_10:
	s_or_b32 exec_lo, exec_lo, s3
	s_delay_alu instid0(SALU_CYCLE_1)
	s_mov_b32 s2, exec_lo
	v_cmpx_eq_u32_e32 0, v0
	s_cbranch_execz .LBB15_12
; %bb.11:
	s_load_b64 s[0:1], s[0:1], s10 offset:0x8 scale_offset
	v_mov_b32_e32 v0, 0
	s_wait_dscnt 0x0
	s_wait_kmcnt 0x0
	global_store_b16 v0, v7, s[0:1]
.LBB15_12:
	s_endpgm
	.section	.rodata,"a",@progbits
	.p2align	6, 0x0
	.amdhsa_kernel _ZN2at6native13lpmax_cleanupIN3c104HalfEEEvPKT_NS0_19TensorListAddressesEi
		.amdhsa_group_segment_fixed_size 1024
		.amdhsa_private_segment_fixed_size 0
		.amdhsa_kernarg_size 3472
		.amdhsa_user_sgpr_count 2
		.amdhsa_user_sgpr_dispatch_ptr 0
		.amdhsa_user_sgpr_queue_ptr 0
		.amdhsa_user_sgpr_kernarg_segment_ptr 1
		.amdhsa_user_sgpr_dispatch_id 0
		.amdhsa_user_sgpr_kernarg_preload_length 0
		.amdhsa_user_sgpr_kernarg_preload_offset 0
		.amdhsa_user_sgpr_private_segment_size 0
		.amdhsa_wavefront_size32 1
		.amdhsa_uses_dynamic_stack 0
		.amdhsa_enable_private_segment 0
		.amdhsa_system_sgpr_workgroup_id_x 1
		.amdhsa_system_sgpr_workgroup_id_y 0
		.amdhsa_system_sgpr_workgroup_id_z 0
		.amdhsa_system_sgpr_workgroup_info 0
		.amdhsa_system_vgpr_workitem_id 0
		.amdhsa_next_free_vgpr 10
		.amdhsa_next_free_sgpr 13
		.amdhsa_named_barrier_count 0
		.amdhsa_reserve_vcc 1
		.amdhsa_float_round_mode_32 0
		.amdhsa_float_round_mode_16_64 0
		.amdhsa_float_denorm_mode_32 3
		.amdhsa_float_denorm_mode_16_64 3
		.amdhsa_fp16_overflow 0
		.amdhsa_memory_ordered 1
		.amdhsa_forward_progress 1
		.amdhsa_inst_pref_size 8
		.amdhsa_round_robin_scheduling 0
		.amdhsa_exception_fp_ieee_invalid_op 0
		.amdhsa_exception_fp_denorm_src 0
		.amdhsa_exception_fp_ieee_div_zero 0
		.amdhsa_exception_fp_ieee_overflow 0
		.amdhsa_exception_fp_ieee_underflow 0
		.amdhsa_exception_fp_ieee_inexact 0
		.amdhsa_exception_int_div_zero 0
	.end_amdhsa_kernel
	.section	.text._ZN2at6native13lpmax_cleanupIN3c104HalfEEEvPKT_NS0_19TensorListAddressesEi,"axG",@progbits,_ZN2at6native13lpmax_cleanupIN3c104HalfEEEvPKT_NS0_19TensorListAddressesEi,comdat
.Lfunc_end15:
	.size	_ZN2at6native13lpmax_cleanupIN3c104HalfEEEvPKT_NS0_19TensorListAddressesEi, .Lfunc_end15-_ZN2at6native13lpmax_cleanupIN3c104HalfEEEvPKT_NS0_19TensorListAddressesEi
                                        ; -- End function
	.set _ZN2at6native13lpmax_cleanupIN3c104HalfEEEvPKT_NS0_19TensorListAddressesEi.num_vgpr, 10
	.set _ZN2at6native13lpmax_cleanupIN3c104HalfEEEvPKT_NS0_19TensorListAddressesEi.num_agpr, 0
	.set _ZN2at6native13lpmax_cleanupIN3c104HalfEEEvPKT_NS0_19TensorListAddressesEi.numbered_sgpr, 13
	.set _ZN2at6native13lpmax_cleanupIN3c104HalfEEEvPKT_NS0_19TensorListAddressesEi.num_named_barrier, 0
	.set _ZN2at6native13lpmax_cleanupIN3c104HalfEEEvPKT_NS0_19TensorListAddressesEi.private_seg_size, 0
	.set _ZN2at6native13lpmax_cleanupIN3c104HalfEEEvPKT_NS0_19TensorListAddressesEi.uses_vcc, 1
	.set _ZN2at6native13lpmax_cleanupIN3c104HalfEEEvPKT_NS0_19TensorListAddressesEi.uses_flat_scratch, 0
	.set _ZN2at6native13lpmax_cleanupIN3c104HalfEEEvPKT_NS0_19TensorListAddressesEi.has_dyn_sized_stack, 0
	.set _ZN2at6native13lpmax_cleanupIN3c104HalfEEEvPKT_NS0_19TensorListAddressesEi.has_recursion, 0
	.set _ZN2at6native13lpmax_cleanupIN3c104HalfEEEvPKT_NS0_19TensorListAddressesEi.has_indirect_call, 0
	.section	.AMDGPU.csdata,"",@progbits
; Kernel info:
; codeLenInByte = 984
; TotalNumSgprs: 15
; NumVgprs: 10
; ScratchSize: 0
; MemoryBound: 0
; FloatMode: 240
; IeeeMode: 1
; LDSByteSize: 1024 bytes/workgroup (compile time only)
; SGPRBlocks: 0
; VGPRBlocks: 0
; NumSGPRsForWavesPerEU: 15
; NumVGPRsForWavesPerEU: 10
; NamedBarCnt: 0
; Occupancy: 16
; WaveLimiterHint : 0
; COMPUTE_PGM_RSRC2:SCRATCH_EN: 0
; COMPUTE_PGM_RSRC2:USER_SGPR: 2
; COMPUTE_PGM_RSRC2:TRAP_HANDLER: 0
; COMPUTE_PGM_RSRC2:TGID_X_EN: 1
; COMPUTE_PGM_RSRC2:TGID_Y_EN: 0
; COMPUTE_PGM_RSRC2:TGID_Z_EN: 0
; COMPUTE_PGM_RSRC2:TIDIG_COMP_CNT: 0
	.section	.text._ZN2at6native12_GLOBAL__N_125multi_tensor_apply_kernelINS1_18TensorListMetadataILi1EEENS0_12LpMaxFunctorIN3c108BFloat16ELi1ELi1ELi0EEEJPS7_iEEEvT_T0_DpT1_,"axG",@progbits,_ZN2at6native12_GLOBAL__N_125multi_tensor_apply_kernelINS1_18TensorListMetadataILi1EEENS0_12LpMaxFunctorIN3c108BFloat16ELi1ELi1ELi0EEEJPS7_iEEEvT_T0_DpT1_,comdat
	.globl	_ZN2at6native12_GLOBAL__N_125multi_tensor_apply_kernelINS1_18TensorListMetadataILi1EEENS0_12LpMaxFunctorIN3c108BFloat16ELi1ELi1ELi0EEEJPS7_iEEEvT_T0_DpT1_ ; -- Begin function _ZN2at6native12_GLOBAL__N_125multi_tensor_apply_kernelINS1_18TensorListMetadataILi1EEENS0_12LpMaxFunctorIN3c108BFloat16ELi1ELi1ELi0EEEJPS7_iEEEvT_T0_DpT1_
	.p2align	8
	.type	_ZN2at6native12_GLOBAL__N_125multi_tensor_apply_kernelINS1_18TensorListMetadataILi1EEENS0_12LpMaxFunctorIN3c108BFloat16ELi1ELi1ELi0EEEJPS7_iEEEvT_T0_DpT1_,@function
_ZN2at6native12_GLOBAL__N_125multi_tensor_apply_kernelINS1_18TensorListMetadataILi1EEENS0_12LpMaxFunctorIN3c108BFloat16ELi1ELi1ELi0EEEJPS7_iEEEvT_T0_DpT1_: ; @_ZN2at6native12_GLOBAL__N_125multi_tensor_apply_kernelINS1_18TensorListMetadataILi1EEENS0_12LpMaxFunctorIN3c108BFloat16ELi1ELi1ELi0EEEJPS7_iEEEvT_T0_DpT1_
; %bb.0:
	s_bfe_u32 s2, ttmp6, 0x4000c
	s_and_b32 s3, ttmp6, 15
	s_add_co_i32 s2, s2, 1
	s_getreg_b32 s4, hwreg(HW_REG_IB_STS2, 6, 4)
	s_mul_i32 s2, ttmp9, s2
	s_delay_alu instid0(SALU_CYCLE_1)
	s_add_co_i32 s3, s3, s2
	s_cmp_eq_u32 s4, 0
	s_cselect_b32 s2, ttmp9, s3
	s_mov_b32 s3, 0
	v_mov_b32_e32 v1, s2
	s_add_nc_u64 s[4:5], s[0:1], s[2:3]
	s_mul_u64 s[6:7], s[2:3], 3
	s_delay_alu instid0(SALU_CYCLE_1) | instskip(SKIP_4) | instid1(SALU_CYCLE_1)
	s_add_nc_u64 s[4:5], s[4:5], s[6:7]
	global_load_u8 v9, v1, s[0:1] offset:1760
	s_load_b32 s10, s[4:5], 0x820
	s_wait_kmcnt 0x0
	s_ashr_i32 s11, s10, 31
	s_lshl_b64 s[8:9], s[10:11], 17
	s_wait_loadcnt 0x0
	v_readfirstlane_b32 s2, v9
	s_and_b32 s2, s2, 0xff
	s_clause 0x1
	s_load_b64 s[4:5], s[0:1], s2 offset:0x0 scale_offset
	s_load_b64 s[6:7], s[0:1], s2 offset:0x370 scale_offset
	s_wait_kmcnt 0x0
	s_add_nc_u64 s[4:5], s[4:5], s[8:9]
	s_and_b32 s2, s6, 3
	s_and_b64 s[8:9], s[4:5], 7
	s_delay_alu instid0(SALU_CYCLE_1)
	s_or_b64 s[2:3], s[2:3], s[8:9]
	s_lshl_b64 s[8:9], s[10:11], 16
	s_cmp_eq_u64 s[2:3], 0
	s_sub_nc_u64 s[6:7], s[6:7], s[8:9]
	s_cbranch_scc1 .LBB16_12
; %bb.1:
	v_cmp_lt_i64_e64 s2, s[6:7], 1
	s_and_b32 vcc_lo, exec_lo, s2
	s_cbranch_vccnz .LBB16_14
; %bb.2:
	s_load_b32 s2, s[0:1], 0xd4c
	v_min_i64 v[2:3], 0x10000, s[6:7]
	v_dual_mov_b32 v1, 0xffffff7f :: v_dual_mov_b32 v12, 0xffffff7f
	v_mov_b32_e32 v7, 0xffffff7f
	v_mov_b32_e32 v11, 0xffffff7f
	s_mov_b32 s9, 0
	s_mov_b64 s[12:13], 0
	s_wait_kmcnt 0x0
	s_and_b32 s2, s2, 0xffff
	s_delay_alu instid0(SALU_CYCLE_1)
	v_dual_mov_b32 v5, 0 :: v_dual_add_nc_u32 v10, s2, v0
	v_mad_u32 v6, s2, 3, v0
	v_lshl_add_u32 v8, s2, 1, v0
	s_lshl_b32 s8, s2, 2
	s_branch .LBB16_4
.LBB16_3:                               ;   in Loop: Header=BB16_4 Depth=1
	s_or_b32 exec_lo, exec_lo, s3
	s_add_nc_u64 s[12:13], s[12:13], s[8:9]
	s_delay_alu instid0(SALU_CYCLE_1)
	v_cmp_lt_i64_e32 vcc_lo, s[12:13], v[2:3]
	s_cbranch_vccz .LBB16_13
.LBB16_4:                               ; =>This Inner Loop Header: Depth=1
	v_add_nc_u32_e32 v4, s12, v0
	s_delay_alu instid0(VALU_DEP_1) | instskip(SKIP_2) | instid1(SALU_CYCLE_1)
	v_cmp_gt_i64_e32 vcc_lo, s[6:7], v[4:5]
	v_cmp_gt_u32_e64 s2, 0x10000, v4
	s_and_b32 s2, s2, vcc_lo
	s_and_saveexec_b32 s3, s2
	s_cbranch_execz .LBB16_6
; %bb.5:                                ;   in Loop: Header=BB16_4 Depth=1
	v_lshl_add_u64 v[14:15], v[4:5], 1, s[4:5]
	global_load_u16 v4, v[14:15], off
	s_wait_xcnt 0x0
	v_lshlrev_b32_e32 v14, 16, v12
	s_wait_loadcnt 0x0
	v_lshlrev_b32_e32 v13, 16, v4
	s_delay_alu instid0(VALU_DEP_1) | instskip(NEXT) | instid1(VALU_DEP_3)
	v_cmp_u_f32_e32 vcc_lo, v13, v13
	v_cmp_lt_f32_e64 s2, v14, v13
	s_or_b32 vcc_lo, vcc_lo, s2
	v_cndmask_b32_e32 v12, v12, v4, vcc_lo
.LBB16_6:                               ;   in Loop: Header=BB16_4 Depth=1
	s_or_b32 exec_lo, exec_lo, s3
	v_add_nc_u32_e32 v4, s12, v10
	s_delay_alu instid0(VALU_DEP_1) | instskip(SKIP_2) | instid1(SALU_CYCLE_1)
	v_cmp_gt_i64_e32 vcc_lo, s[6:7], v[4:5]
	v_cmp_gt_u32_e64 s2, 0x10000, v4
	s_and_b32 s2, s2, vcc_lo
	s_and_saveexec_b32 s3, s2
	s_cbranch_execz .LBB16_8
; %bb.7:                                ;   in Loop: Header=BB16_4 Depth=1
	v_lshl_add_u64 v[14:15], v[4:5], 1, s[4:5]
	global_load_u16 v4, v[14:15], off
	s_wait_loadcnt 0x0
	v_dual_lshlrev_b32 v14, 16, v11 :: v_dual_lshlrev_b32 v13, 16, v4
	s_delay_alu instid0(VALU_DEP_1) | instskip(NEXT) | instid1(VALU_DEP_2)
	v_cmp_u_f32_e32 vcc_lo, v13, v13
	v_cmp_lt_f32_e64 s2, v14, v13
	s_or_b32 vcc_lo, vcc_lo, s2
	v_cndmask_b32_e32 v11, v11, v4, vcc_lo
.LBB16_8:                               ;   in Loop: Header=BB16_4 Depth=1
	s_or_b32 exec_lo, exec_lo, s3
	v_add_nc_u32_e32 v4, s12, v8
	s_delay_alu instid0(VALU_DEP_1) | instskip(SKIP_2) | instid1(SALU_CYCLE_1)
	v_cmp_gt_i64_e32 vcc_lo, s[6:7], v[4:5]
	v_cmp_gt_u32_e64 s2, 0x10000, v4
	s_and_b32 s2, s2, vcc_lo
	s_and_saveexec_b32 s3, s2
	s_cbranch_execz .LBB16_10
; %bb.9:                                ;   in Loop: Header=BB16_4 Depth=1
	v_lshl_add_u64 v[14:15], v[4:5], 1, s[4:5]
	global_load_u16 v4, v[14:15], off
	s_wait_loadcnt 0x0
	v_dual_lshlrev_b32 v14, 16, v7 :: v_dual_lshlrev_b32 v13, 16, v4
	s_delay_alu instid0(VALU_DEP_1) | instskip(NEXT) | instid1(VALU_DEP_2)
	v_cmp_u_f32_e32 vcc_lo, v13, v13
	v_cmp_lt_f32_e64 s2, v14, v13
	s_or_b32 vcc_lo, vcc_lo, s2
	v_cndmask_b32_e32 v7, v7, v4, vcc_lo
.LBB16_10:                              ;   in Loop: Header=BB16_4 Depth=1
	s_or_b32 exec_lo, exec_lo, s3
	v_add_nc_u32_e32 v4, s12, v6
	s_delay_alu instid0(VALU_DEP_1) | instskip(SKIP_2) | instid1(SALU_CYCLE_1)
	v_cmp_gt_i64_e32 vcc_lo, s[6:7], v[4:5]
	v_cmp_gt_u32_e64 s2, 0x10000, v4
	s_and_b32 s2, s2, vcc_lo
	s_and_saveexec_b32 s3, s2
	s_cbranch_execz .LBB16_3
; %bb.11:                               ;   in Loop: Header=BB16_4 Depth=1
	v_lshl_add_u64 v[14:15], v[4:5], 1, s[4:5]
	global_load_u16 v4, v[14:15], off
	s_wait_loadcnt 0x0
	v_dual_lshlrev_b32 v14, 16, v1 :: v_dual_lshlrev_b32 v13, 16, v4
	s_delay_alu instid0(VALU_DEP_1) | instskip(NEXT) | instid1(VALU_DEP_2)
	v_cmp_u_f32_e32 vcc_lo, v13, v13
	v_cmp_lt_f32_e64 s2, v14, v13
	s_or_b32 vcc_lo, vcc_lo, s2
	v_cndmask_b32_e32 v1, v1, v4, vcc_lo
	s_branch .LBB16_3
.LBB16_12:
                                        ; implicit-def: $vgpr10
                                        ; implicit-def: $vgpr8
	s_branch .LBB16_15
.LBB16_13:
	v_perm_b32 v10, v12, v11, 0x5040100
	v_perm_b32 v8, v7, v1, 0x5040100
	s_cbranch_execz .LBB16_15
	s_branch .LBB16_20
.LBB16_14:
	v_mov_b32_e32 v10, 0xff7fff7f
	v_mov_b32_e32 v8, 0xff7fff7f
	s_cbranch_execnz .LBB16_20
.LBB16_15:
	v_min_i64 v[2:3], 0x10000, s[6:7]
	v_dual_mov_b32 v5, 0 :: v_dual_lshlrev_b32 v4, 2, v0
	v_mov_b32_e32 v10, 0xff7fff7f
	v_mov_b32_e32 v8, 0xff7fff7f
	s_mov_b32 s11, exec_lo
	s_delay_alu instid0(VALU_DEP_3)
	v_cmpx_lt_i64_e64 v[4:5], v[2:3]
	s_cbranch_execz .LBB16_19
; %bb.16:
	s_load_b32 s2, s[0:1], 0xd4c
	v_dual_mov_b32 v1, v5 :: v_dual_lshlrev_b32 v4, 3, v0
	v_mov_b32_e32 v8, 0xff7fff7f
	v_mov_b32_e32 v10, 0xff7fff7f
	s_mov_b32 s13, 0
	s_delay_alu instid0(VALU_DEP_3)
	v_add_nc_u64_e32 v[4:5], s[4:5], v[4:5]
	v_mov_b64_e32 v[6:7], v[0:1]
	s_mov_b32 s15, s13
	s_mov_b32 s16, s13
	s_wait_kmcnt 0x0
	s_and_b32 s12, s2, 0xffff
	s_delay_alu instid0(SALU_CYCLE_1)
	s_lshl_b32 s14, s12, 3
.LBB16_17:                              ; =>This Inner Loop Header: Depth=1
	global_load_b64 v[12:13], v[4:5], off
	v_add_nc_u64_e32 v[6:7], s[12:13], v[6:7]
	v_dual_lshlrev_b32 v11, 16, v10 :: v_dual_lshrrev_b32 v16, 16, v10
	v_and_b32_e32 v1, 0xffff0000, v10
	v_dual_lshlrev_b32 v18, 16, v8 :: v_dual_lshrrev_b32 v19, 16, v8
	v_and_b32_e32 v17, 0xffff0000, v8
	v_lshlrev_b64_e32 v[14:15], 2, v[6:7]
	s_wait_xcnt 0x0
	v_add_nc_u64_e32 v[4:5], s[14:15], v[4:5]
	s_delay_alu instid0(VALU_DEP_2)
	v_cmp_ge_i64_e32 vcc_lo, v[14:15], v[2:3]
	s_wait_loadcnt 0x0
	v_and_b32_e32 v15, 0xffff0000, v12
	v_dual_lshrrev_b32 v14, 16, v12 :: v_dual_lshlrev_b32 v20, 16, v12
	v_and_b32_e32 v23, 0xffff0000, v13
	v_dual_lshrrev_b32 v21, 16, v13 :: v_dual_lshlrev_b32 v22, 16, v13
	s_delay_alu instid0(VALU_DEP_4)
	v_cmp_u_f32_e64 s2, v15, v15
	v_cmp_lt_f32_e64 s5, v11, v15
	v_cmp_u_f32_e64 s3, v20, v20
	v_cmp_lt_f32_e64 s4, v1, v20
	;; [unrolled: 2-line block ×3, first 2 shown]
	s_or_b32 s2, s2, s5
	v_cmp_u_f32_e64 s7, v22, v22
	v_cmp_lt_f32_e64 s8, v17, v22
	v_cndmask_b32_e64 v1, v10, v14, s2
	s_or_b32 s2, s3, s4
	s_delay_alu instid0(SALU_CYCLE_1) | instskip(SKIP_1) | instid1(SALU_CYCLE_1)
	v_cndmask_b32_e64 v10, v16, v12, s2
	s_or_b32 s2, s6, s9
	v_cndmask_b32_e64 v8, v8, v21, s2
	s_or_b32 s2, s7, s8
	s_delay_alu instid0(VALU_DEP_2) | instskip(SKIP_2) | instid1(VALU_DEP_1)
	v_perm_b32 v10, v10, v1, 0x5040100
	v_cndmask_b32_e64 v11, v19, v13, s2
	s_or_b32 s16, vcc_lo, s16
	v_perm_b32 v8, v11, v8, 0x5040100
	s_and_not1_b32 exec_lo, exec_lo, s16
	s_cbranch_execnz .LBB16_17
; %bb.18:
	s_or_b32 exec_lo, exec_lo, s16
.LBB16_19:
	s_delay_alu instid0(SALU_CYCLE_1)
	s_or_b32 exec_lo, exec_lo, s11
.LBB16_20:
	s_delay_alu instid0(VALU_DEP_2) | instskip(SKIP_3) | instid1(VALU_DEP_2)
	v_and_b32_e32 v1, 0xffff0000, v10
	v_mbcnt_lo_u32_b32 v5, -1, 0
	s_barrier_signal -1
	s_barrier_wait -1
	v_cmp_lt_f32_e32 vcc_lo, 0xff7f0000, v1
	v_cmp_u_f32_e64 s2, v1, v1
	v_dual_lshrrev_b32 v1, 16, v10 :: v_dual_lshlrev_b32 v2, 16, v10
	v_cmp_gt_u32_e64 s3, 24, v5
	s_or_b32 vcc_lo, s2, vcc_lo
	v_cndmask_b32_e32 v1, 0xffffff7f, v1, vcc_lo
	v_cmp_u_f32_e32 vcc_lo, v2, v2
	s_delay_alu instid0(VALU_DEP_2) | instskip(NEXT) | instid1(VALU_DEP_1)
	v_lshlrev_b32_e32 v3, 16, v1
	v_cmp_gt_f32_e64 s2, v2, v3
	v_and_b32_e32 v2, 0xffff0000, v8
	s_or_b32 vcc_lo, vcc_lo, s2
	v_cndmask_b32_e32 v1, v1, v10, vcc_lo
	s_delay_alu instid0(VALU_DEP_2) | instskip(NEXT) | instid1(VALU_DEP_2)
	v_cmp_u_f32_e32 vcc_lo, v2, v2
	v_lshlrev_b32_e32 v3, 16, v1
	s_delay_alu instid0(VALU_DEP_1) | instskip(SKIP_2) | instid1(VALU_DEP_1)
	v_cmp_gt_f32_e64 s2, v2, v3
	v_lshrrev_b32_e32 v2, 16, v8
	s_or_b32 vcc_lo, vcc_lo, s2
	v_dual_cndmask_b32 v1, v1, v2 :: v_dual_lshlrev_b32 v2, 16, v8
	s_delay_alu instid0(VALU_DEP_1) | instskip(NEXT) | instid1(VALU_DEP_2)
	v_lshlrev_b32_e32 v3, 16, v1
	v_cmp_u_f32_e32 vcc_lo, v2, v2
	s_delay_alu instid0(VALU_DEP_2) | instskip(SKIP_3) | instid1(VALU_DEP_2)
	v_cmp_gt_f32_e64 s2, v2, v3
	s_or_b32 vcc_lo, vcc_lo, s2
	v_cndmask_b32_e32 v2, v1, v8, vcc_lo
	v_lshl_or_b32 v1, v5, 2, 64
	v_lshlrev_b32_e32 v3, 16, v2
	ds_bpermute_b32 v4, v1, v3
	s_wait_dscnt 0x0
	v_bfe_u32 v6, v4, 16, 1
	v_cmp_o_f32_e32 vcc_lo, v4, v4
	s_delay_alu instid0(VALU_DEP_2) | instskip(NEXT) | instid1(VALU_DEP_1)
	v_add3_u32 v6, v4, v6, 0x7fff
	v_lshrrev_b32_e32 v6, 16, v6
	s_delay_alu instid0(VALU_DEP_1) | instskip(NEXT) | instid1(VALU_DEP_1)
	v_cndmask_b32_e32 v4, 0x7fc0, v6, vcc_lo
	v_lshlrev_b32_e32 v6, 16, v4
	s_delay_alu instid0(VALU_DEP_1)
	v_cmp_u_f32_e32 vcc_lo, v6, v6
	v_cmp_lt_f32_e64 s2, v3, v6
	v_cndmask_b32_e64 v3, 0, 8, s3
	v_cmp_gt_u32_e64 s3, 28, v5
	s_or_b32 vcc_lo, vcc_lo, s2
	v_cndmask_b32_e32 v4, v2, v4, vcc_lo
	v_add_lshl_u32 v2, v3, v5, 2
	s_delay_alu instid0(VALU_DEP_2) | instskip(SKIP_4) | instid1(VALU_DEP_2)
	v_lshlrev_b32_e32 v3, 16, v4
	ds_bpermute_b32 v6, v2, v3
	s_wait_dscnt 0x0
	v_bfe_u32 v7, v6, 16, 1
	v_cmp_o_f32_e32 vcc_lo, v6, v6
	v_add3_u32 v7, v6, v7, 0x7fff
	s_delay_alu instid0(VALU_DEP_1) | instskip(NEXT) | instid1(VALU_DEP_1)
	v_lshrrev_b32_e32 v7, 16, v7
	v_cndmask_b32_e32 v6, 0x7fc0, v7, vcc_lo
	s_delay_alu instid0(VALU_DEP_1) | instskip(NEXT) | instid1(VALU_DEP_1)
	v_lshlrev_b32_e32 v7, 16, v6
	v_cmp_u_f32_e32 vcc_lo, v7, v7
	v_cmp_lt_f32_e64 s2, v3, v7
	v_cndmask_b32_e64 v3, 0, 4, s3
	v_cmp_gt_u32_e64 s3, 30, v5
	s_or_b32 vcc_lo, vcc_lo, s2
	v_add_lshl_u32 v3, v3, v5, 2
	v_cndmask_b32_e32 v4, v4, v6, vcc_lo
	s_delay_alu instid0(VALU_DEP_1) | instskip(SKIP_4) | instid1(VALU_DEP_2)
	v_lshlrev_b32_e32 v6, 16, v4
	ds_bpermute_b32 v7, v3, v6
	s_wait_dscnt 0x0
	v_bfe_u32 v8, v7, 16, 1
	v_cmp_o_f32_e32 vcc_lo, v7, v7
	v_add3_u32 v8, v7, v8, 0x7fff
	s_delay_alu instid0(VALU_DEP_1) | instskip(NEXT) | instid1(VALU_DEP_1)
	v_lshrrev_b32_e32 v8, 16, v8
	v_cndmask_b32_e32 v7, 0x7fc0, v8, vcc_lo
	s_delay_alu instid0(VALU_DEP_1) | instskip(NEXT) | instid1(VALU_DEP_1)
	v_lshlrev_b32_e32 v8, 16, v7
	v_cmp_u_f32_e32 vcc_lo, v8, v8
	v_cmp_lt_f32_e64 s2, v6, v8
	v_cndmask_b32_e64 v6, 0, 2, s3
	s_mov_b32 s3, exec_lo
	s_or_b32 vcc_lo, vcc_lo, s2
	v_cndmask_b32_e32 v7, v4, v7, vcc_lo
	s_delay_alu instid0(VALU_DEP_2) | instskip(NEXT) | instid1(VALU_DEP_2)
	v_add_lshl_u32 v4, v6, v5, 2
	v_lshlrev_b32_e32 v6, 16, v7
	ds_bpermute_b32 v8, v4, v6
	s_wait_dscnt 0x0
	v_bfe_u32 v10, v8, 16, 1
	v_cmp_o_f32_e32 vcc_lo, v8, v8
	s_delay_alu instid0(VALU_DEP_2) | instskip(NEXT) | instid1(VALU_DEP_1)
	v_add3_u32 v10, v8, v10, 0x7fff
	v_lshrrev_b32_e32 v10, 16, v10
	s_delay_alu instid0(VALU_DEP_1) | instskip(NEXT) | instid1(VALU_DEP_1)
	v_cndmask_b32_e32 v8, 0x7fc0, v10, vcc_lo
	v_lshlrev_b32_e32 v10, 16, v8
	s_delay_alu instid0(VALU_DEP_1) | instskip(SKIP_4) | instid1(VALU_DEP_2)
	v_cmp_u_f32_e32 vcc_lo, v10, v10
	v_cmp_lt_f32_e64 s2, v6, v10
	s_or_b32 vcc_lo, vcc_lo, s2
	v_cndmask_b32_e32 v6, v7, v8, vcc_lo
	v_cmp_ne_u32_e32 vcc_lo, 31, v5
	v_dual_lshlrev_b32 v8, 16, v6 :: v_dual_bitop2_b32 v7, 31, v0 bitop3:0x40
	v_add_co_ci_u32_e64 v5, null, 0, v5, vcc_lo
	s_delay_alu instid0(VALU_DEP_1)
	v_lshlrev_b32_e32 v5, 2, v5
	ds_bpermute_b32 v10, v5, v8
	v_cmpx_eq_u32_e32 0, v7
	s_cbranch_execz .LBB16_22
; %bb.21:
	s_wait_dscnt 0x0
	v_bfe_u32 v11, v10, 16, 1
	v_cmp_o_f32_e32 vcc_lo, v10, v10
	s_delay_alu instid0(VALU_DEP_2) | instskip(NEXT) | instid1(VALU_DEP_1)
	v_add3_u32 v11, v10, v11, 0x7fff
	v_lshrrev_b32_e32 v11, 16, v11
	s_delay_alu instid0(VALU_DEP_1) | instskip(NEXT) | instid1(VALU_DEP_1)
	v_cndmask_b32_e32 v10, 0x7fc0, v11, vcc_lo
	v_lshlrev_b32_e32 v11, 16, v10
	s_delay_alu instid0(VALU_DEP_1)
	v_cmp_u_f32_e32 vcc_lo, v11, v11
	v_cmp_lt_f32_e64 s2, v8, v11
	v_lshrrev_b32_e32 v8, 4, v0
	s_or_b32 vcc_lo, vcc_lo, s2
	v_cndmask_b32_e32 v6, v6, v10, vcc_lo
	ds_store_b16 v8, v6
.LBB16_22:
	s_or_b32 exec_lo, exec_lo, s3
	s_wait_dscnt 0x0
	s_barrier_signal -1
	s_barrier_wait -1
	s_load_b32 s2, s[0:1], 0xd4c
	v_mov_b32_e32 v6, 0xffffff7f
	s_wait_kmcnt 0x0
	s_bfe_u32 s2, s2, 0xb0005
	s_delay_alu instid0(SALU_CYCLE_1)
	v_cmp_gt_u32_e32 vcc_lo, s2, v0
	s_and_saveexec_b32 s2, vcc_lo
; %bb.23:
	v_lshlrev_b32_e32 v6, 1, v7
	ds_load_u16 v6, v6
; %bb.24:
	s_or_b32 exec_lo, exec_lo, s2
	s_delay_alu instid0(SALU_CYCLE_1)
	s_mov_b32 s3, exec_lo
	v_cmpx_gt_u32_e32 32, v0
	s_cbranch_execz .LBB16_26
; %bb.25:
	s_wait_dscnt 0x0
	v_lshlrev_b32_e32 v7, 16, v6
	ds_bpermute_b32 v1, v1, v7
	s_wait_dscnt 0x0
	v_bfe_u32 v8, v1, 16, 1
	v_cmp_o_f32_e32 vcc_lo, v1, v1
	s_delay_alu instid0(VALU_DEP_2) | instskip(NEXT) | instid1(VALU_DEP_1)
	v_add3_u32 v8, v1, v8, 0x7fff
	v_lshrrev_b32_e32 v8, 16, v8
	s_delay_alu instid0(VALU_DEP_1) | instskip(NEXT) | instid1(VALU_DEP_1)
	v_cndmask_b32_e32 v1, 0x7fc0, v8, vcc_lo
	v_lshlrev_b32_e32 v8, 16, v1
	s_delay_alu instid0(VALU_DEP_1) | instskip(SKIP_3) | instid1(VALU_DEP_1)
	v_cmp_u_f32_e32 vcc_lo, v8, v8
	v_cmp_lt_f32_e64 s2, v7, v8
	s_or_b32 vcc_lo, vcc_lo, s2
	v_cndmask_b32_e32 v1, v6, v1, vcc_lo
	v_lshlrev_b32_e32 v6, 16, v1
	ds_bpermute_b32 v2, v2, v6
	s_wait_dscnt 0x0
	v_bfe_u32 v7, v2, 16, 1
	v_cmp_o_f32_e32 vcc_lo, v2, v2
	s_delay_alu instid0(VALU_DEP_2) | instskip(NEXT) | instid1(VALU_DEP_1)
	v_add3_u32 v7, v2, v7, 0x7fff
	v_lshrrev_b32_e32 v7, 16, v7
	s_delay_alu instid0(VALU_DEP_1) | instskip(NEXT) | instid1(VALU_DEP_1)
	v_cndmask_b32_e32 v2, 0x7fc0, v7, vcc_lo
	v_lshlrev_b32_e32 v7, 16, v2
	s_delay_alu instid0(VALU_DEP_1) | instskip(SKIP_3) | instid1(VALU_DEP_1)
	v_cmp_u_f32_e32 vcc_lo, v7, v7
	v_cmp_lt_f32_e64 s2, v6, v7
	s_or_b32 vcc_lo, vcc_lo, s2
	v_cndmask_b32_e32 v1, v1, v2, vcc_lo
	;; [unrolled: 16-line block ×4, first 2 shown]
	v_lshlrev_b32_e32 v2, 16, v1
	ds_bpermute_b32 v3, v5, v2
	s_wait_dscnt 0x0
	v_bfe_u32 v4, v3, 16, 1
	v_cmp_o_f32_e32 vcc_lo, v3, v3
	s_delay_alu instid0(VALU_DEP_2) | instskip(NEXT) | instid1(VALU_DEP_1)
	v_add3_u32 v4, v3, v4, 0x7fff
	v_lshrrev_b32_e32 v4, 16, v4
	s_delay_alu instid0(VALU_DEP_1) | instskip(NEXT) | instid1(VALU_DEP_1)
	v_cndmask_b32_e32 v3, 0x7fc0, v4, vcc_lo
	v_lshlrev_b32_e32 v4, 16, v3
	s_delay_alu instid0(VALU_DEP_1)
	v_cmp_u_f32_e32 vcc_lo, v4, v4
	v_cmp_lt_f32_e64 s2, v2, v4
	s_or_b32 vcc_lo, vcc_lo, s2
	v_cndmask_b32_e32 v6, v1, v3, vcc_lo
.LBB16_26:
	s_or_b32 exec_lo, exec_lo, s3
	s_delay_alu instid0(SALU_CYCLE_1)
	s_mov_b32 s2, exec_lo
	v_cmpx_eq_u32_e32 0, v0
	s_cbranch_execz .LBB16_28
; %bb.27:
	s_clause 0x1
	s_load_b32 s2, s[0:1], 0xd20
	s_load_b96 s[4:6], s[0:1], 0xd30
	v_and_b32_e32 v0, 0xff, v9
	s_wait_kmcnt 0x0
	s_delay_alu instid0(VALU_DEP_1) | instskip(NEXT) | instid1(VALU_DEP_1)
	v_add_nc_u32_e32 v0, s2, v0
	v_mul_lo_u32 v0, v0, s6
	s_delay_alu instid0(VALU_DEP_1)
	v_add_nc_u32_e32 v0, s10, v0
	s_wait_dscnt 0x0
	global_store_b16 v0, v6, s[4:5] scale_offset
.LBB16_28:
	s_endpgm
	.section	.rodata,"a",@progbits
	.p2align	6, 0x0
	.amdhsa_kernel _ZN2at6native12_GLOBAL__N_125multi_tensor_apply_kernelINS1_18TensorListMetadataILi1EEENS0_12LpMaxFunctorIN3c108BFloat16ELi1ELi1ELi0EEEJPS7_iEEEvT_T0_DpT1_
		.amdhsa_group_segment_fixed_size 1024
		.amdhsa_private_segment_fixed_size 0
		.amdhsa_kernarg_size 3648
		.amdhsa_user_sgpr_count 2
		.amdhsa_user_sgpr_dispatch_ptr 0
		.amdhsa_user_sgpr_queue_ptr 0
		.amdhsa_user_sgpr_kernarg_segment_ptr 1
		.amdhsa_user_sgpr_dispatch_id 0
		.amdhsa_user_sgpr_kernarg_preload_length 0
		.amdhsa_user_sgpr_kernarg_preload_offset 0
		.amdhsa_user_sgpr_private_segment_size 0
		.amdhsa_wavefront_size32 1
		.amdhsa_uses_dynamic_stack 0
		.amdhsa_enable_private_segment 0
		.amdhsa_system_sgpr_workgroup_id_x 1
		.amdhsa_system_sgpr_workgroup_id_y 0
		.amdhsa_system_sgpr_workgroup_id_z 0
		.amdhsa_system_sgpr_workgroup_info 0
		.amdhsa_system_vgpr_workitem_id 0
		.amdhsa_next_free_vgpr 24
		.amdhsa_next_free_sgpr 17
		.amdhsa_named_barrier_count 0
		.amdhsa_reserve_vcc 1
		.amdhsa_float_round_mode_32 0
		.amdhsa_float_round_mode_16_64 0
		.amdhsa_float_denorm_mode_32 3
		.amdhsa_float_denorm_mode_16_64 3
		.amdhsa_fp16_overflow 0
		.amdhsa_memory_ordered 1
		.amdhsa_forward_progress 1
		.amdhsa_inst_pref_size 21
		.amdhsa_round_robin_scheduling 0
		.amdhsa_exception_fp_ieee_invalid_op 0
		.amdhsa_exception_fp_denorm_src 0
		.amdhsa_exception_fp_ieee_div_zero 0
		.amdhsa_exception_fp_ieee_overflow 0
		.amdhsa_exception_fp_ieee_underflow 0
		.amdhsa_exception_fp_ieee_inexact 0
		.amdhsa_exception_int_div_zero 0
	.end_amdhsa_kernel
	.section	.text._ZN2at6native12_GLOBAL__N_125multi_tensor_apply_kernelINS1_18TensorListMetadataILi1EEENS0_12LpMaxFunctorIN3c108BFloat16ELi1ELi1ELi0EEEJPS7_iEEEvT_T0_DpT1_,"axG",@progbits,_ZN2at6native12_GLOBAL__N_125multi_tensor_apply_kernelINS1_18TensorListMetadataILi1EEENS0_12LpMaxFunctorIN3c108BFloat16ELi1ELi1ELi0EEEJPS7_iEEEvT_T0_DpT1_,comdat
.Lfunc_end16:
	.size	_ZN2at6native12_GLOBAL__N_125multi_tensor_apply_kernelINS1_18TensorListMetadataILi1EEENS0_12LpMaxFunctorIN3c108BFloat16ELi1ELi1ELi0EEEJPS7_iEEEvT_T0_DpT1_, .Lfunc_end16-_ZN2at6native12_GLOBAL__N_125multi_tensor_apply_kernelINS1_18TensorListMetadataILi1EEENS0_12LpMaxFunctorIN3c108BFloat16ELi1ELi1ELi0EEEJPS7_iEEEvT_T0_DpT1_
                                        ; -- End function
	.set _ZN2at6native12_GLOBAL__N_125multi_tensor_apply_kernelINS1_18TensorListMetadataILi1EEENS0_12LpMaxFunctorIN3c108BFloat16ELi1ELi1ELi0EEEJPS7_iEEEvT_T0_DpT1_.num_vgpr, 24
	.set _ZN2at6native12_GLOBAL__N_125multi_tensor_apply_kernelINS1_18TensorListMetadataILi1EEENS0_12LpMaxFunctorIN3c108BFloat16ELi1ELi1ELi0EEEJPS7_iEEEvT_T0_DpT1_.num_agpr, 0
	.set _ZN2at6native12_GLOBAL__N_125multi_tensor_apply_kernelINS1_18TensorListMetadataILi1EEENS0_12LpMaxFunctorIN3c108BFloat16ELi1ELi1ELi0EEEJPS7_iEEEvT_T0_DpT1_.numbered_sgpr, 17
	.set _ZN2at6native12_GLOBAL__N_125multi_tensor_apply_kernelINS1_18TensorListMetadataILi1EEENS0_12LpMaxFunctorIN3c108BFloat16ELi1ELi1ELi0EEEJPS7_iEEEvT_T0_DpT1_.num_named_barrier, 0
	.set _ZN2at6native12_GLOBAL__N_125multi_tensor_apply_kernelINS1_18TensorListMetadataILi1EEENS0_12LpMaxFunctorIN3c108BFloat16ELi1ELi1ELi0EEEJPS7_iEEEvT_T0_DpT1_.private_seg_size, 0
	.set _ZN2at6native12_GLOBAL__N_125multi_tensor_apply_kernelINS1_18TensorListMetadataILi1EEENS0_12LpMaxFunctorIN3c108BFloat16ELi1ELi1ELi0EEEJPS7_iEEEvT_T0_DpT1_.uses_vcc, 1
	.set _ZN2at6native12_GLOBAL__N_125multi_tensor_apply_kernelINS1_18TensorListMetadataILi1EEENS0_12LpMaxFunctorIN3c108BFloat16ELi1ELi1ELi0EEEJPS7_iEEEvT_T0_DpT1_.uses_flat_scratch, 0
	.set _ZN2at6native12_GLOBAL__N_125multi_tensor_apply_kernelINS1_18TensorListMetadataILi1EEENS0_12LpMaxFunctorIN3c108BFloat16ELi1ELi1ELi0EEEJPS7_iEEEvT_T0_DpT1_.has_dyn_sized_stack, 0
	.set _ZN2at6native12_GLOBAL__N_125multi_tensor_apply_kernelINS1_18TensorListMetadataILi1EEENS0_12LpMaxFunctorIN3c108BFloat16ELi1ELi1ELi0EEEJPS7_iEEEvT_T0_DpT1_.has_recursion, 0
	.set _ZN2at6native12_GLOBAL__N_125multi_tensor_apply_kernelINS1_18TensorListMetadataILi1EEENS0_12LpMaxFunctorIN3c108BFloat16ELi1ELi1ELi0EEEJPS7_iEEEvT_T0_DpT1_.has_indirect_call, 0
	.section	.AMDGPU.csdata,"",@progbits
; Kernel info:
; codeLenInByte = 2572
; TotalNumSgprs: 19
; NumVgprs: 24
; ScratchSize: 0
; MemoryBound: 0
; FloatMode: 240
; IeeeMode: 1
; LDSByteSize: 1024 bytes/workgroup (compile time only)
; SGPRBlocks: 0
; VGPRBlocks: 1
; NumSGPRsForWavesPerEU: 19
; NumVGPRsForWavesPerEU: 24
; NamedBarCnt: 0
; Occupancy: 16
; WaveLimiterHint : 0
; COMPUTE_PGM_RSRC2:SCRATCH_EN: 0
; COMPUTE_PGM_RSRC2:USER_SGPR: 2
; COMPUTE_PGM_RSRC2:TRAP_HANDLER: 0
; COMPUTE_PGM_RSRC2:TGID_X_EN: 1
; COMPUTE_PGM_RSRC2:TGID_Y_EN: 0
; COMPUTE_PGM_RSRC2:TGID_Z_EN: 0
; COMPUTE_PGM_RSRC2:TIDIG_COMP_CNT: 0
	.section	.text._ZN2at6native13lpmax_cleanupIN3c108BFloat16EEEvPKT_NS0_19TensorListAddressesEi,"axG",@progbits,_ZN2at6native13lpmax_cleanupIN3c108BFloat16EEEvPKT_NS0_19TensorListAddressesEi,comdat
	.protected	_ZN2at6native13lpmax_cleanupIN3c108BFloat16EEEvPKT_NS0_19TensorListAddressesEi ; -- Begin function _ZN2at6native13lpmax_cleanupIN3c108BFloat16EEEvPKT_NS0_19TensorListAddressesEi
	.globl	_ZN2at6native13lpmax_cleanupIN3c108BFloat16EEEvPKT_NS0_19TensorListAddressesEi
	.p2align	8
	.type	_ZN2at6native13lpmax_cleanupIN3c108BFloat16EEEvPKT_NS0_19TensorListAddressesEi,@function
_ZN2at6native13lpmax_cleanupIN3c108BFloat16EEEvPKT_NS0_19TensorListAddressesEi: ; @_ZN2at6native13lpmax_cleanupIN3c108BFloat16EEEvPKT_NS0_19TensorListAddressesEi
; %bb.0:
	s_load_b32 s4, s[0:1], 0xc88
	s_bfe_u32 s2, ttmp6, 0x4000c
	s_and_b32 s3, ttmp6, 15
	s_add_co_i32 s2, s2, 1
	s_getreg_b32 s5, hwreg(HW_REG_IB_STS2, 6, 4)
	s_mul_i32 s2, ttmp9, s2
	v_mov_b32_e32 v6, 0xffffff7f
	s_add_co_i32 s3, s3, s2
	s_cmp_eq_u32 s5, 0
	s_mov_b32 s7, 0
	s_cselect_b32 s10, ttmp9, s3
	s_mov_b32 s11, exec_lo
	s_wait_kmcnt 0x0
	v_cmpx_gt_u32_e64 s4, v0
	s_cbranch_execz .LBB17_4
; %bb.1:
	s_clause 0x1
	s_load_b64 s[2:3], s[0:1], 0x0
	s_load_b32 s6, s[0:1], 0xc9c
	v_dual_mov_b32 v1, 0 :: v_dual_lshlrev_b32 v2, 1, v0
	s_mul_i32 s8, s4, s10
	s_mov_b32 s9, s7
	s_delay_alu instid0(VALU_DEP_1)
	v_dual_mov_b32 v6, 0xffffff7f :: v_dual_mov_b32 v3, v1
	s_lshl_b64 s[8:9], s[8:9], 1
	v_mov_b64_e32 v[4:5], v[0:1]
	s_ashr_i32 s5, s4, 31
	s_mov_b32 s12, s7
	s_wait_kmcnt 0x0
	s_add_nc_u64 s[2:3], s[2:3], s[8:9]
	s_and_b32 s6, s6, 0xffff
	v_add_nc_u64_e32 v[2:3], s[2:3], v[2:3]
	s_lshl_b32 s8, s6, 1
	s_mov_b32 s9, s7
.LBB17_2:                               ; =>This Inner Loop Header: Depth=1
	global_load_u16 v1, v[2:3], off
	v_lshlrev_b32_e32 v7, 16, v6
	v_add_nc_u64_e32 v[4:5], s[6:7], v[4:5]
	s_wait_xcnt 0x0
	v_add_nc_u64_e32 v[2:3], s[8:9], v[2:3]
	s_delay_alu instid0(VALU_DEP_2) | instskip(SKIP_2) | instid1(VALU_DEP_1)
	v_cmp_le_u64_e32 vcc_lo, s[4:5], v[4:5]
	s_wait_loadcnt 0x0
	v_lshlrev_b32_e32 v8, 16, v1
	v_cmp_u_f32_e64 s2, v8, v8
	v_cmp_lt_f32_e64 s3, v7, v8
	s_or_b32 s2, s2, s3
	s_or_b32 s12, vcc_lo, s12
	v_cndmask_b32_e64 v6, v6, v1, s2
	s_and_not1_b32 exec_lo, exec_lo, s12
	s_cbranch_execnz .LBB17_2
; %bb.3:
	s_or_b32 exec_lo, exec_lo, s12
.LBB17_4:
	s_delay_alu instid0(SALU_CYCLE_1) | instskip(SKIP_4) | instid1(VALU_DEP_2)
	s_or_b32 exec_lo, exec_lo, s11
	v_mbcnt_lo_u32_b32 v5, -1, 0
	v_lshlrev_b32_e32 v2, 16, v6
	s_barrier_signal -1
	s_barrier_wait -1
	v_lshl_or_b32 v1, v5, 2, 64
	v_cmp_gt_u32_e64 s3, 24, v5
	ds_bpermute_b32 v3, v1, v2
	s_wait_dscnt 0x0
	v_bfe_u32 v4, v3, 16, 1
	v_cmp_o_f32_e32 vcc_lo, v3, v3
	s_delay_alu instid0(VALU_DEP_2) | instskip(NEXT) | instid1(VALU_DEP_1)
	v_add3_u32 v4, v3, v4, 0x7fff
	v_lshrrev_b32_e32 v4, 16, v4
	s_delay_alu instid0(VALU_DEP_1) | instskip(NEXT) | instid1(VALU_DEP_1)
	v_cndmask_b32_e32 v3, 0x7fc0, v4, vcc_lo
	v_lshlrev_b32_e32 v4, 16, v3
	s_delay_alu instid0(VALU_DEP_1)
	v_cmp_u_f32_e32 vcc_lo, v4, v4
	v_cmp_lt_f32_e64 s2, v2, v4
	v_cndmask_b32_e64 v2, 0, 8, s3
	v_cmp_gt_u32_e64 s3, 28, v5
	s_or_b32 vcc_lo, vcc_lo, s2
	v_add_lshl_u32 v2, v2, v5, 2
	v_cndmask_b32_e32 v3, v6, v3, vcc_lo
	s_delay_alu instid0(VALU_DEP_1) | instskip(SKIP_4) | instid1(VALU_DEP_2)
	v_lshlrev_b32_e32 v4, 16, v3
	ds_bpermute_b32 v6, v2, v4
	s_wait_dscnt 0x0
	v_bfe_u32 v7, v6, 16, 1
	v_cmp_o_f32_e32 vcc_lo, v6, v6
	v_add3_u32 v7, v6, v7, 0x7fff
	s_delay_alu instid0(VALU_DEP_1) | instskip(NEXT) | instid1(VALU_DEP_1)
	v_lshrrev_b32_e32 v7, 16, v7
	v_cndmask_b32_e32 v6, 0x7fc0, v7, vcc_lo
	s_delay_alu instid0(VALU_DEP_1) | instskip(NEXT) | instid1(VALU_DEP_1)
	v_lshlrev_b32_e32 v7, 16, v6
	v_cmp_u_f32_e32 vcc_lo, v7, v7
	v_cmp_lt_f32_e64 s2, v4, v7
	v_cndmask_b32_e64 v4, 0, 4, s3
	v_cmp_gt_u32_e64 s3, 30, v5
	s_or_b32 vcc_lo, vcc_lo, s2
	v_cndmask_b32_e32 v6, v3, v6, vcc_lo
	v_add_lshl_u32 v3, v4, v5, 2
	s_delay_alu instid0(VALU_DEP_2) | instskip(SKIP_4) | instid1(VALU_DEP_2)
	v_lshlrev_b32_e32 v4, 16, v6
	ds_bpermute_b32 v7, v3, v4
	s_wait_dscnt 0x0
	v_bfe_u32 v8, v7, 16, 1
	v_cmp_o_f32_e32 vcc_lo, v7, v7
	v_add3_u32 v8, v7, v8, 0x7fff
	s_delay_alu instid0(VALU_DEP_1) | instskip(NEXT) | instid1(VALU_DEP_1)
	v_lshrrev_b32_e32 v8, 16, v8
	v_cndmask_b32_e32 v7, 0x7fc0, v8, vcc_lo
	s_delay_alu instid0(VALU_DEP_1) | instskip(NEXT) | instid1(VALU_DEP_1)
	v_lshlrev_b32_e32 v8, 16, v7
	v_cmp_u_f32_e32 vcc_lo, v8, v8
	v_cmp_lt_f32_e64 s2, v4, v8
	v_cndmask_b32_e64 v4, 0, 2, s3
	s_mov_b32 s3, exec_lo
	s_or_b32 vcc_lo, vcc_lo, s2
	s_delay_alu instid0(VALU_DEP_1) | instskip(SKIP_1) | instid1(VALU_DEP_1)
	v_add_lshl_u32 v4, v4, v5, 2
	v_cndmask_b32_e32 v6, v6, v7, vcc_lo
	v_lshlrev_b32_e32 v7, 16, v6
	ds_bpermute_b32 v8, v4, v7
	s_wait_dscnt 0x0
	v_bfe_u32 v9, v8, 16, 1
	v_cmp_o_f32_e32 vcc_lo, v8, v8
	s_delay_alu instid0(VALU_DEP_2) | instskip(NEXT) | instid1(VALU_DEP_1)
	v_add3_u32 v9, v8, v9, 0x7fff
	v_lshrrev_b32_e32 v9, 16, v9
	s_delay_alu instid0(VALU_DEP_1) | instskip(NEXT) | instid1(VALU_DEP_1)
	v_cndmask_b32_e32 v8, 0x7fc0, v9, vcc_lo
	v_lshlrev_b32_e32 v9, 16, v8
	s_delay_alu instid0(VALU_DEP_1)
	v_cmp_u_f32_e32 vcc_lo, v9, v9
	v_cmp_lt_f32_e64 s2, v7, v9
	s_or_b32 vcc_lo, vcc_lo, s2
	v_cndmask_b32_e32 v7, v6, v8, vcc_lo
	v_cmp_ne_u32_e32 vcc_lo, 31, v5
	v_and_b32_e32 v6, 31, v0
	v_add_co_ci_u32_e64 v5, null, 0, v5, vcc_lo
	s_delay_alu instid0(VALU_DEP_1)
	v_dual_lshlrev_b32 v8, 16, v7 :: v_dual_lshlrev_b32 v5, 2, v5
	ds_bpermute_b32 v9, v5, v8
	v_cmpx_eq_u32_e32 0, v6
	s_cbranch_execz .LBB17_6
; %bb.5:
	s_wait_dscnt 0x0
	v_bfe_u32 v10, v9, 16, 1
	v_cmp_o_f32_e32 vcc_lo, v9, v9
	s_delay_alu instid0(VALU_DEP_2) | instskip(NEXT) | instid1(VALU_DEP_1)
	v_add3_u32 v10, v9, v10, 0x7fff
	v_lshrrev_b32_e32 v10, 16, v10
	s_delay_alu instid0(VALU_DEP_1) | instskip(NEXT) | instid1(VALU_DEP_1)
	v_cndmask_b32_e32 v9, 0x7fc0, v10, vcc_lo
	v_lshlrev_b32_e32 v10, 16, v9
	s_delay_alu instid0(VALU_DEP_1)
	v_cmp_u_f32_e32 vcc_lo, v10, v10
	v_cmp_lt_f32_e64 s2, v8, v10
	v_lshrrev_b32_e32 v8, 4, v0
	s_or_b32 vcc_lo, vcc_lo, s2
	v_cndmask_b32_e32 v7, v7, v9, vcc_lo
	ds_store_b16 v8, v7
.LBB17_6:
	s_or_b32 exec_lo, exec_lo, s3
	s_wait_dscnt 0x0
	s_barrier_signal -1
	s_barrier_wait -1
	s_load_b32 s2, s[0:1], 0xc9c
	v_mov_b32_e32 v7, 0xffffff7f
	s_wait_kmcnt 0x0
	s_bfe_u32 s2, s2, 0xb0005
	s_delay_alu instid0(SALU_CYCLE_1)
	v_cmp_gt_u32_e32 vcc_lo, s2, v0
	s_and_saveexec_b32 s2, vcc_lo
; %bb.7:
	v_lshlrev_b32_e32 v6, 1, v6
	ds_load_u16 v7, v6
; %bb.8:
	s_or_b32 exec_lo, exec_lo, s2
	s_delay_alu instid0(SALU_CYCLE_1)
	s_mov_b32 s3, exec_lo
	v_cmpx_gt_u32_e32 32, v0
	s_cbranch_execz .LBB17_10
; %bb.9:
	s_wait_dscnt 0x0
	v_lshlrev_b32_e32 v6, 16, v7
	ds_bpermute_b32 v1, v1, v6
	s_wait_dscnt 0x0
	v_bfe_u32 v8, v1, 16, 1
	v_cmp_o_f32_e32 vcc_lo, v1, v1
	s_delay_alu instid0(VALU_DEP_2) | instskip(NEXT) | instid1(VALU_DEP_1)
	v_add3_u32 v8, v1, v8, 0x7fff
	v_lshrrev_b32_e32 v8, 16, v8
	s_delay_alu instid0(VALU_DEP_1) | instskip(NEXT) | instid1(VALU_DEP_1)
	v_cndmask_b32_e32 v1, 0x7fc0, v8, vcc_lo
	v_lshlrev_b32_e32 v8, 16, v1
	s_delay_alu instid0(VALU_DEP_1) | instskip(SKIP_3) | instid1(VALU_DEP_1)
	v_cmp_u_f32_e32 vcc_lo, v8, v8
	v_cmp_lt_f32_e64 s2, v6, v8
	s_or_b32 vcc_lo, vcc_lo, s2
	v_cndmask_b32_e32 v1, v7, v1, vcc_lo
	v_lshlrev_b32_e32 v6, 16, v1
	ds_bpermute_b32 v2, v2, v6
	s_wait_dscnt 0x0
	v_bfe_u32 v7, v2, 16, 1
	v_cmp_o_f32_e32 vcc_lo, v2, v2
	s_delay_alu instid0(VALU_DEP_2) | instskip(NEXT) | instid1(VALU_DEP_1)
	v_add3_u32 v7, v2, v7, 0x7fff
	v_lshrrev_b32_e32 v7, 16, v7
	s_delay_alu instid0(VALU_DEP_1) | instskip(NEXT) | instid1(VALU_DEP_1)
	v_cndmask_b32_e32 v2, 0x7fc0, v7, vcc_lo
	v_lshlrev_b32_e32 v7, 16, v2
	s_delay_alu instid0(VALU_DEP_1) | instskip(SKIP_3) | instid1(VALU_DEP_1)
	v_cmp_u_f32_e32 vcc_lo, v7, v7
	v_cmp_lt_f32_e64 s2, v6, v7
	s_or_b32 vcc_lo, vcc_lo, s2
	v_cndmask_b32_e32 v1, v1, v2, vcc_lo
	;; [unrolled: 16-line block ×4, first 2 shown]
	v_lshlrev_b32_e32 v2, 16, v1
	ds_bpermute_b32 v3, v5, v2
	s_wait_dscnt 0x0
	v_bfe_u32 v4, v3, 16, 1
	v_cmp_o_f32_e32 vcc_lo, v3, v3
	s_delay_alu instid0(VALU_DEP_2) | instskip(NEXT) | instid1(VALU_DEP_1)
	v_add3_u32 v4, v3, v4, 0x7fff
	v_lshrrev_b32_e32 v4, 16, v4
	s_delay_alu instid0(VALU_DEP_1) | instskip(NEXT) | instid1(VALU_DEP_1)
	v_cndmask_b32_e32 v3, 0x7fc0, v4, vcc_lo
	v_lshlrev_b32_e32 v4, 16, v3
	s_delay_alu instid0(VALU_DEP_1)
	v_cmp_u_f32_e32 vcc_lo, v4, v4
	v_cmp_lt_f32_e64 s2, v2, v4
	s_or_b32 vcc_lo, vcc_lo, s2
	v_cndmask_b32_e32 v7, v1, v3, vcc_lo
.LBB17_10:
	s_or_b32 exec_lo, exec_lo, s3
	s_delay_alu instid0(SALU_CYCLE_1)
	s_mov_b32 s2, exec_lo
	v_cmpx_eq_u32_e32 0, v0
	s_cbranch_execz .LBB17_12
; %bb.11:
	s_load_b64 s[0:1], s[0:1], s10 offset:0x8 scale_offset
	v_mov_b32_e32 v0, 0
	s_wait_dscnt 0x0
	s_wait_kmcnt 0x0
	global_store_b16 v0, v7, s[0:1]
.LBB17_12:
	s_endpgm
	.section	.rodata,"a",@progbits
	.p2align	6, 0x0
	.amdhsa_kernel _ZN2at6native13lpmax_cleanupIN3c108BFloat16EEEvPKT_NS0_19TensorListAddressesEi
		.amdhsa_group_segment_fixed_size 1024
		.amdhsa_private_segment_fixed_size 0
		.amdhsa_kernarg_size 3472
		.amdhsa_user_sgpr_count 2
		.amdhsa_user_sgpr_dispatch_ptr 0
		.amdhsa_user_sgpr_queue_ptr 0
		.amdhsa_user_sgpr_kernarg_segment_ptr 1
		.amdhsa_user_sgpr_dispatch_id 0
		.amdhsa_user_sgpr_kernarg_preload_length 0
		.amdhsa_user_sgpr_kernarg_preload_offset 0
		.amdhsa_user_sgpr_private_segment_size 0
		.amdhsa_wavefront_size32 1
		.amdhsa_uses_dynamic_stack 0
		.amdhsa_enable_private_segment 0
		.amdhsa_system_sgpr_workgroup_id_x 1
		.amdhsa_system_sgpr_workgroup_id_y 0
		.amdhsa_system_sgpr_workgroup_id_z 0
		.amdhsa_system_sgpr_workgroup_info 0
		.amdhsa_system_vgpr_workitem_id 0
		.amdhsa_next_free_vgpr 11
		.amdhsa_next_free_sgpr 13
		.amdhsa_named_barrier_count 0
		.amdhsa_reserve_vcc 1
		.amdhsa_float_round_mode_32 0
		.amdhsa_float_round_mode_16_64 0
		.amdhsa_float_denorm_mode_32 3
		.amdhsa_float_denorm_mode_16_64 3
		.amdhsa_fp16_overflow 0
		.amdhsa_memory_ordered 1
		.amdhsa_forward_progress 1
		.amdhsa_inst_pref_size 12
		.amdhsa_round_robin_scheduling 0
		.amdhsa_exception_fp_ieee_invalid_op 0
		.amdhsa_exception_fp_denorm_src 0
		.amdhsa_exception_fp_ieee_div_zero 0
		.amdhsa_exception_fp_ieee_overflow 0
		.amdhsa_exception_fp_ieee_underflow 0
		.amdhsa_exception_fp_ieee_inexact 0
		.amdhsa_exception_int_div_zero 0
	.end_amdhsa_kernel
	.section	.text._ZN2at6native13lpmax_cleanupIN3c108BFloat16EEEvPKT_NS0_19TensorListAddressesEi,"axG",@progbits,_ZN2at6native13lpmax_cleanupIN3c108BFloat16EEEvPKT_NS0_19TensorListAddressesEi,comdat
.Lfunc_end17:
	.size	_ZN2at6native13lpmax_cleanupIN3c108BFloat16EEEvPKT_NS0_19TensorListAddressesEi, .Lfunc_end17-_ZN2at6native13lpmax_cleanupIN3c108BFloat16EEEvPKT_NS0_19TensorListAddressesEi
                                        ; -- End function
	.set _ZN2at6native13lpmax_cleanupIN3c108BFloat16EEEvPKT_NS0_19TensorListAddressesEi.num_vgpr, 11
	.set _ZN2at6native13lpmax_cleanupIN3c108BFloat16EEEvPKT_NS0_19TensorListAddressesEi.num_agpr, 0
	.set _ZN2at6native13lpmax_cleanupIN3c108BFloat16EEEvPKT_NS0_19TensorListAddressesEi.numbered_sgpr, 13
	.set _ZN2at6native13lpmax_cleanupIN3c108BFloat16EEEvPKT_NS0_19TensorListAddressesEi.num_named_barrier, 0
	.set _ZN2at6native13lpmax_cleanupIN3c108BFloat16EEEvPKT_NS0_19TensorListAddressesEi.private_seg_size, 0
	.set _ZN2at6native13lpmax_cleanupIN3c108BFloat16EEEvPKT_NS0_19TensorListAddressesEi.uses_vcc, 1
	.set _ZN2at6native13lpmax_cleanupIN3c108BFloat16EEEvPKT_NS0_19TensorListAddressesEi.uses_flat_scratch, 0
	.set _ZN2at6native13lpmax_cleanupIN3c108BFloat16EEEvPKT_NS0_19TensorListAddressesEi.has_dyn_sized_stack, 0
	.set _ZN2at6native13lpmax_cleanupIN3c108BFloat16EEEvPKT_NS0_19TensorListAddressesEi.has_recursion, 0
	.set _ZN2at6native13lpmax_cleanupIN3c108BFloat16EEEvPKT_NS0_19TensorListAddressesEi.has_indirect_call, 0
	.section	.AMDGPU.csdata,"",@progbits
; Kernel info:
; codeLenInByte = 1448
; TotalNumSgprs: 15
; NumVgprs: 11
; ScratchSize: 0
; MemoryBound: 0
; FloatMode: 240
; IeeeMode: 1
; LDSByteSize: 1024 bytes/workgroup (compile time only)
; SGPRBlocks: 0
; VGPRBlocks: 0
; NumSGPRsForWavesPerEU: 15
; NumVGPRsForWavesPerEU: 11
; NamedBarCnt: 0
; Occupancy: 16
; WaveLimiterHint : 0
; COMPUTE_PGM_RSRC2:SCRATCH_EN: 0
; COMPUTE_PGM_RSRC2:USER_SGPR: 2
; COMPUTE_PGM_RSRC2:TRAP_HANDLER: 0
; COMPUTE_PGM_RSRC2:TGID_X_EN: 1
; COMPUTE_PGM_RSRC2:TGID_Y_EN: 0
; COMPUTE_PGM_RSRC2:TGID_Z_EN: 0
; COMPUTE_PGM_RSRC2:TIDIG_COMP_CNT: 0
	.section	.text._ZN2at6native12_GLOBAL__N_125multi_tensor_apply_kernelINS1_18TensorListMetadataILi1EEENS0_12LpMaxFunctorIbLi1ELi1ELi0EEEJPbiEEEvT_T0_DpT1_,"axG",@progbits,_ZN2at6native12_GLOBAL__N_125multi_tensor_apply_kernelINS1_18TensorListMetadataILi1EEENS0_12LpMaxFunctorIbLi1ELi1ELi0EEEJPbiEEEvT_T0_DpT1_,comdat
	.globl	_ZN2at6native12_GLOBAL__N_125multi_tensor_apply_kernelINS1_18TensorListMetadataILi1EEENS0_12LpMaxFunctorIbLi1ELi1ELi0EEEJPbiEEEvT_T0_DpT1_ ; -- Begin function _ZN2at6native12_GLOBAL__N_125multi_tensor_apply_kernelINS1_18TensorListMetadataILi1EEENS0_12LpMaxFunctorIbLi1ELi1ELi0EEEJPbiEEEvT_T0_DpT1_
	.p2align	8
	.type	_ZN2at6native12_GLOBAL__N_125multi_tensor_apply_kernelINS1_18TensorListMetadataILi1EEENS0_12LpMaxFunctorIbLi1ELi1ELi0EEEJPbiEEEvT_T0_DpT1_,@function
_ZN2at6native12_GLOBAL__N_125multi_tensor_apply_kernelINS1_18TensorListMetadataILi1EEENS0_12LpMaxFunctorIbLi1ELi1ELi0EEEJPbiEEEvT_T0_DpT1_: ; @_ZN2at6native12_GLOBAL__N_125multi_tensor_apply_kernelINS1_18TensorListMetadataILi1EEENS0_12LpMaxFunctorIbLi1ELi1ELi0EEEJPbiEEEvT_T0_DpT1_
; %bb.0:
	s_bfe_u32 s2, ttmp6, 0x4000c
	s_and_b32 s3, ttmp6, 15
	s_add_co_i32 s2, s2, 1
	s_getreg_b32 s4, hwreg(HW_REG_IB_STS2, 6, 4)
	s_mul_i32 s2, ttmp9, s2
	s_delay_alu instid0(SALU_CYCLE_1)
	s_add_co_i32 s3, s3, s2
	s_cmp_eq_u32 s4, 0
	s_cselect_b32 s2, ttmp9, s3
	s_mov_b32 s3, 0
	v_mov_b32_e32 v1, s2
	s_add_nc_u64 s[4:5], s[0:1], s[2:3]
	s_mul_u64 s[2:3], s[2:3], 3
	s_delay_alu instid0(SALU_CYCLE_1)
	s_add_nc_u64 s[2:3], s[4:5], s[2:3]
	global_load_u8 v11, v1, s[0:1] offset:1760
	s_load_b32 s4, s[2:3], 0x820
	s_wait_loadcnt 0x0
	v_readfirstlane_b32 s6, v11
	s_and_b32 s5, s6, 0xff
	s_wait_xcnt 0x0
	s_clause 0x1
	s_load_b64 s[2:3], s[0:1], s5 offset:0x0 scale_offset
	s_load_b64 s[8:9], s[0:1], s5 offset:0x370 scale_offset
	s_wait_kmcnt 0x0
	s_ashr_i32 s5, s4, 31
	s_delay_alu instid0(SALU_CYCLE_1) | instskip(NEXT) | instid1(SALU_CYCLE_1)
	s_lshl_b64 s[10:11], s[4:5], 16
	s_add_nc_u64 s[6:7], s[2:3], s[10:11]
	s_delay_alu instid0(SALU_CYCLE_1) | instskip(SKIP_2) | instid1(SALU_CYCLE_1)
	s_or_b32 s2, s8, s6
	s_sub_nc_u64 s[8:9], s[8:9], s[10:11]
	s_and_b32 s2, s2, 3
	s_cmp_eq_u32 s2, 0
	s_cbranch_scc1 .LBB18_12
; %bb.1:
	v_cmp_lt_i64_e64 s2, s[8:9], 1
	s_and_b32 vcc_lo, exec_lo, s2
	s_cbranch_vccnz .LBB18_13
; %bb.2:
	s_load_b32 s2, s[0:1], 0xd4c
	v_min_i64 v[4:5], 0x10000, s[8:9]
	v_dual_mov_b32 v3, 0 :: v_dual_mov_b32 v13, 0
	v_dual_mov_b32 v12, 0 :: v_dual_mov_b32 v14, 0
	s_mov_b32 s11, 0
	s_mov_b64 s[12:13], 0
	s_wait_kmcnt 0x0
	s_and_b32 s2, s2, 0xffff
	s_delay_alu instid0(SALU_CYCLE_1)
	v_dual_mov_b32 v7, 0 :: v_dual_add_nc_u32 v10, s2, v0
	v_mad_u32 v2, s2, 3, v0
	v_lshl_add_u32 v8, s2, 1, v0
	s_lshl_b32 s10, s2, 2
	s_branch .LBB18_4
.LBB18_3:                               ;   in Loop: Header=BB18_4 Depth=1
	s_or_b32 exec_lo, exec_lo, s2
	s_add_nc_u64 s[12:13], s[12:13], s[10:11]
	s_delay_alu instid0(SALU_CYCLE_1)
	v_cmp_lt_i64_e32 vcc_lo, s[12:13], v[4:5]
	s_cbranch_vccz .LBB18_14
.LBB18_4:                               ; =>This Inner Loop Header: Depth=1
	v_add_nc_u32_e32 v6, s12, v0
	s_delay_alu instid0(VALU_DEP_1) | instskip(SKIP_2) | instid1(SALU_CYCLE_1)
	v_cmp_gt_i64_e32 vcc_lo, s[8:9], v[6:7]
	v_cmp_gt_u32_e64 s2, 0x10000, v6
	s_and_b32 s3, s2, vcc_lo
	s_and_saveexec_b32 s2, s3
	s_cbranch_execz .LBB18_6
; %bb.5:                                ;   in Loop: Header=BB18_4 Depth=1
	v_add_nc_u64_e32 v[16:17], s[6:7], v[6:7]
	global_load_u8 v1, v[16:17], off
	s_wait_loadcnt 0x0
	v_or_b32_e32 v3, v1, v3
.LBB18_6:                               ;   in Loop: Header=BB18_4 Depth=1
	s_or_b32 exec_lo, exec_lo, s2
	v_add_nc_u32_e32 v6, s12, v10
	s_delay_alu instid0(VALU_DEP_1) | instskip(SKIP_2) | instid1(SALU_CYCLE_1)
	v_cmp_gt_i64_e32 vcc_lo, s[8:9], v[6:7]
	v_cmp_gt_u32_e64 s2, 0x10000, v6
	s_and_b32 s3, s2, vcc_lo
	s_and_saveexec_b32 s2, s3
	s_cbranch_execz .LBB18_8
; %bb.7:                                ;   in Loop: Header=BB18_4 Depth=1
	v_add_nc_u64_e32 v[16:17], s[6:7], v[6:7]
	global_load_u8 v1, v[16:17], off
	s_wait_loadcnt 0x0
	v_or_b32_e32 v13, v1, v13
.LBB18_8:                               ;   in Loop: Header=BB18_4 Depth=1
	s_or_b32 exec_lo, exec_lo, s2
	v_add_nc_u32_e32 v6, s12, v8
	s_delay_alu instid0(VALU_DEP_1) | instskip(SKIP_2) | instid1(SALU_CYCLE_1)
	v_cmp_gt_i64_e32 vcc_lo, s[8:9], v[6:7]
	v_cmp_gt_u32_e64 s2, 0x10000, v6
	s_and_b32 s3, s2, vcc_lo
	s_and_saveexec_b32 s2, s3
	s_cbranch_execz .LBB18_10
; %bb.9:                                ;   in Loop: Header=BB18_4 Depth=1
	v_add_nc_u64_e32 v[16:17], s[6:7], v[6:7]
	global_load_u8 v1, v[16:17], off
	s_wait_loadcnt 0x0
	v_or_b32_e32 v12, v1, v12
.LBB18_10:                              ;   in Loop: Header=BB18_4 Depth=1
	s_or_b32 exec_lo, exec_lo, s2
	v_add_nc_u32_e32 v6, s12, v2
	s_delay_alu instid0(VALU_DEP_1) | instskip(SKIP_2) | instid1(SALU_CYCLE_1)
	v_cmp_gt_i64_e32 vcc_lo, s[8:9], v[6:7]
	v_cmp_gt_u32_e64 s2, 0x10000, v6
	s_and_b32 s3, s2, vcc_lo
	s_and_saveexec_b32 s2, s3
	s_cbranch_execz .LBB18_3
; %bb.11:                               ;   in Loop: Header=BB18_4 Depth=1
	v_add_nc_u64_e32 v[16:17], s[6:7], v[6:7]
	global_load_u8 v1, v[16:17], off
	s_wait_loadcnt 0x0
	v_or_b32_e32 v14, v1, v14
	s_branch .LBB18_3
.LBB18_12:
                                        ; implicit-def: $vgpr3
                                        ; implicit-def: $vgpr13
                                        ; implicit-def: $vgpr12
                                        ; implicit-def: $vgpr14
	s_branch .LBB18_15
.LBB18_13:
	v_dual_mov_b32 v3, 0 :: v_dual_mov_b32 v13, 0
	v_dual_mov_b32 v12, 0 :: v_dual_mov_b32 v14, 0
.LBB18_14:
	s_cbranch_execnz .LBB18_20
.LBB18_15:
	v_min_i64 v[4:5], 0x10000, s[8:9]
	v_dual_mov_b32 v3, 0 :: v_dual_lshlrev_b32 v2, 2, v0
	s_mov_b32 s5, exec_lo
	s_delay_alu instid0(VALU_DEP_1) | instskip(SKIP_1) | instid1(VALU_DEP_3)
	v_dual_mov_b32 v13, v3 :: v_dual_mov_b32 v12, v3
	v_mov_b32_e32 v14, v3
	v_cmpx_lt_i64_e64 v[2:3], v[4:5]
	s_cbranch_execz .LBB18_19
; %bb.16:
	s_load_b32 s2, s[0:1], 0xd4c
	v_dual_mov_b32 v1, v3 :: v_dual_mov_b32 v13, v3
	v_add_nc_u64_e32 v[6:7], s[6:7], v[2:3]
	v_dual_mov_b32 v12, v3 :: v_dual_mov_b32 v14, v3
	s_delay_alu instid0(VALU_DEP_3) | instskip(SKIP_1) | instid1(SALU_CYCLE_1)
	v_mov_b64_e32 v[8:9], v[0:1]
	s_mov_b32 s3, 0
	s_mov_b32 s7, s3
	;; [unrolled: 1-line block ×3, first 2 shown]
	s_wait_kmcnt 0x0
	s_and_b32 s2, s2, 0xffff
	s_delay_alu instid0(SALU_CYCLE_1)
	s_lshl_b32 s6, s2, 2
.LBB18_17:                              ; =>This Inner Loop Header: Depth=1
	global_load_b32 v1, v[6:7], off
	v_add_nc_u64_e32 v[8:9], s[2:3], v[8:9]
	s_wait_xcnt 0x0
	v_add_nc_u64_e32 v[6:7], s[6:7], v[6:7]
	s_wait_loadcnt 0x0
	v_dual_lshrrev_b32 v2, 24, v1 :: v_dual_lshrrev_b32 v15, 16, v1
	v_lshrrev_b16 v10, 8, v1
	v_or_b32_e32 v1, v1, v3
	s_delay_alu instid0(VALU_DEP_3) | instskip(NEXT) | instid1(VALU_DEP_4)
	v_or_b32_e32 v2, v2, v14
	v_or_b32_e32 v12, v15, v12
	v_lshlrev_b64_e32 v[14:15], 2, v[8:9]
	v_or_b32_e32 v10, v10, v13
	s_delay_alu instid0(VALU_DEP_4) | instskip(NEXT) | instid1(VALU_DEP_3)
	v_lshlrev_b16 v2, 8, v2
	v_cmp_ge_i64_e32 vcc_lo, v[14:15], v[4:5]
	s_delay_alu instid0(VALU_DEP_2) | instskip(NEXT) | instid1(VALU_DEP_1)
	v_bitop3_b16 v12, v12, v2, 0xff bitop3:0xec
	v_lshlrev_b32_e32 v13, 16, v12
	s_or_b32 s8, vcc_lo, s8
	s_delay_alu instid0(VALU_DEP_1) | instskip(SKIP_1) | instid1(VALU_DEP_1)
	v_lshrrev_b32_e32 v14, 24, v13
	v_lshlrev_b16 v10, 8, v10
	v_and_b32_e32 v2, 0xffff, v10
	v_bitop3_b16 v3, v1, v10, 0xff bitop3:0xec
	s_delay_alu instid0(VALU_DEP_2) | instskip(NEXT) | instid1(VALU_DEP_1)
	v_or_b32_e32 v2, v2, v13
	v_lshrrev_b32_e32 v13, 8, v2
	s_and_not1_b32 exec_lo, exec_lo, s8
	s_cbranch_execnz .LBB18_17
; %bb.18:
	s_or_b32 exec_lo, exec_lo, s8
.LBB18_19:
	s_delay_alu instid0(SALU_CYCLE_1)
	s_or_b32 exec_lo, exec_lo, s5
.LBB18_20:
	s_delay_alu instid0(VALU_DEP_2) | instskip(SKIP_3) | instid1(VALU_DEP_2)
	v_or_b32_e32 v1, v3, v13
	v_mbcnt_lo_u32_b32 v5, -1, 0
	s_mov_b32 s5, exec_lo
	s_barrier_signal -1
	v_bitop3_b16 v2, v14, v12, v1 bitop3:0xfe
	s_delay_alu instid0(VALU_DEP_2) | instskip(SKIP_2) | instid1(VALU_DEP_3)
	v_lshl_or_b32 v1, v5, 2, 64
	v_cmp_gt_u32_e32 vcc_lo, 24, v5
	s_barrier_wait -1
	v_and_b32_e32 v2, 1, v2
	v_cndmask_b32_e64 v4, 0, 8, vcc_lo
	ds_bpermute_b32 v3, v1, v2
	v_cmp_eq_u32_e32 vcc_lo, 1, v2
	v_add_lshl_u32 v2, v4, v5, 2
	s_wait_dscnt 0x0
	v_cmp_ne_u32_e64 s2, 0, v3
	s_or_b32 s2, s2, vcc_lo
	v_cmp_gt_u32_e32 vcc_lo, 28, v5
	v_cndmask_b32_e64 v3, 0, 1, s2
	v_cndmask_b32_e64 v4, 0, 4, vcc_lo
	ds_bpermute_b32 v3, v2, v3
	s_wait_dscnt 0x0
	v_cmp_ne_u32_e32 vcc_lo, 0, v3
	v_add_lshl_u32 v3, v4, v5, 2
	s_or_b32 s2, vcc_lo, s2
	v_cmp_gt_u32_e32 vcc_lo, 30, v5
	v_cndmask_b32_e64 v4, 0, 1, s2
	v_cndmask_b32_e64 v6, 0, 2, vcc_lo
	ds_bpermute_b32 v4, v3, v4
	s_wait_dscnt 0x0
	v_cmp_ne_u32_e32 vcc_lo, 0, v4
	v_add_lshl_u32 v4, v6, v5, 2
	s_or_b32 s3, vcc_lo, s2
	v_cmp_ne_u32_e64 s2, 31, v5
	v_cndmask_b32_e64 v6, 0, 1, s3
	s_delay_alu instid0(VALU_DEP_2)
	v_add_co_ci_u32_e64 v5, null, 0, v5, s2
	ds_bpermute_b32 v6, v4, v6
	s_mov_b32 s2, 0
	v_lshlrev_b32_e32 v5, 2, v5
	s_wait_dscnt 0x0
	v_cmp_ne_u32_e32 vcc_lo, 0, v6
	s_or_b32 s3, vcc_lo, s3
	s_delay_alu instid0(SALU_CYCLE_1) | instskip(SKIP_2) | instid1(VALU_DEP_1)
	v_cndmask_b32_e64 v6, 0, 1, s3
	ds_bpermute_b32 v7, v5, v6
	v_and_b32_e32 v6, 31, v0
	v_cmpx_eq_u32_e32 0, v6
	s_cbranch_execz .LBB18_22
; %bb.21:
	s_wait_dscnt 0x0
	v_cmp_ne_u32_e32 vcc_lo, 0, v7
	v_lshrrev_b32_e32 v7, 5, v0
	s_or_b32 s3, vcc_lo, s3
	s_delay_alu instid0(SALU_CYCLE_1)
	v_cndmask_b32_e64 v8, 0, 1, s3
	ds_store_b8 v7, v8
.LBB18_22:
	s_or_b32 exec_lo, exec_lo, s5
	s_wait_dscnt 0x0
	s_barrier_signal -1
	s_barrier_wait -1
	s_load_b32 s3, s[0:1], 0xd4c
	s_wait_kmcnt 0x0
	s_bfe_u32 s3, s3, 0xb0005
	s_delay_alu instid0(SALU_CYCLE_1)
	v_cmp_gt_u32_e32 vcc_lo, s3, v0
	s_and_saveexec_b32 s3, vcc_lo
	s_cbranch_execz .LBB18_24
; %bb.23:
	ds_load_u8 v6, v6
	s_wait_dscnt 0x0
	v_and_b32_e32 v6, 1, v6
	s_delay_alu instid0(VALU_DEP_1)
	v_cmp_eq_u32_e32 vcc_lo, 1, v6
	s_and_b32 s2, vcc_lo, exec_lo
.LBB18_24:
	s_or_b32 exec_lo, exec_lo, s3
	s_delay_alu instid0(SALU_CYCLE_1)
	s_mov_b32 s3, exec_lo
	v_cmpx_gt_u32_e32 32, v0
	s_cbranch_execz .LBB18_26
; %bb.25:
	v_cndmask_b32_e64 v6, 0, 1, s2
	ds_bpermute_b32 v1, v1, v6
	s_wait_dscnt 0x0
	v_cmp_ne_u32_e32 vcc_lo, 0, v1
	s_or_b32 s5, s2, vcc_lo
	s_and_not1_b32 s2, s2, exec_lo
	v_cndmask_b32_e64 v1, 0, 1, s5
	ds_bpermute_b32 v1, v2, v1
	s_wait_dscnt 0x0
	v_cmp_ne_u32_e32 vcc_lo, 0, v1
	s_or_b32 s5, s5, vcc_lo
	s_delay_alu instid0(SALU_CYCLE_1) | instskip(SKIP_4) | instid1(SALU_CYCLE_1)
	v_cndmask_b32_e64 v1, 0, 1, s5
	ds_bpermute_b32 v1, v3, v1
	s_wait_dscnt 0x0
	v_cmp_ne_u32_e32 vcc_lo, 0, v1
	s_or_b32 s5, s5, vcc_lo
	v_cndmask_b32_e64 v1, 0, 1, s5
	ds_bpermute_b32 v1, v4, v1
	s_wait_dscnt 0x0
	v_cmp_ne_u32_e32 vcc_lo, 0, v1
	s_or_b32 s5, s5, vcc_lo
	s_delay_alu instid0(SALU_CYCLE_1) | instskip(SKIP_4) | instid1(SALU_CYCLE_1)
	v_cndmask_b32_e64 v1, 0, 1, s5
	ds_bpermute_b32 v1, v5, v1
	s_wait_dscnt 0x0
	v_cmp_ne_u32_e32 vcc_lo, 0, v1
	s_or_b32 s5, s5, vcc_lo
	s_and_b32 s5, s5, exec_lo
	s_delay_alu instid0(SALU_CYCLE_1)
	s_or_b32 s2, s2, s5
.LBB18_26:
	s_or_b32 exec_lo, exec_lo, s3
	s_delay_alu instid0(SALU_CYCLE_1)
	s_mov_b32 s3, exec_lo
	v_cmpx_eq_u32_e32 0, v0
	s_cbranch_execz .LBB18_28
; %bb.27:
	s_clause 0x1
	s_load_b32 s3, s[0:1], 0xd20
	s_load_b96 s[8:10], s[0:1], 0xd30
	v_and_b32_e32 v0, 0xff, v11
	v_cndmask_b32_e64 v1, 0, 1, s2
	s_wait_kmcnt 0x0
	s_delay_alu instid0(VALU_DEP_2) | instskip(NEXT) | instid1(VALU_DEP_1)
	v_add_nc_u32_e32 v0, s3, v0
	v_mul_lo_u32 v0, v0, s10
	s_delay_alu instid0(VALU_DEP_1)
	v_add_nc_u32_e32 v0, s4, v0
	global_store_b8 v0, v1, s[8:9]
.LBB18_28:
	s_endpgm
	.section	.rodata,"a",@progbits
	.p2align	6, 0x0
	.amdhsa_kernel _ZN2at6native12_GLOBAL__N_125multi_tensor_apply_kernelINS1_18TensorListMetadataILi1EEENS0_12LpMaxFunctorIbLi1ELi1ELi0EEEJPbiEEEvT_T0_DpT1_
		.amdhsa_group_segment_fixed_size 512
		.amdhsa_private_segment_fixed_size 0
		.amdhsa_kernarg_size 3648
		.amdhsa_user_sgpr_count 2
		.amdhsa_user_sgpr_dispatch_ptr 0
		.amdhsa_user_sgpr_queue_ptr 0
		.amdhsa_user_sgpr_kernarg_segment_ptr 1
		.amdhsa_user_sgpr_dispatch_id 0
		.amdhsa_user_sgpr_kernarg_preload_length 0
		.amdhsa_user_sgpr_kernarg_preload_offset 0
		.amdhsa_user_sgpr_private_segment_size 0
		.amdhsa_wavefront_size32 1
		.amdhsa_uses_dynamic_stack 0
		.amdhsa_enable_private_segment 0
		.amdhsa_system_sgpr_workgroup_id_x 1
		.amdhsa_system_sgpr_workgroup_id_y 0
		.amdhsa_system_sgpr_workgroup_id_z 0
		.amdhsa_system_sgpr_workgroup_info 0
		.amdhsa_system_vgpr_workitem_id 0
		.amdhsa_next_free_vgpr 18
		.amdhsa_next_free_sgpr 14
		.amdhsa_named_barrier_count 0
		.amdhsa_reserve_vcc 1
		.amdhsa_float_round_mode_32 0
		.amdhsa_float_round_mode_16_64 0
		.amdhsa_float_denorm_mode_32 3
		.amdhsa_float_denorm_mode_16_64 3
		.amdhsa_fp16_overflow 0
		.amdhsa_memory_ordered 1
		.amdhsa_forward_progress 1
		.amdhsa_inst_pref_size 13
		.amdhsa_round_robin_scheduling 0
		.amdhsa_exception_fp_ieee_invalid_op 0
		.amdhsa_exception_fp_denorm_src 0
		.amdhsa_exception_fp_ieee_div_zero 0
		.amdhsa_exception_fp_ieee_overflow 0
		.amdhsa_exception_fp_ieee_underflow 0
		.amdhsa_exception_fp_ieee_inexact 0
		.amdhsa_exception_int_div_zero 0
	.end_amdhsa_kernel
	.section	.text._ZN2at6native12_GLOBAL__N_125multi_tensor_apply_kernelINS1_18TensorListMetadataILi1EEENS0_12LpMaxFunctorIbLi1ELi1ELi0EEEJPbiEEEvT_T0_DpT1_,"axG",@progbits,_ZN2at6native12_GLOBAL__N_125multi_tensor_apply_kernelINS1_18TensorListMetadataILi1EEENS0_12LpMaxFunctorIbLi1ELi1ELi0EEEJPbiEEEvT_T0_DpT1_,comdat
.Lfunc_end18:
	.size	_ZN2at6native12_GLOBAL__N_125multi_tensor_apply_kernelINS1_18TensorListMetadataILi1EEENS0_12LpMaxFunctorIbLi1ELi1ELi0EEEJPbiEEEvT_T0_DpT1_, .Lfunc_end18-_ZN2at6native12_GLOBAL__N_125multi_tensor_apply_kernelINS1_18TensorListMetadataILi1EEENS0_12LpMaxFunctorIbLi1ELi1ELi0EEEJPbiEEEvT_T0_DpT1_
                                        ; -- End function
	.set _ZN2at6native12_GLOBAL__N_125multi_tensor_apply_kernelINS1_18TensorListMetadataILi1EEENS0_12LpMaxFunctorIbLi1ELi1ELi0EEEJPbiEEEvT_T0_DpT1_.num_vgpr, 18
	.set _ZN2at6native12_GLOBAL__N_125multi_tensor_apply_kernelINS1_18TensorListMetadataILi1EEENS0_12LpMaxFunctorIbLi1ELi1ELi0EEEJPbiEEEvT_T0_DpT1_.num_agpr, 0
	.set _ZN2at6native12_GLOBAL__N_125multi_tensor_apply_kernelINS1_18TensorListMetadataILi1EEENS0_12LpMaxFunctorIbLi1ELi1ELi0EEEJPbiEEEvT_T0_DpT1_.numbered_sgpr, 14
	.set _ZN2at6native12_GLOBAL__N_125multi_tensor_apply_kernelINS1_18TensorListMetadataILi1EEENS0_12LpMaxFunctorIbLi1ELi1ELi0EEEJPbiEEEvT_T0_DpT1_.num_named_barrier, 0
	.set _ZN2at6native12_GLOBAL__N_125multi_tensor_apply_kernelINS1_18TensorListMetadataILi1EEENS0_12LpMaxFunctorIbLi1ELi1ELi0EEEJPbiEEEvT_T0_DpT1_.private_seg_size, 0
	.set _ZN2at6native12_GLOBAL__N_125multi_tensor_apply_kernelINS1_18TensorListMetadataILi1EEENS0_12LpMaxFunctorIbLi1ELi1ELi0EEEJPbiEEEvT_T0_DpT1_.uses_vcc, 1
	.set _ZN2at6native12_GLOBAL__N_125multi_tensor_apply_kernelINS1_18TensorListMetadataILi1EEENS0_12LpMaxFunctorIbLi1ELi1ELi0EEEJPbiEEEvT_T0_DpT1_.uses_flat_scratch, 0
	.set _ZN2at6native12_GLOBAL__N_125multi_tensor_apply_kernelINS1_18TensorListMetadataILi1EEENS0_12LpMaxFunctorIbLi1ELi1ELi0EEEJPbiEEEvT_T0_DpT1_.has_dyn_sized_stack, 0
	.set _ZN2at6native12_GLOBAL__N_125multi_tensor_apply_kernelINS1_18TensorListMetadataILi1EEENS0_12LpMaxFunctorIbLi1ELi1ELi0EEEJPbiEEEvT_T0_DpT1_.has_recursion, 0
	.set _ZN2at6native12_GLOBAL__N_125multi_tensor_apply_kernelINS1_18TensorListMetadataILi1EEENS0_12LpMaxFunctorIbLi1ELi1ELi0EEEJPbiEEEvT_T0_DpT1_.has_indirect_call, 0
	.section	.AMDGPU.csdata,"",@progbits
; Kernel info:
; codeLenInByte = 1584
; TotalNumSgprs: 16
; NumVgprs: 18
; ScratchSize: 0
; MemoryBound: 0
; FloatMode: 240
; IeeeMode: 1
; LDSByteSize: 512 bytes/workgroup (compile time only)
; SGPRBlocks: 0
; VGPRBlocks: 1
; NumSGPRsForWavesPerEU: 16
; NumVGPRsForWavesPerEU: 18
; NamedBarCnt: 0
; Occupancy: 16
; WaveLimiterHint : 0
; COMPUTE_PGM_RSRC2:SCRATCH_EN: 0
; COMPUTE_PGM_RSRC2:USER_SGPR: 2
; COMPUTE_PGM_RSRC2:TRAP_HANDLER: 0
; COMPUTE_PGM_RSRC2:TGID_X_EN: 1
; COMPUTE_PGM_RSRC2:TGID_Y_EN: 0
; COMPUTE_PGM_RSRC2:TGID_Z_EN: 0
; COMPUTE_PGM_RSRC2:TIDIG_COMP_CNT: 0
	.section	.text._ZN2at6native13lpmax_cleanupIbEEvPKT_NS0_19TensorListAddressesEi,"axG",@progbits,_ZN2at6native13lpmax_cleanupIbEEvPKT_NS0_19TensorListAddressesEi,comdat
	.protected	_ZN2at6native13lpmax_cleanupIbEEvPKT_NS0_19TensorListAddressesEi ; -- Begin function _ZN2at6native13lpmax_cleanupIbEEvPKT_NS0_19TensorListAddressesEi
	.globl	_ZN2at6native13lpmax_cleanupIbEEvPKT_NS0_19TensorListAddressesEi
	.p2align	8
	.type	_ZN2at6native13lpmax_cleanupIbEEvPKT_NS0_19TensorListAddressesEi,@function
_ZN2at6native13lpmax_cleanupIbEEvPKT_NS0_19TensorListAddressesEi: ; @_ZN2at6native13lpmax_cleanupIbEEvPKT_NS0_19TensorListAddressesEi
; %bb.0:
	s_load_b32 s4, s[0:1], 0xc88
	s_bfe_u32 s2, ttmp6, 0x4000c
	s_and_b32 s3, ttmp6, 15
	s_add_co_i32 s2, s2, 1
	s_mov_b32 s10, exec_lo
	s_mul_i32 s2, ttmp9, s2
	s_delay_alu instid0(SALU_CYCLE_1) | instskip(SKIP_1) | instid1(SALU_CYCLE_1)
	s_add_co_i32 s3, s3, s2
	s_getreg_b32 s2, hwreg(HW_REG_IB_STS2, 6, 4)
	s_cmp_eq_u32 s2, 0
	s_mov_b32 s2, 0
	s_cselect_b32 s3, ttmp9, s3
	s_wait_kmcnt 0x0
	v_cmpx_gt_u32_e64 s4, v0
	s_cbranch_execz .LBB19_4
; %bb.1:
	s_clause 0x1
	s_load_b64 s[8:9], s[0:1], 0x0
	s_load_b32 s2, s[0:1], 0xc9c
	v_mov_b32_e32 v1, 0
	s_mul_i32 s6, s4, s3
	s_mov_b32 s7, 0
	s_ashr_i32 s5, s4, 31
	s_mov_b32 s11, s7
	v_mov_b64_e32 v[2:3], v[0:1]
	s_mov_b32 s12, s7
                                        ; implicit-def: $sgpr13
	s_wait_kmcnt 0x0
	s_add_nc_u64 s[8:9], s[8:9], s[6:7]
	s_and_b32 s6, s2, 0xffff
.LBB19_2:                               ; =>This Inner Loop Header: Depth=1
	s_delay_alu instid0(VALU_DEP_1)
	v_add_nc_u64_e32 v[4:5], s[8:9], v[2:3]
	v_add_nc_u64_e32 v[2:3], s[6:7], v[2:3]
	global_load_u8 v1, v[4:5], off
	v_cmp_le_u64_e32 vcc_lo, s[4:5], v[2:3]
	s_wait_loadcnt 0x0
	v_and_b32_e32 v1, 1, v1
	s_delay_alu instid0(VALU_DEP_1) | instskip(SKIP_4) | instid1(SALU_CYCLE_1)
	v_cmp_eq_u32_e64 s2, 1, v1
	s_or_b32 s11, s11, s2
	s_or_b32 s12, vcc_lo, s12
	s_and_not1_b32 s2, s13, exec_lo
	s_and_b32 s13, s11, exec_lo
	s_or_b32 s13, s2, s13
	s_and_not1_b32 exec_lo, exec_lo, s12
	s_cbranch_execnz .LBB19_2
; %bb.3:
	s_or_b32 exec_lo, exec_lo, s12
	s_delay_alu instid0(SALU_CYCLE_1)
	s_and_b32 s2, s13, exec_lo
.LBB19_4:
	s_or_b32 exec_lo, exec_lo, s10
	v_mbcnt_lo_u32_b32 v5, -1, 0
	v_cndmask_b32_e64 v2, 0, 1, s2
	s_mov_b32 s5, exec_lo
	s_barrier_signal -1
	s_delay_alu instid0(VALU_DEP_2)
	v_lshl_or_b32 v1, v5, 2, 64
	v_cmp_gt_u32_e32 vcc_lo, 24, v5
	s_barrier_wait -1
	ds_bpermute_b32 v2, v1, v2
	v_cndmask_b32_e64 v3, 0, 8, vcc_lo
	s_wait_dscnt 0x0
	v_cmp_ne_u32_e32 vcc_lo, 0, v2
	s_delay_alu instid0(VALU_DEP_2)
	v_add_lshl_u32 v2, v3, v5, 2
	s_or_b32 s2, s2, vcc_lo
	v_cmp_gt_u32_e32 vcc_lo, 28, v5
	v_cndmask_b32_e64 v3, 0, 1, s2
	v_cndmask_b32_e64 v4, 0, 4, vcc_lo
	ds_bpermute_b32 v3, v2, v3
	s_wait_dscnt 0x0
	v_cmp_ne_u32_e32 vcc_lo, 0, v3
	v_add_lshl_u32 v3, v4, v5, 2
	s_or_b32 s2, s2, vcc_lo
	v_cmp_gt_u32_e32 vcc_lo, 30, v5
	v_cndmask_b32_e64 v4, 0, 1, s2
	v_cndmask_b32_e64 v6, 0, 2, vcc_lo
	ds_bpermute_b32 v4, v3, v4
	s_wait_dscnt 0x0
	v_cmp_ne_u32_e32 vcc_lo, 0, v4
	v_add_lshl_u32 v4, v6, v5, 2
	s_or_b32 s4, s2, vcc_lo
	v_cmp_ne_u32_e64 s2, 31, v5
	v_cndmask_b32_e64 v6, 0, 1, s4
	s_delay_alu instid0(VALU_DEP_2)
	v_add_co_ci_u32_e64 v5, null, 0, v5, s2
	ds_bpermute_b32 v6, v4, v6
	s_mov_b32 s2, 0
	v_lshlrev_b32_e32 v5, 2, v5
	s_wait_dscnt 0x0
	v_cmp_ne_u32_e32 vcc_lo, 0, v6
	s_or_b32 s4, s4, vcc_lo
	s_delay_alu instid0(SALU_CYCLE_1) | instskip(SKIP_2) | instid1(VALU_DEP_1)
	v_cndmask_b32_e64 v6, 0, 1, s4
	ds_bpermute_b32 v7, v5, v6
	v_and_b32_e32 v6, 31, v0
	v_cmpx_eq_u32_e32 0, v6
	s_cbranch_execz .LBB19_6
; %bb.5:
	s_wait_dscnt 0x0
	v_cmp_ne_u32_e32 vcc_lo, 0, v7
	v_lshrrev_b32_e32 v8, 5, v0
	s_or_b32 s4, s4, vcc_lo
	s_delay_alu instid0(SALU_CYCLE_1)
	v_cndmask_b32_e64 v7, 0, 1, s4
	ds_store_b8 v8, v7
.LBB19_6:
	s_or_b32 exec_lo, exec_lo, s5
	s_wait_dscnt 0x0
	s_barrier_signal -1
	s_barrier_wait -1
	s_load_b32 s4, s[0:1], 0xc9c
	s_wait_kmcnt 0x0
	s_bfe_u32 s4, s4, 0xb0005
	s_delay_alu instid0(SALU_CYCLE_1)
	v_cmp_gt_u32_e32 vcc_lo, s4, v0
	s_and_saveexec_b32 s4, vcc_lo
	s_cbranch_execz .LBB19_8
; %bb.7:
	ds_load_u8 v6, v6
	s_wait_dscnt 0x0
	v_and_b32_e32 v6, 1, v6
	s_delay_alu instid0(VALU_DEP_1)
	v_cmp_eq_u32_e32 vcc_lo, 1, v6
	s_and_b32 s2, vcc_lo, exec_lo
.LBB19_8:
	s_or_b32 exec_lo, exec_lo, s4
	s_delay_alu instid0(SALU_CYCLE_1)
	s_mov_b32 s4, exec_lo
	v_cmpx_gt_u32_e32 32, v0
	s_cbranch_execz .LBB19_10
; %bb.9:
	v_cndmask_b32_e64 v6, 0, 1, s2
	ds_bpermute_b32 v1, v1, v6
	s_wait_dscnt 0x0
	v_cmp_ne_u32_e32 vcc_lo, 0, v1
	s_or_b32 s5, s2, vcc_lo
	s_and_not1_b32 s2, s2, exec_lo
	v_cndmask_b32_e64 v1, 0, 1, s5
	ds_bpermute_b32 v1, v2, v1
	s_wait_dscnt 0x0
	v_cmp_ne_u32_e32 vcc_lo, 0, v1
	s_or_b32 s5, s5, vcc_lo
	s_delay_alu instid0(SALU_CYCLE_1) | instskip(SKIP_4) | instid1(SALU_CYCLE_1)
	v_cndmask_b32_e64 v1, 0, 1, s5
	ds_bpermute_b32 v1, v3, v1
	s_wait_dscnt 0x0
	v_cmp_ne_u32_e32 vcc_lo, 0, v1
	s_or_b32 s5, s5, vcc_lo
	v_cndmask_b32_e64 v1, 0, 1, s5
	ds_bpermute_b32 v1, v4, v1
	s_wait_dscnt 0x0
	v_cmp_ne_u32_e32 vcc_lo, 0, v1
	s_or_b32 s5, s5, vcc_lo
	s_delay_alu instid0(SALU_CYCLE_1) | instskip(SKIP_4) | instid1(SALU_CYCLE_1)
	v_cndmask_b32_e64 v1, 0, 1, s5
	ds_bpermute_b32 v1, v5, v1
	s_wait_dscnt 0x0
	v_cmp_ne_u32_e32 vcc_lo, 0, v1
	s_or_b32 s5, s5, vcc_lo
	s_and_b32 s5, s5, exec_lo
	s_delay_alu instid0(SALU_CYCLE_1)
	s_or_b32 s2, s2, s5
.LBB19_10:
	s_or_b32 exec_lo, exec_lo, s4
	s_delay_alu instid0(SALU_CYCLE_1)
	s_mov_b32 s4, exec_lo
	v_cmpx_eq_u32_e32 0, v0
	s_cbranch_execz .LBB19_12
; %bb.11:
	s_load_b64 s[0:1], s[0:1], s3 offset:0x8 scale_offset
	v_cndmask_b32_e64 v0, 0, 1, s2
	v_mov_b32_e32 v1, 0
	s_wait_kmcnt 0x0
	global_store_b8 v1, v0, s[0:1]
.LBB19_12:
	s_endpgm
	.section	.rodata,"a",@progbits
	.p2align	6, 0x0
	.amdhsa_kernel _ZN2at6native13lpmax_cleanupIbEEvPKT_NS0_19TensorListAddressesEi
		.amdhsa_group_segment_fixed_size 512
		.amdhsa_private_segment_fixed_size 0
		.amdhsa_kernarg_size 3472
		.amdhsa_user_sgpr_count 2
		.amdhsa_user_sgpr_dispatch_ptr 0
		.amdhsa_user_sgpr_queue_ptr 0
		.amdhsa_user_sgpr_kernarg_segment_ptr 1
		.amdhsa_user_sgpr_dispatch_id 0
		.amdhsa_user_sgpr_kernarg_preload_length 0
		.amdhsa_user_sgpr_kernarg_preload_offset 0
		.amdhsa_user_sgpr_private_segment_size 0
		.amdhsa_wavefront_size32 1
		.amdhsa_uses_dynamic_stack 0
		.amdhsa_enable_private_segment 0
		.amdhsa_system_sgpr_workgroup_id_x 1
		.amdhsa_system_sgpr_workgroup_id_y 0
		.amdhsa_system_sgpr_workgroup_id_z 0
		.amdhsa_system_sgpr_workgroup_info 0
		.amdhsa_system_vgpr_workitem_id 0
		.amdhsa_next_free_vgpr 9
		.amdhsa_next_free_sgpr 14
		.amdhsa_named_barrier_count 0
		.amdhsa_reserve_vcc 1
		.amdhsa_float_round_mode_32 0
		.amdhsa_float_round_mode_16_64 0
		.amdhsa_float_denorm_mode_32 3
		.amdhsa_float_denorm_mode_16_64 3
		.amdhsa_fp16_overflow 0
		.amdhsa_memory_ordered 1
		.amdhsa_forward_progress 1
		.amdhsa_inst_pref_size 7
		.amdhsa_round_robin_scheduling 0
		.amdhsa_exception_fp_ieee_invalid_op 0
		.amdhsa_exception_fp_denorm_src 0
		.amdhsa_exception_fp_ieee_div_zero 0
		.amdhsa_exception_fp_ieee_overflow 0
		.amdhsa_exception_fp_ieee_underflow 0
		.amdhsa_exception_fp_ieee_inexact 0
		.amdhsa_exception_int_div_zero 0
	.end_amdhsa_kernel
	.section	.text._ZN2at6native13lpmax_cleanupIbEEvPKT_NS0_19TensorListAddressesEi,"axG",@progbits,_ZN2at6native13lpmax_cleanupIbEEvPKT_NS0_19TensorListAddressesEi,comdat
.Lfunc_end19:
	.size	_ZN2at6native13lpmax_cleanupIbEEvPKT_NS0_19TensorListAddressesEi, .Lfunc_end19-_ZN2at6native13lpmax_cleanupIbEEvPKT_NS0_19TensorListAddressesEi
                                        ; -- End function
	.set _ZN2at6native13lpmax_cleanupIbEEvPKT_NS0_19TensorListAddressesEi.num_vgpr, 9
	.set _ZN2at6native13lpmax_cleanupIbEEvPKT_NS0_19TensorListAddressesEi.num_agpr, 0
	.set _ZN2at6native13lpmax_cleanupIbEEvPKT_NS0_19TensorListAddressesEi.numbered_sgpr, 14
	.set _ZN2at6native13lpmax_cleanupIbEEvPKT_NS0_19TensorListAddressesEi.num_named_barrier, 0
	.set _ZN2at6native13lpmax_cleanupIbEEvPKT_NS0_19TensorListAddressesEi.private_seg_size, 0
	.set _ZN2at6native13lpmax_cleanupIbEEvPKT_NS0_19TensorListAddressesEi.uses_vcc, 1
	.set _ZN2at6native13lpmax_cleanupIbEEvPKT_NS0_19TensorListAddressesEi.uses_flat_scratch, 0
	.set _ZN2at6native13lpmax_cleanupIbEEvPKT_NS0_19TensorListAddressesEi.has_dyn_sized_stack, 0
	.set _ZN2at6native13lpmax_cleanupIbEEvPKT_NS0_19TensorListAddressesEi.has_recursion, 0
	.set _ZN2at6native13lpmax_cleanupIbEEvPKT_NS0_19TensorListAddressesEi.has_indirect_call, 0
	.section	.AMDGPU.csdata,"",@progbits
; Kernel info:
; codeLenInByte = 856
; TotalNumSgprs: 16
; NumVgprs: 9
; ScratchSize: 0
; MemoryBound: 0
; FloatMode: 240
; IeeeMode: 1
; LDSByteSize: 512 bytes/workgroup (compile time only)
; SGPRBlocks: 0
; VGPRBlocks: 0
; NumSGPRsForWavesPerEU: 16
; NumVGPRsForWavesPerEU: 9
; NamedBarCnt: 0
; Occupancy: 16
; WaveLimiterHint : 0
; COMPUTE_PGM_RSRC2:SCRATCH_EN: 0
; COMPUTE_PGM_RSRC2:USER_SGPR: 2
; COMPUTE_PGM_RSRC2:TRAP_HANDLER: 0
; COMPUTE_PGM_RSRC2:TGID_X_EN: 1
; COMPUTE_PGM_RSRC2:TGID_Y_EN: 0
; COMPUTE_PGM_RSRC2:TGID_Z_EN: 0
; COMPUTE_PGM_RSRC2:TIDIG_COMP_CNT: 0
	.section	.text._ZN2at6native12_GLOBAL__N_125multi_tensor_apply_kernelINS1_18TensorListMetadataILi1EEENS0_13LpNormFunctorIdLNS0_8NormTypeE0EdLi1ELi1ELi0EEEJPdiEEEvT_T0_DpT1_,"axG",@progbits,_ZN2at6native12_GLOBAL__N_125multi_tensor_apply_kernelINS1_18TensorListMetadataILi1EEENS0_13LpNormFunctorIdLNS0_8NormTypeE0EdLi1ELi1ELi0EEEJPdiEEEvT_T0_DpT1_,comdat
	.globl	_ZN2at6native12_GLOBAL__N_125multi_tensor_apply_kernelINS1_18TensorListMetadataILi1EEENS0_13LpNormFunctorIdLNS0_8NormTypeE0EdLi1ELi1ELi0EEEJPdiEEEvT_T0_DpT1_ ; -- Begin function _ZN2at6native12_GLOBAL__N_125multi_tensor_apply_kernelINS1_18TensorListMetadataILi1EEENS0_13LpNormFunctorIdLNS0_8NormTypeE0EdLi1ELi1ELi0EEEJPdiEEEvT_T0_DpT1_
	.p2align	8
	.type	_ZN2at6native12_GLOBAL__N_125multi_tensor_apply_kernelINS1_18TensorListMetadataILi1EEENS0_13LpNormFunctorIdLNS0_8NormTypeE0EdLi1ELi1ELi0EEEJPdiEEEvT_T0_DpT1_,@function
_ZN2at6native12_GLOBAL__N_125multi_tensor_apply_kernelINS1_18TensorListMetadataILi1EEENS0_13LpNormFunctorIdLNS0_8NormTypeE0EdLi1ELi1ELi0EEEJPdiEEEvT_T0_DpT1_: ; @_ZN2at6native12_GLOBAL__N_125multi_tensor_apply_kernelINS1_18TensorListMetadataILi1EEENS0_13LpNormFunctorIdLNS0_8NormTypeE0EdLi1ELi1ELi0EEEJPdiEEEvT_T0_DpT1_
; %bb.0:
	s_bfe_u32 s2, ttmp6, 0x4000c
	s_and_b32 s3, ttmp6, 15
	s_add_co_i32 s2, s2, 1
	s_getreg_b32 s4, hwreg(HW_REG_IB_STS2, 6, 4)
	s_mul_i32 s2, ttmp9, s2
	s_delay_alu instid0(SALU_CYCLE_1)
	s_add_co_i32 s3, s3, s2
	s_cmp_eq_u32 s4, 0
	s_cselect_b32 s2, ttmp9, s3
	s_mov_b32 s3, 0
	v_mov_b32_e32 v1, s2
	s_add_nc_u64 s[4:5], s[0:1], s[2:3]
	s_mul_u64 s[6:7], s[2:3], 3
	s_delay_alu instid0(SALU_CYCLE_1) | instskip(SKIP_4) | instid1(SALU_CYCLE_1)
	s_add_nc_u64 s[4:5], s[4:5], s[6:7]
	global_load_u8 v21, v1, s[0:1] offset:1760
	s_load_b32 s4, s[4:5], 0x820
	s_wait_kmcnt 0x0
	s_ashr_i32 s5, s4, 31
	s_lshl_b64 s[10:11], s[4:5], 19
	s_lshl_b64 s[12:13], s[4:5], 16
	s_wait_loadcnt 0x0
	v_readfirstlane_b32 s2, v21
	s_and_b32 s2, s2, 0xff
	s_clause 0x1
	s_load_b64 s[6:7], s[0:1], s2 offset:0x0 scale_offset
	s_load_b64 s[8:9], s[0:1], s2 offset:0x370 scale_offset
	s_wait_kmcnt 0x0
	s_add_nc_u64 s[6:7], s[6:7], s[10:11]
	s_and_b32 s2, s8, 3
	s_and_b64 s[10:11], s[6:7], 31
	s_sub_nc_u64 s[8:9], s[8:9], s[12:13]
	s_or_b64 s[10:11], s[2:3], s[10:11]
	s_delay_alu instid0(SALU_CYCLE_1)
	s_cmp_eq_u64 s[10:11], 0
	s_cbranch_scc1 .LBB20_12
; %bb.1:
	v_cmp_lt_i64_e64 s2, s[8:9], 1
	s_and_b32 vcc_lo, exec_lo, s2
	s_cbranch_vccnz .LBB20_28
; %bb.2:
	s_load_b32 s2, s[0:1], 0xd4c
	v_min_i64 v[18:19], 0x10000, s[8:9]
	s_mov_b32 s11, 0
	s_mov_b64 s[12:13], 0
	s_wait_kmcnt 0x0
	s_and_b32 s2, s2, 0xffff
	s_delay_alu instid0(SALU_CYCLE_1) | instskip(SKIP_3) | instid1(VALU_DEP_3)
	v_dual_mov_b32 v11, 0 :: v_dual_add_nc_u32 v24, s2, v0
	v_mad_u32 v20, s2, 3, v0
	v_lshl_add_u32 v22, s2, 1, v0
	s_lshl_b32 s10, s2, 2
	v_dual_mov_b32 v10, v11 :: v_dual_mov_b32 v12, v11
	v_dual_mov_b32 v13, v11 :: v_dual_mov_b32 v14, v11
	;; [unrolled: 1-line block ×3, first 2 shown]
	v_mov_b32_e32 v17, v11
	s_delay_alu instid0(VALU_DEP_4) | instskip(NEXT) | instid1(VALU_DEP_4)
	v_mov_b64_e32 v[2:3], v[10:11]
	v_mov_b64_e32 v[4:5], v[12:13]
	s_delay_alu instid0(VALU_DEP_4) | instskip(NEXT) | instid1(VALU_DEP_4)
	v_mov_b64_e32 v[6:7], v[14:15]
	v_mov_b64_e32 v[8:9], v[16:17]
	s_branch .LBB20_4
.LBB20_3:                               ;   in Loop: Header=BB20_4 Depth=1
	s_or_b32 exec_lo, exec_lo, s2
	s_add_nc_u64 s[12:13], s[12:13], s[10:11]
	s_delay_alu instid0(SALU_CYCLE_1)
	v_cmp_lt_i64_e32 vcc_lo, s[12:13], v[18:19]
	s_cbranch_vccz .LBB20_13
.LBB20_4:                               ; =>This Inner Loop Header: Depth=1
	v_add_nc_u32_e32 v10, s12, v0
	s_delay_alu instid0(VALU_DEP_1) | instskip(SKIP_2) | instid1(SALU_CYCLE_1)
	v_cmp_gt_i64_e32 vcc_lo, s[8:9], v[10:11]
	v_cmp_gt_u32_e64 s2, 0x10000, v10
	s_and_b32 s5, s2, vcc_lo
	s_and_saveexec_b32 s2, s5
	s_cbranch_execz .LBB20_6
; %bb.5:                                ;   in Loop: Header=BB20_4 Depth=1
	v_lshl_add_u64 v[12:13], v[10:11], 3, s[6:7]
	global_load_b64 v[12:13], v[12:13], off
	s_wait_loadcnt 0x0
	v_cmp_neq_f64_e32 vcc_lo, 0, v[12:13]
	v_mov_b32_e32 v12, v11
	v_cndmask_b32_e64 v13, 0, 0x3ff00000, vcc_lo
	s_delay_alu instid0(VALU_DEP_1)
	v_add_f64_e32 v[2:3], v[2:3], v[12:13]
.LBB20_6:                               ;   in Loop: Header=BB20_4 Depth=1
	s_or_b32 exec_lo, exec_lo, s2
	v_add_nc_u32_e32 v10, s12, v24
	s_delay_alu instid0(VALU_DEP_1) | instskip(SKIP_2) | instid1(SALU_CYCLE_1)
	v_cmp_gt_i64_e32 vcc_lo, s[8:9], v[10:11]
	v_cmp_gt_u32_e64 s2, 0x10000, v10
	s_and_b32 s5, s2, vcc_lo
	s_and_saveexec_b32 s2, s5
	s_cbranch_execz .LBB20_8
; %bb.7:                                ;   in Loop: Header=BB20_4 Depth=1
	v_lshl_add_u64 v[12:13], v[10:11], 3, s[6:7]
	global_load_b64 v[12:13], v[12:13], off
	s_wait_loadcnt 0x0
	v_cmp_neq_f64_e32 vcc_lo, 0, v[12:13]
	v_mov_b32_e32 v12, v11
	v_cndmask_b32_e64 v13, 0, 0x3ff00000, vcc_lo
	s_delay_alu instid0(VALU_DEP_1)
	v_add_f64_e32 v[4:5], v[4:5], v[12:13]
.LBB20_8:                               ;   in Loop: Header=BB20_4 Depth=1
	s_or_b32 exec_lo, exec_lo, s2
	v_add_nc_u32_e32 v10, s12, v22
	s_delay_alu instid0(VALU_DEP_1) | instskip(SKIP_2) | instid1(SALU_CYCLE_1)
	v_cmp_gt_i64_e32 vcc_lo, s[8:9], v[10:11]
	v_cmp_gt_u32_e64 s2, 0x10000, v10
	s_and_b32 s5, s2, vcc_lo
	s_and_saveexec_b32 s2, s5
	s_cbranch_execz .LBB20_10
; %bb.9:                                ;   in Loop: Header=BB20_4 Depth=1
	v_lshl_add_u64 v[12:13], v[10:11], 3, s[6:7]
	global_load_b64 v[12:13], v[12:13], off
	s_wait_loadcnt 0x0
	v_cmp_neq_f64_e32 vcc_lo, 0, v[12:13]
	v_mov_b32_e32 v12, v11
	v_cndmask_b32_e64 v13, 0, 0x3ff00000, vcc_lo
	s_delay_alu instid0(VALU_DEP_1)
	v_add_f64_e32 v[6:7], v[6:7], v[12:13]
.LBB20_10:                              ;   in Loop: Header=BB20_4 Depth=1
	s_or_b32 exec_lo, exec_lo, s2
	v_add_nc_u32_e32 v10, s12, v20
	s_delay_alu instid0(VALU_DEP_1) | instskip(SKIP_2) | instid1(SALU_CYCLE_1)
	v_cmp_gt_i64_e32 vcc_lo, s[8:9], v[10:11]
	v_cmp_gt_u32_e64 s2, 0x10000, v10
	s_and_b32 s5, s2, vcc_lo
	s_and_saveexec_b32 s2, s5
	s_cbranch_execz .LBB20_3
; %bb.11:                               ;   in Loop: Header=BB20_4 Depth=1
	v_lshl_add_u64 v[12:13], v[10:11], 3, s[6:7]
	global_load_b64 v[12:13], v[12:13], off
	s_wait_loadcnt 0x0
	v_cmp_neq_f64_e32 vcc_lo, 0, v[12:13]
	v_mov_b32_e32 v12, v11
	v_cndmask_b32_e64 v13, 0, 0x3ff00000, vcc_lo
	s_delay_alu instid0(VALU_DEP_1)
	v_add_f64_e32 v[8:9], v[8:9], v[12:13]
	s_branch .LBB20_3
.LBB20_12:
	s_mov_b32 s3, -1
                                        ; implicit-def: $vgpr2_vgpr3_vgpr4_vgpr5_vgpr6_vgpr7_vgpr8_vgpr9
.LBB20_13:
	s_delay_alu instid0(SALU_CYCLE_1)
	s_and_not1_b32 vcc_lo, exec_lo, s3
	s_cbranch_vccnz .LBB20_19
.LBB20_14:
	v_min_i64 v[12:13], 0x10000, s[8:9]
	v_dual_mov_b32 v2, 0 :: v_dual_lshlrev_b32 v8, 2, v0
	s_mov_b32 s3, 0
	s_delay_alu instid0(VALU_DEP_1) | instskip(SKIP_2) | instid1(VALU_DEP_3)
	v_dual_mov_b32 v9, v2 :: v_dual_mov_b32 v3, v2
	v_dual_mov_b32 v4, v2 :: v_dual_mov_b32 v5, v2
	;; [unrolled: 1-line block ×3, first 2 shown]
	v_cmp_lt_i64_e32 vcc_lo, v[8:9], v[12:13]
	v_mov_b32_e32 v8, v2
	s_and_saveexec_b32 s5, vcc_lo
	s_cbranch_execz .LBB20_18
; %bb.15:
	s_load_b32 s2, s[0:1], 0xd4c
	v_dual_mov_b32 v5, v2 :: v_dual_lshlrev_b32 v4, 5, v0
	v_mov_b32_e32 v1, v2
	v_mov_b64_e32 v[6:7], 0
	v_mov_b64_e32 v[8:9], 0
	;; [unrolled: 1-line block ×3, first 2 shown]
	v_add_nc_u64_e32 v[14:15], s[6:7], v[4:5]
	v_mov_b64_e32 v[4:5], 0
	v_mov_b64_e32 v[16:17], v[0:1]
	s_mov_b32 s7, s3
	s_mov_b32 s8, s3
	s_delay_alu instid0(VALU_DEP_3) | instskip(SKIP_2) | instid1(SALU_CYCLE_1)
	v_add_nc_u64_e32 v[14:15], 16, v[14:15]
	s_wait_kmcnt 0x0
	s_and_b32 s2, s2, 0xffff
	s_lshl_b32 s6, s2, 5
.LBB20_16:                              ; =>This Inner Loop Header: Depth=1
	s_clause 0x1
	global_load_b128 v[22:25], v[14:15], off offset:-16
	global_load_b128 v[26:29], v[14:15], off
	v_add_nc_u64_e32 v[16:17], s[2:3], v[16:17]
	s_wait_xcnt 0x0
	v_add_nc_u64_e32 v[14:15], s[6:7], v[14:15]
	s_delay_alu instid0(VALU_DEP_2) | instskip(SKIP_4) | instid1(VALU_DEP_2)
	v_lshlrev_b64_e32 v[18:19], 2, v[16:17]
	s_wait_loadcnt 0x1
	v_cmp_neq_f64_e32 vcc_lo, 0, v[22:23]
	v_cndmask_b32_e64 v3, 0, 0x3ff00000, vcc_lo
	v_cmp_neq_f64_e32 vcc_lo, 0, v[24:25]
	v_add_f64_e32 v[4:5], v[4:5], v[2:3]
	v_cndmask_b32_e64 v3, 0, 0x3ff00000, vcc_lo
	s_wait_loadcnt 0x0
	v_cmp_neq_f64_e32 vcc_lo, 0, v[26:27]
	s_delay_alu instid0(VALU_DEP_2) | instskip(SKIP_2) | instid1(VALU_DEP_2)
	v_add_f64_e32 v[6:7], v[6:7], v[2:3]
	v_cndmask_b32_e64 v3, 0, 0x3ff00000, vcc_lo
	v_cmp_neq_f64_e32 vcc_lo, 0, v[28:29]
	v_add_f64_e32 v[8:9], v[8:9], v[2:3]
	v_cndmask_b32_e64 v3, 0, 0x3ff00000, vcc_lo
	v_cmp_ge_i64_e32 vcc_lo, v[18:19], v[12:13]
	s_delay_alu instid0(VALU_DEP_2) | instskip(SKIP_1) | instid1(SALU_CYCLE_1)
	v_add_f64_e32 v[10:11], v[10:11], v[2:3]
	s_or_b32 s8, vcc_lo, s8
	s_and_not1_b32 exec_lo, exec_lo, s8
	s_cbranch_execnz .LBB20_16
; %bb.17:
	s_or_b32 exec_lo, exec_lo, s8
	v_mov_b64_e32 v[2:3], v[4:5]
	v_mov_b64_e32 v[4:5], v[6:7]
	;; [unrolled: 1-line block ×3, first 2 shown]
	s_delay_alu instid0(VALU_DEP_4)
	v_mov_b64_e32 v[8:9], v[10:11]
.LBB20_18:
	s_or_b32 exec_lo, exec_lo, s5
.LBB20_19:
	s_delay_alu instid0(VALU_DEP_4) | instskip(SKIP_3) | instid1(VALU_DEP_1)
	v_add_f64_e32 v[2:3], 0, v[2:3]
	s_mov_b32 s2, exec_lo
	s_barrier_signal -1
	s_barrier_wait -1
	v_dual_add_f64 v[2:3], v[4:5], v[2:3] :: v_dual_bitop2_b32 v10, 31, v0 bitop3:0x40
	s_delay_alu instid0(VALU_DEP_1) | instskip(NEXT) | instid1(VALU_DEP_1)
	v_add_f64_e32 v[2:3], v[6:7], v[2:3]
	v_add_f64_e32 v[2:3], v[8:9], v[2:3]
	v_mbcnt_lo_u32_b32 v9, -1, 0
	s_delay_alu instid0(VALU_DEP_1)
	v_lshl_or_b32 v1, v9, 2, 64
	v_cmp_gt_u32_e32 vcc_lo, 24, v9
	ds_bpermute_b32 v4, v1, v2
	ds_bpermute_b32 v5, v1, v3
	s_wait_dscnt 0x0
	v_add_f64_e32 v[2:3], v[2:3], v[4:5]
	v_cndmask_b32_e64 v4, 0, 8, vcc_lo
	v_cmp_gt_u32_e32 vcc_lo, 28, v9
	s_delay_alu instid0(VALU_DEP_2)
	v_add_lshl_u32 v6, v4, v9, 2
	ds_bpermute_b32 v4, v6, v2
	ds_bpermute_b32 v5, v6, v3
	s_wait_dscnt 0x0
	v_add_f64_e32 v[2:3], v[2:3], v[4:5]
	v_cndmask_b32_e64 v4, 0, 4, vcc_lo
	v_cmp_gt_u32_e32 vcc_lo, 30, v9
	s_delay_alu instid0(VALU_DEP_2)
	v_add_lshl_u32 v7, v4, v9, 2
	ds_bpermute_b32 v4, v7, v2
	ds_bpermute_b32 v5, v7, v3
	s_wait_dscnt 0x0
	v_add_f64_e32 v[2:3], v[2:3], v[4:5]
	v_cndmask_b32_e64 v4, 0, 2, vcc_lo
	v_cmp_ne_u32_e32 vcc_lo, 31, v9
	s_delay_alu instid0(VALU_DEP_2)
	v_add_lshl_u32 v8, v4, v9, 2
	ds_bpermute_b32 v4, v8, v2
	ds_bpermute_b32 v5, v8, v3
	s_wait_dscnt 0x0
	v_add_f64_e32 v[2:3], v[2:3], v[4:5]
	v_add_co_ci_u32_e64 v4, null, 0, v9, vcc_lo
	s_delay_alu instid0(VALU_DEP_1)
	v_lshlrev_b32_e32 v9, 2, v4
	ds_bpermute_b32 v4, v9, v2
	ds_bpermute_b32 v5, v9, v3
	v_cmpx_eq_u32_e32 0, v10
	s_cbranch_execz .LBB20_21
; %bb.20:
	s_wait_dscnt 0x0
	v_add_f64_e32 v[2:3], v[2:3], v[4:5]
	v_lshrrev_b32_e32 v4, 2, v0
	ds_store_b64 v4, v[2:3]
.LBB20_21:
	s_or_b32 exec_lo, exec_lo, s2
	s_wait_dscnt 0x0
	s_barrier_signal -1
	s_barrier_wait -1
	s_load_b32 s2, s[0:1], 0xd4c
	v_mov_b64_e32 v[2:3], 0
	s_wait_kmcnt 0x0
	s_bfe_u32 s2, s2, 0xb0005
	s_delay_alu instid0(SALU_CYCLE_1)
	v_cmp_gt_u32_e32 vcc_lo, s2, v0
	s_and_saveexec_b32 s2, vcc_lo
; %bb.22:
	v_lshlrev_b32_e32 v2, 3, v10
	ds_load_b64 v[2:3], v2
; %bb.23:
	s_or_b32 exec_lo, exec_lo, s2
	s_delay_alu instid0(SALU_CYCLE_1)
	s_mov_b32 s2, exec_lo
	v_cmpx_gt_u32_e32 32, v0
	s_cbranch_execz .LBB20_25
; %bb.24:
	s_wait_dscnt 0x0
	ds_bpermute_b32 v4, v1, v2
	ds_bpermute_b32 v5, v1, v3
	s_wait_dscnt 0x0
	v_add_f64_e32 v[2:3], v[2:3], v[4:5]
	ds_bpermute_b32 v4, v6, v2
	ds_bpermute_b32 v5, v6, v3
	s_wait_dscnt 0x0
	v_add_f64_e32 v[2:3], v[2:3], v[4:5]
	;; [unrolled: 4-line block ×5, first 2 shown]
.LBB20_25:
	s_or_b32 exec_lo, exec_lo, s2
	s_delay_alu instid0(SALU_CYCLE_1)
	s_mov_b32 s2, exec_lo
	v_cmpx_eq_u32_e32 0, v0
	s_cbranch_execz .LBB20_27
; %bb.26:
	s_clause 0x1
	s_load_b32 s2, s[0:1], 0xd20
	s_load_b96 s[8:10], s[0:1], 0xd30
	v_and_b32_e32 v0, 0xff, v21
	s_wait_kmcnt 0x0
	s_delay_alu instid0(VALU_DEP_1) | instskip(NEXT) | instid1(VALU_DEP_1)
	v_add_nc_u32_e32 v0, s2, v0
	v_mul_lo_u32 v0, v0, s10
	s_delay_alu instid0(VALU_DEP_1)
	v_add_nc_u32_e32 v0, s4, v0
	s_wait_dscnt 0x0
	global_store_b64 v0, v[2:3], s[8:9] scale_offset
.LBB20_27:
	s_endpgm
.LBB20_28:
	v_mov_b32_e32 v2, 0
	s_delay_alu instid0(VALU_DEP_1)
	v_dual_mov_b32 v3, v2 :: v_dual_mov_b32 v4, v2
	v_dual_mov_b32 v5, v2 :: v_dual_mov_b32 v6, v2
	;; [unrolled: 1-line block ×3, first 2 shown]
	v_mov_b32_e32 v9, v2
	s_and_not1_b32 vcc_lo, exec_lo, s3
	s_cbranch_vccz .LBB20_14
	s_branch .LBB20_19
	.section	.rodata,"a",@progbits
	.p2align	6, 0x0
	.amdhsa_kernel _ZN2at6native12_GLOBAL__N_125multi_tensor_apply_kernelINS1_18TensorListMetadataILi1EEENS0_13LpNormFunctorIdLNS0_8NormTypeE0EdLi1ELi1ELi0EEEJPdiEEEvT_T0_DpT1_
		.amdhsa_group_segment_fixed_size 4096
		.amdhsa_private_segment_fixed_size 0
		.amdhsa_kernarg_size 3648
		.amdhsa_user_sgpr_count 2
		.amdhsa_user_sgpr_dispatch_ptr 0
		.amdhsa_user_sgpr_queue_ptr 0
		.amdhsa_user_sgpr_kernarg_segment_ptr 1
		.amdhsa_user_sgpr_dispatch_id 0
		.amdhsa_user_sgpr_kernarg_preload_length 0
		.amdhsa_user_sgpr_kernarg_preload_offset 0
		.amdhsa_user_sgpr_private_segment_size 0
		.amdhsa_wavefront_size32 1
		.amdhsa_uses_dynamic_stack 0
		.amdhsa_enable_private_segment 0
		.amdhsa_system_sgpr_workgroup_id_x 1
		.amdhsa_system_sgpr_workgroup_id_y 0
		.amdhsa_system_sgpr_workgroup_id_z 0
		.amdhsa_system_sgpr_workgroup_info 0
		.amdhsa_system_vgpr_workitem_id 0
		.amdhsa_next_free_vgpr 30
		.amdhsa_next_free_sgpr 14
		.amdhsa_named_barrier_count 0
		.amdhsa_reserve_vcc 1
		.amdhsa_float_round_mode_32 0
		.amdhsa_float_round_mode_16_64 0
		.amdhsa_float_denorm_mode_32 3
		.amdhsa_float_denorm_mode_16_64 3
		.amdhsa_fp16_overflow 0
		.amdhsa_memory_ordered 1
		.amdhsa_forward_progress 1
		.amdhsa_inst_pref_size 14
		.amdhsa_round_robin_scheduling 0
		.amdhsa_exception_fp_ieee_invalid_op 0
		.amdhsa_exception_fp_denorm_src 0
		.amdhsa_exception_fp_ieee_div_zero 0
		.amdhsa_exception_fp_ieee_overflow 0
		.amdhsa_exception_fp_ieee_underflow 0
		.amdhsa_exception_fp_ieee_inexact 0
		.amdhsa_exception_int_div_zero 0
	.end_amdhsa_kernel
	.section	.text._ZN2at6native12_GLOBAL__N_125multi_tensor_apply_kernelINS1_18TensorListMetadataILi1EEENS0_13LpNormFunctorIdLNS0_8NormTypeE0EdLi1ELi1ELi0EEEJPdiEEEvT_T0_DpT1_,"axG",@progbits,_ZN2at6native12_GLOBAL__N_125multi_tensor_apply_kernelINS1_18TensorListMetadataILi1EEENS0_13LpNormFunctorIdLNS0_8NormTypeE0EdLi1ELi1ELi0EEEJPdiEEEvT_T0_DpT1_,comdat
.Lfunc_end20:
	.size	_ZN2at6native12_GLOBAL__N_125multi_tensor_apply_kernelINS1_18TensorListMetadataILi1EEENS0_13LpNormFunctorIdLNS0_8NormTypeE0EdLi1ELi1ELi0EEEJPdiEEEvT_T0_DpT1_, .Lfunc_end20-_ZN2at6native12_GLOBAL__N_125multi_tensor_apply_kernelINS1_18TensorListMetadataILi1EEENS0_13LpNormFunctorIdLNS0_8NormTypeE0EdLi1ELi1ELi0EEEJPdiEEEvT_T0_DpT1_
                                        ; -- End function
	.set _ZN2at6native12_GLOBAL__N_125multi_tensor_apply_kernelINS1_18TensorListMetadataILi1EEENS0_13LpNormFunctorIdLNS0_8NormTypeE0EdLi1ELi1ELi0EEEJPdiEEEvT_T0_DpT1_.num_vgpr, 30
	.set _ZN2at6native12_GLOBAL__N_125multi_tensor_apply_kernelINS1_18TensorListMetadataILi1EEENS0_13LpNormFunctorIdLNS0_8NormTypeE0EdLi1ELi1ELi0EEEJPdiEEEvT_T0_DpT1_.num_agpr, 0
	.set _ZN2at6native12_GLOBAL__N_125multi_tensor_apply_kernelINS1_18TensorListMetadataILi1EEENS0_13LpNormFunctorIdLNS0_8NormTypeE0EdLi1ELi1ELi0EEEJPdiEEEvT_T0_DpT1_.numbered_sgpr, 14
	.set _ZN2at6native12_GLOBAL__N_125multi_tensor_apply_kernelINS1_18TensorListMetadataILi1EEENS0_13LpNormFunctorIdLNS0_8NormTypeE0EdLi1ELi1ELi0EEEJPdiEEEvT_T0_DpT1_.num_named_barrier, 0
	.set _ZN2at6native12_GLOBAL__N_125multi_tensor_apply_kernelINS1_18TensorListMetadataILi1EEENS0_13LpNormFunctorIdLNS0_8NormTypeE0EdLi1ELi1ELi0EEEJPdiEEEvT_T0_DpT1_.private_seg_size, 0
	.set _ZN2at6native12_GLOBAL__N_125multi_tensor_apply_kernelINS1_18TensorListMetadataILi1EEENS0_13LpNormFunctorIdLNS0_8NormTypeE0EdLi1ELi1ELi0EEEJPdiEEEvT_T0_DpT1_.uses_vcc, 1
	.set _ZN2at6native12_GLOBAL__N_125multi_tensor_apply_kernelINS1_18TensorListMetadataILi1EEENS0_13LpNormFunctorIdLNS0_8NormTypeE0EdLi1ELi1ELi0EEEJPdiEEEvT_T0_DpT1_.uses_flat_scratch, 0
	.set _ZN2at6native12_GLOBAL__N_125multi_tensor_apply_kernelINS1_18TensorListMetadataILi1EEENS0_13LpNormFunctorIdLNS0_8NormTypeE0EdLi1ELi1ELi0EEEJPdiEEEvT_T0_DpT1_.has_dyn_sized_stack, 0
	.set _ZN2at6native12_GLOBAL__N_125multi_tensor_apply_kernelINS1_18TensorListMetadataILi1EEENS0_13LpNormFunctorIdLNS0_8NormTypeE0EdLi1ELi1ELi0EEEJPdiEEEvT_T0_DpT1_.has_recursion, 0
	.set _ZN2at6native12_GLOBAL__N_125multi_tensor_apply_kernelINS1_18TensorListMetadataILi1EEENS0_13LpNormFunctorIdLNS0_8NormTypeE0EdLi1ELi1ELi0EEEJPdiEEEvT_T0_DpT1_.has_indirect_call, 0
	.section	.AMDGPU.csdata,"",@progbits
; Kernel info:
; codeLenInByte = 1712
; TotalNumSgprs: 16
; NumVgprs: 30
; ScratchSize: 0
; MemoryBound: 0
; FloatMode: 240
; IeeeMode: 1
; LDSByteSize: 4096 bytes/workgroup (compile time only)
; SGPRBlocks: 0
; VGPRBlocks: 1
; NumSGPRsForWavesPerEU: 16
; NumVGPRsForWavesPerEU: 30
; NamedBarCnt: 0
; Occupancy: 16
; WaveLimiterHint : 0
; COMPUTE_PGM_RSRC2:SCRATCH_EN: 0
; COMPUTE_PGM_RSRC2:USER_SGPR: 2
; COMPUTE_PGM_RSRC2:TRAP_HANDLER: 0
; COMPUTE_PGM_RSRC2:TGID_X_EN: 1
; COMPUTE_PGM_RSRC2:TGID_Y_EN: 0
; COMPUTE_PGM_RSRC2:TGID_Z_EN: 0
; COMPUTE_PGM_RSRC2:TIDIG_COMP_CNT: 0
	.section	.text._ZN2at6native12_GLOBAL__N_125multi_tensor_apply_kernelINS1_18TensorListMetadataILi1EEENS0_13LpNormFunctorIdLNS0_8NormTypeE1EdLi1ELi1ELi0EEEJPdiEEEvT_T0_DpT1_,"axG",@progbits,_ZN2at6native12_GLOBAL__N_125multi_tensor_apply_kernelINS1_18TensorListMetadataILi1EEENS0_13LpNormFunctorIdLNS0_8NormTypeE1EdLi1ELi1ELi0EEEJPdiEEEvT_T0_DpT1_,comdat
	.globl	_ZN2at6native12_GLOBAL__N_125multi_tensor_apply_kernelINS1_18TensorListMetadataILi1EEENS0_13LpNormFunctorIdLNS0_8NormTypeE1EdLi1ELi1ELi0EEEJPdiEEEvT_T0_DpT1_ ; -- Begin function _ZN2at6native12_GLOBAL__N_125multi_tensor_apply_kernelINS1_18TensorListMetadataILi1EEENS0_13LpNormFunctorIdLNS0_8NormTypeE1EdLi1ELi1ELi0EEEJPdiEEEvT_T0_DpT1_
	.p2align	8
	.type	_ZN2at6native12_GLOBAL__N_125multi_tensor_apply_kernelINS1_18TensorListMetadataILi1EEENS0_13LpNormFunctorIdLNS0_8NormTypeE1EdLi1ELi1ELi0EEEJPdiEEEvT_T0_DpT1_,@function
_ZN2at6native12_GLOBAL__N_125multi_tensor_apply_kernelINS1_18TensorListMetadataILi1EEENS0_13LpNormFunctorIdLNS0_8NormTypeE1EdLi1ELi1ELi0EEEJPdiEEEvT_T0_DpT1_: ; @_ZN2at6native12_GLOBAL__N_125multi_tensor_apply_kernelINS1_18TensorListMetadataILi1EEENS0_13LpNormFunctorIdLNS0_8NormTypeE1EdLi1ELi1ELi0EEEJPdiEEEvT_T0_DpT1_
; %bb.0:
	s_bfe_u32 s2, ttmp6, 0x4000c
	s_and_b32 s3, ttmp6, 15
	s_add_co_i32 s2, s2, 1
	s_getreg_b32 s4, hwreg(HW_REG_IB_STS2, 6, 4)
	s_mul_i32 s2, ttmp9, s2
	s_delay_alu instid0(SALU_CYCLE_1)
	s_add_co_i32 s3, s3, s2
	s_cmp_eq_u32 s4, 0
	s_cselect_b32 s2, ttmp9, s3
	s_mov_b32 s3, 0
	v_mov_b32_e32 v1, s2
	s_add_nc_u64 s[4:5], s[0:1], s[2:3]
	s_mul_u64 s[6:7], s[2:3], 3
	s_delay_alu instid0(SALU_CYCLE_1) | instskip(SKIP_4) | instid1(SALU_CYCLE_1)
	s_add_nc_u64 s[4:5], s[4:5], s[6:7]
	global_load_u8 v21, v1, s[0:1] offset:1760
	s_load_b32 s4, s[4:5], 0x820
	s_wait_kmcnt 0x0
	s_ashr_i32 s5, s4, 31
	s_lshl_b64 s[10:11], s[4:5], 19
	s_lshl_b64 s[12:13], s[4:5], 16
	s_wait_loadcnt 0x0
	v_readfirstlane_b32 s2, v21
	s_and_b32 s2, s2, 0xff
	s_clause 0x1
	s_load_b64 s[6:7], s[0:1], s2 offset:0x0 scale_offset
	s_load_b64 s[8:9], s[0:1], s2 offset:0x370 scale_offset
	s_wait_kmcnt 0x0
	s_add_nc_u64 s[6:7], s[6:7], s[10:11]
	s_and_b32 s2, s8, 3
	s_and_b64 s[10:11], s[6:7], 31
	s_sub_nc_u64 s[8:9], s[8:9], s[12:13]
	s_or_b64 s[10:11], s[2:3], s[10:11]
	s_delay_alu instid0(SALU_CYCLE_1)
	s_cmp_eq_u64 s[10:11], 0
	s_cbranch_scc1 .LBB21_12
; %bb.1:
	v_cmp_lt_i64_e64 s2, s[8:9], 1
	s_and_b32 vcc_lo, exec_lo, s2
	s_cbranch_vccnz .LBB21_28
; %bb.2:
	s_load_b32 s2, s[0:1], 0xd4c
	v_min_i64 v[18:19], 0x10000, s[8:9]
	s_mov_b32 s11, 0
	s_mov_b64 s[12:13], 0
	s_wait_kmcnt 0x0
	s_and_b32 s2, s2, 0xffff
	s_delay_alu instid0(SALU_CYCLE_1) | instskip(SKIP_3) | instid1(VALU_DEP_3)
	v_dual_mov_b32 v11, 0 :: v_dual_add_nc_u32 v24, s2, v0
	v_mad_u32 v20, s2, 3, v0
	v_lshl_add_u32 v22, s2, 1, v0
	s_lshl_b32 s10, s2, 2
	v_dual_mov_b32 v10, v11 :: v_dual_mov_b32 v12, v11
	v_dual_mov_b32 v13, v11 :: v_dual_mov_b32 v14, v11
	;; [unrolled: 1-line block ×3, first 2 shown]
	v_mov_b32_e32 v17, v11
	s_delay_alu instid0(VALU_DEP_4) | instskip(NEXT) | instid1(VALU_DEP_4)
	v_mov_b64_e32 v[2:3], v[10:11]
	v_mov_b64_e32 v[4:5], v[12:13]
	s_delay_alu instid0(VALU_DEP_4) | instskip(NEXT) | instid1(VALU_DEP_4)
	v_mov_b64_e32 v[6:7], v[14:15]
	v_mov_b64_e32 v[8:9], v[16:17]
	s_branch .LBB21_4
.LBB21_3:                               ;   in Loop: Header=BB21_4 Depth=1
	s_or_b32 exec_lo, exec_lo, s2
	s_add_nc_u64 s[12:13], s[12:13], s[10:11]
	s_delay_alu instid0(SALU_CYCLE_1)
	v_cmp_lt_i64_e32 vcc_lo, s[12:13], v[18:19]
	s_cbranch_vccz .LBB21_13
.LBB21_4:                               ; =>This Inner Loop Header: Depth=1
	v_add_nc_u32_e32 v10, s12, v0
	s_delay_alu instid0(VALU_DEP_1) | instskip(SKIP_2) | instid1(SALU_CYCLE_1)
	v_cmp_gt_i64_e32 vcc_lo, s[8:9], v[10:11]
	v_cmp_gt_u32_e64 s2, 0x10000, v10
	s_and_b32 s5, s2, vcc_lo
	s_and_saveexec_b32 s2, s5
	s_cbranch_execz .LBB21_6
; %bb.5:                                ;   in Loop: Header=BB21_4 Depth=1
	v_lshl_add_u64 v[12:13], v[10:11], 3, s[6:7]
	global_load_b64 v[12:13], v[12:13], off
	s_wait_loadcnt 0x0
	v_add_f64_e64 v[2:3], v[2:3], |v[12:13]|
.LBB21_6:                               ;   in Loop: Header=BB21_4 Depth=1
	s_or_b32 exec_lo, exec_lo, s2
	v_add_nc_u32_e32 v10, s12, v24
	s_delay_alu instid0(VALU_DEP_1) | instskip(SKIP_2) | instid1(SALU_CYCLE_1)
	v_cmp_gt_i64_e32 vcc_lo, s[8:9], v[10:11]
	v_cmp_gt_u32_e64 s2, 0x10000, v10
	s_and_b32 s5, s2, vcc_lo
	s_and_saveexec_b32 s2, s5
	s_cbranch_execz .LBB21_8
; %bb.7:                                ;   in Loop: Header=BB21_4 Depth=1
	v_lshl_add_u64 v[12:13], v[10:11], 3, s[6:7]
	global_load_b64 v[12:13], v[12:13], off
	s_wait_loadcnt 0x0
	v_add_f64_e64 v[4:5], v[4:5], |v[12:13]|
.LBB21_8:                               ;   in Loop: Header=BB21_4 Depth=1
	s_or_b32 exec_lo, exec_lo, s2
	v_add_nc_u32_e32 v10, s12, v22
	s_delay_alu instid0(VALU_DEP_1) | instskip(SKIP_2) | instid1(SALU_CYCLE_1)
	v_cmp_gt_i64_e32 vcc_lo, s[8:9], v[10:11]
	v_cmp_gt_u32_e64 s2, 0x10000, v10
	s_and_b32 s5, s2, vcc_lo
	s_and_saveexec_b32 s2, s5
	s_cbranch_execz .LBB21_10
; %bb.9:                                ;   in Loop: Header=BB21_4 Depth=1
	v_lshl_add_u64 v[12:13], v[10:11], 3, s[6:7]
	global_load_b64 v[12:13], v[12:13], off
	s_wait_loadcnt 0x0
	v_add_f64_e64 v[6:7], v[6:7], |v[12:13]|
.LBB21_10:                              ;   in Loop: Header=BB21_4 Depth=1
	s_or_b32 exec_lo, exec_lo, s2
	v_add_nc_u32_e32 v10, s12, v20
	s_delay_alu instid0(VALU_DEP_1) | instskip(SKIP_2) | instid1(SALU_CYCLE_1)
	v_cmp_gt_i64_e32 vcc_lo, s[8:9], v[10:11]
	v_cmp_gt_u32_e64 s2, 0x10000, v10
	s_and_b32 s5, s2, vcc_lo
	s_and_saveexec_b32 s2, s5
	s_cbranch_execz .LBB21_3
; %bb.11:                               ;   in Loop: Header=BB21_4 Depth=1
	v_lshl_add_u64 v[12:13], v[10:11], 3, s[6:7]
	global_load_b64 v[12:13], v[12:13], off
	s_wait_loadcnt 0x0
	v_add_f64_e64 v[8:9], v[8:9], |v[12:13]|
	s_branch .LBB21_3
.LBB21_12:
	s_mov_b32 s3, -1
                                        ; implicit-def: $vgpr2_vgpr3_vgpr4_vgpr5_vgpr6_vgpr7_vgpr8_vgpr9
.LBB21_13:
	s_delay_alu instid0(SALU_CYCLE_1)
	s_and_not1_b32 vcc_lo, exec_lo, s3
	s_cbranch_vccnz .LBB21_19
.LBB21_14:
	v_min_i64 v[10:11], 0x10000, s[8:9]
	v_dual_mov_b32 v3, 0 :: v_dual_lshlrev_b32 v2, 2, v0
	s_mov_b32 s3, 0
	s_delay_alu instid0(VALU_DEP_1)
	v_dual_mov_b32 v4, v3 :: v_dual_mov_b32 v5, v3
	v_dual_mov_b32 v6, v3 :: v_dual_mov_b32 v7, v3
	;; [unrolled: 1-line block ×3, first 2 shown]
	v_cmp_lt_i64_e32 vcc_lo, v[2:3], v[10:11]
	v_mov_b32_e32 v2, v3
	s_and_saveexec_b32 s5, vcc_lo
	s_cbranch_execz .LBB21_18
; %bb.15:
	s_load_b32 s2, s[0:1], 0xd4c
	v_dual_mov_b32 v1, v3 :: v_dual_lshlrev_b32 v2, 5, v0
	v_mov_b64_e32 v[4:5], 0
	v_mov_b64_e32 v[6:7], 0
	;; [unrolled: 1-line block ×3, first 2 shown]
	s_delay_alu instid0(VALU_DEP_4) | instskip(SKIP_4) | instid1(VALU_DEP_3)
	v_add_nc_u64_e32 v[12:13], s[6:7], v[2:3]
	v_mov_b64_e32 v[2:3], 0
	v_mov_b64_e32 v[14:15], v[0:1]
	s_mov_b32 s7, s3
	s_mov_b32 s8, s3
	v_add_nc_u64_e32 v[12:13], 16, v[12:13]
	s_wait_kmcnt 0x0
	s_and_b32 s2, s2, 0xffff
	s_delay_alu instid0(SALU_CYCLE_1)
	s_lshl_b32 s6, s2, 5
.LBB21_16:                              ; =>This Inner Loop Header: Depth=1
	s_clause 0x1
	global_load_b128 v[16:19], v[12:13], off offset:-16
	global_load_b128 v[22:25], v[12:13], off
	v_add_nc_u64_e32 v[14:15], s[2:3], v[14:15]
	s_wait_xcnt 0x0
	v_add_nc_u64_e32 v[12:13], s[6:7], v[12:13]
	s_wait_loadcnt 0x1
	v_add_f64_e64 v[2:3], v[2:3], |v[16:17]|
	v_add_f64_e64 v[4:5], v[4:5], |v[18:19]|
	s_wait_loadcnt 0x0
	v_add_f64_e64 v[6:7], v[6:7], |v[22:23]|
	v_add_f64_e64 v[8:9], v[8:9], |v[24:25]|
	v_lshlrev_b64_e32 v[16:17], 2, v[14:15]
	s_delay_alu instid0(VALU_DEP_1) | instskip(SKIP_1) | instid1(SALU_CYCLE_1)
	v_cmp_ge_i64_e32 vcc_lo, v[16:17], v[10:11]
	s_or_b32 s8, vcc_lo, s8
	s_and_not1_b32 exec_lo, exec_lo, s8
	s_cbranch_execnz .LBB21_16
; %bb.17:
	s_or_b32 exec_lo, exec_lo, s8
.LBB21_18:
	s_delay_alu instid0(SALU_CYCLE_1)
	s_or_b32 exec_lo, exec_lo, s5
.LBB21_19:
	s_delay_alu instid0(VALU_DEP_1) | instskip(SKIP_3) | instid1(VALU_DEP_1)
	v_add_f64_e32 v[2:3], 0, v[2:3]
	s_mov_b32 s2, exec_lo
	s_barrier_signal -1
	s_barrier_wait -1
	v_dual_add_f64 v[2:3], v[4:5], v[2:3] :: v_dual_bitop2_b32 v10, 31, v0 bitop3:0x40
	s_delay_alu instid0(VALU_DEP_1) | instskip(NEXT) | instid1(VALU_DEP_1)
	v_add_f64_e32 v[2:3], v[6:7], v[2:3]
	v_add_f64_e32 v[2:3], v[8:9], v[2:3]
	v_mbcnt_lo_u32_b32 v9, -1, 0
	s_delay_alu instid0(VALU_DEP_1)
	v_lshl_or_b32 v1, v9, 2, 64
	v_cmp_gt_u32_e32 vcc_lo, 24, v9
	ds_bpermute_b32 v4, v1, v2
	ds_bpermute_b32 v5, v1, v3
	s_wait_dscnt 0x0
	v_add_f64_e32 v[2:3], v[2:3], v[4:5]
	v_cndmask_b32_e64 v4, 0, 8, vcc_lo
	v_cmp_gt_u32_e32 vcc_lo, 28, v9
	s_delay_alu instid0(VALU_DEP_2)
	v_add_lshl_u32 v6, v4, v9, 2
	ds_bpermute_b32 v4, v6, v2
	ds_bpermute_b32 v5, v6, v3
	s_wait_dscnt 0x0
	v_add_f64_e32 v[2:3], v[2:3], v[4:5]
	v_cndmask_b32_e64 v4, 0, 4, vcc_lo
	v_cmp_gt_u32_e32 vcc_lo, 30, v9
	s_delay_alu instid0(VALU_DEP_2)
	v_add_lshl_u32 v7, v4, v9, 2
	ds_bpermute_b32 v4, v7, v2
	ds_bpermute_b32 v5, v7, v3
	s_wait_dscnt 0x0
	v_add_f64_e32 v[2:3], v[2:3], v[4:5]
	v_cndmask_b32_e64 v4, 0, 2, vcc_lo
	v_cmp_ne_u32_e32 vcc_lo, 31, v9
	s_delay_alu instid0(VALU_DEP_2)
	v_add_lshl_u32 v8, v4, v9, 2
	ds_bpermute_b32 v4, v8, v2
	ds_bpermute_b32 v5, v8, v3
	s_wait_dscnt 0x0
	v_add_f64_e32 v[2:3], v[2:3], v[4:5]
	v_add_co_ci_u32_e64 v4, null, 0, v9, vcc_lo
	s_delay_alu instid0(VALU_DEP_1)
	v_lshlrev_b32_e32 v9, 2, v4
	ds_bpermute_b32 v4, v9, v2
	ds_bpermute_b32 v5, v9, v3
	v_cmpx_eq_u32_e32 0, v10
	s_cbranch_execz .LBB21_21
; %bb.20:
	s_wait_dscnt 0x0
	v_add_f64_e32 v[2:3], v[2:3], v[4:5]
	v_lshrrev_b32_e32 v4, 2, v0
	ds_store_b64 v4, v[2:3]
.LBB21_21:
	s_or_b32 exec_lo, exec_lo, s2
	s_wait_dscnt 0x0
	s_barrier_signal -1
	s_barrier_wait -1
	s_load_b32 s2, s[0:1], 0xd4c
	v_mov_b64_e32 v[2:3], 0
	s_wait_kmcnt 0x0
	s_bfe_u32 s2, s2, 0xb0005
	s_delay_alu instid0(SALU_CYCLE_1)
	v_cmp_gt_u32_e32 vcc_lo, s2, v0
	s_and_saveexec_b32 s2, vcc_lo
; %bb.22:
	v_lshlrev_b32_e32 v2, 3, v10
	ds_load_b64 v[2:3], v2
; %bb.23:
	s_or_b32 exec_lo, exec_lo, s2
	s_delay_alu instid0(SALU_CYCLE_1)
	s_mov_b32 s2, exec_lo
	v_cmpx_gt_u32_e32 32, v0
	s_cbranch_execz .LBB21_25
; %bb.24:
	s_wait_dscnt 0x0
	ds_bpermute_b32 v4, v1, v2
	ds_bpermute_b32 v5, v1, v3
	s_wait_dscnt 0x0
	v_add_f64_e32 v[2:3], v[2:3], v[4:5]
	ds_bpermute_b32 v4, v6, v2
	ds_bpermute_b32 v5, v6, v3
	s_wait_dscnt 0x0
	v_add_f64_e32 v[2:3], v[2:3], v[4:5]
	;; [unrolled: 4-line block ×5, first 2 shown]
.LBB21_25:
	s_or_b32 exec_lo, exec_lo, s2
	s_delay_alu instid0(SALU_CYCLE_1)
	s_mov_b32 s2, exec_lo
	v_cmpx_eq_u32_e32 0, v0
	s_cbranch_execz .LBB21_27
; %bb.26:
	s_clause 0x1
	s_load_b32 s2, s[0:1], 0xd20
	s_load_b96 s[8:10], s[0:1], 0xd30
	v_and_b32_e32 v0, 0xff, v21
	s_wait_kmcnt 0x0
	s_delay_alu instid0(VALU_DEP_1) | instskip(NEXT) | instid1(VALU_DEP_1)
	v_add_nc_u32_e32 v0, s2, v0
	v_mul_lo_u32 v0, v0, s10
	s_delay_alu instid0(VALU_DEP_1)
	v_add_nc_u32_e32 v0, s4, v0
	s_wait_dscnt 0x0
	global_store_b64 v0, v[2:3], s[8:9] scale_offset
.LBB21_27:
	s_endpgm
.LBB21_28:
	v_mov_b32_e32 v2, 0
	s_delay_alu instid0(VALU_DEP_1)
	v_dual_mov_b32 v3, v2 :: v_dual_mov_b32 v4, v2
	v_dual_mov_b32 v5, v2 :: v_dual_mov_b32 v6, v2
	;; [unrolled: 1-line block ×3, first 2 shown]
	v_mov_b32_e32 v9, v2
	s_and_not1_b32 vcc_lo, exec_lo, s3
	s_cbranch_vccz .LBB21_14
	s_branch .LBB21_19
	.section	.rodata,"a",@progbits
	.p2align	6, 0x0
	.amdhsa_kernel _ZN2at6native12_GLOBAL__N_125multi_tensor_apply_kernelINS1_18TensorListMetadataILi1EEENS0_13LpNormFunctorIdLNS0_8NormTypeE1EdLi1ELi1ELi0EEEJPdiEEEvT_T0_DpT1_
		.amdhsa_group_segment_fixed_size 4096
		.amdhsa_private_segment_fixed_size 0
		.amdhsa_kernarg_size 3648
		.amdhsa_user_sgpr_count 2
		.amdhsa_user_sgpr_dispatch_ptr 0
		.amdhsa_user_sgpr_queue_ptr 0
		.amdhsa_user_sgpr_kernarg_segment_ptr 1
		.amdhsa_user_sgpr_dispatch_id 0
		.amdhsa_user_sgpr_kernarg_preload_length 0
		.amdhsa_user_sgpr_kernarg_preload_offset 0
		.amdhsa_user_sgpr_private_segment_size 0
		.amdhsa_wavefront_size32 1
		.amdhsa_uses_dynamic_stack 0
		.amdhsa_enable_private_segment 0
		.amdhsa_system_sgpr_workgroup_id_x 1
		.amdhsa_system_sgpr_workgroup_id_y 0
		.amdhsa_system_sgpr_workgroup_id_z 0
		.amdhsa_system_sgpr_workgroup_info 0
		.amdhsa_system_vgpr_workitem_id 0
		.amdhsa_next_free_vgpr 26
		.amdhsa_next_free_sgpr 14
		.amdhsa_named_barrier_count 0
		.amdhsa_reserve_vcc 1
		.amdhsa_float_round_mode_32 0
		.amdhsa_float_round_mode_16_64 0
		.amdhsa_float_denorm_mode_32 3
		.amdhsa_float_denorm_mode_16_64 3
		.amdhsa_fp16_overflow 0
		.amdhsa_memory_ordered 1
		.amdhsa_forward_progress 1
		.amdhsa_inst_pref_size 13
		.amdhsa_round_robin_scheduling 0
		.amdhsa_exception_fp_ieee_invalid_op 0
		.amdhsa_exception_fp_denorm_src 0
		.amdhsa_exception_fp_ieee_div_zero 0
		.amdhsa_exception_fp_ieee_overflow 0
		.amdhsa_exception_fp_ieee_underflow 0
		.amdhsa_exception_fp_ieee_inexact 0
		.amdhsa_exception_int_div_zero 0
	.end_amdhsa_kernel
	.section	.text._ZN2at6native12_GLOBAL__N_125multi_tensor_apply_kernelINS1_18TensorListMetadataILi1EEENS0_13LpNormFunctorIdLNS0_8NormTypeE1EdLi1ELi1ELi0EEEJPdiEEEvT_T0_DpT1_,"axG",@progbits,_ZN2at6native12_GLOBAL__N_125multi_tensor_apply_kernelINS1_18TensorListMetadataILi1EEENS0_13LpNormFunctorIdLNS0_8NormTypeE1EdLi1ELi1ELi0EEEJPdiEEEvT_T0_DpT1_,comdat
.Lfunc_end21:
	.size	_ZN2at6native12_GLOBAL__N_125multi_tensor_apply_kernelINS1_18TensorListMetadataILi1EEENS0_13LpNormFunctorIdLNS0_8NormTypeE1EdLi1ELi1ELi0EEEJPdiEEEvT_T0_DpT1_, .Lfunc_end21-_ZN2at6native12_GLOBAL__N_125multi_tensor_apply_kernelINS1_18TensorListMetadataILi1EEENS0_13LpNormFunctorIdLNS0_8NormTypeE1EdLi1ELi1ELi0EEEJPdiEEEvT_T0_DpT1_
                                        ; -- End function
	.set _ZN2at6native12_GLOBAL__N_125multi_tensor_apply_kernelINS1_18TensorListMetadataILi1EEENS0_13LpNormFunctorIdLNS0_8NormTypeE1EdLi1ELi1ELi0EEEJPdiEEEvT_T0_DpT1_.num_vgpr, 26
	.set _ZN2at6native12_GLOBAL__N_125multi_tensor_apply_kernelINS1_18TensorListMetadataILi1EEENS0_13LpNormFunctorIdLNS0_8NormTypeE1EdLi1ELi1ELi0EEEJPdiEEEvT_T0_DpT1_.num_agpr, 0
	.set _ZN2at6native12_GLOBAL__N_125multi_tensor_apply_kernelINS1_18TensorListMetadataILi1EEENS0_13LpNormFunctorIdLNS0_8NormTypeE1EdLi1ELi1ELi0EEEJPdiEEEvT_T0_DpT1_.numbered_sgpr, 14
	.set _ZN2at6native12_GLOBAL__N_125multi_tensor_apply_kernelINS1_18TensorListMetadataILi1EEENS0_13LpNormFunctorIdLNS0_8NormTypeE1EdLi1ELi1ELi0EEEJPdiEEEvT_T0_DpT1_.num_named_barrier, 0
	.set _ZN2at6native12_GLOBAL__N_125multi_tensor_apply_kernelINS1_18TensorListMetadataILi1EEENS0_13LpNormFunctorIdLNS0_8NormTypeE1EdLi1ELi1ELi0EEEJPdiEEEvT_T0_DpT1_.private_seg_size, 0
	.set _ZN2at6native12_GLOBAL__N_125multi_tensor_apply_kernelINS1_18TensorListMetadataILi1EEENS0_13LpNormFunctorIdLNS0_8NormTypeE1EdLi1ELi1ELi0EEEJPdiEEEvT_T0_DpT1_.uses_vcc, 1
	.set _ZN2at6native12_GLOBAL__N_125multi_tensor_apply_kernelINS1_18TensorListMetadataILi1EEENS0_13LpNormFunctorIdLNS0_8NormTypeE1EdLi1ELi1ELi0EEEJPdiEEEvT_T0_DpT1_.uses_flat_scratch, 0
	.set _ZN2at6native12_GLOBAL__N_125multi_tensor_apply_kernelINS1_18TensorListMetadataILi1EEENS0_13LpNormFunctorIdLNS0_8NormTypeE1EdLi1ELi1ELi0EEEJPdiEEEvT_T0_DpT1_.has_dyn_sized_stack, 0
	.set _ZN2at6native12_GLOBAL__N_125multi_tensor_apply_kernelINS1_18TensorListMetadataILi1EEENS0_13LpNormFunctorIdLNS0_8NormTypeE1EdLi1ELi1ELi0EEEJPdiEEEvT_T0_DpT1_.has_recursion, 0
	.set _ZN2at6native12_GLOBAL__N_125multi_tensor_apply_kernelINS1_18TensorListMetadataILi1EEENS0_13LpNormFunctorIdLNS0_8NormTypeE1EdLi1ELi1ELi0EEEJPdiEEEvT_T0_DpT1_.has_indirect_call, 0
	.section	.AMDGPU.csdata,"",@progbits
; Kernel info:
; codeLenInByte = 1552
; TotalNumSgprs: 16
; NumVgprs: 26
; ScratchSize: 0
; MemoryBound: 0
; FloatMode: 240
; IeeeMode: 1
; LDSByteSize: 4096 bytes/workgroup (compile time only)
; SGPRBlocks: 0
; VGPRBlocks: 1
; NumSGPRsForWavesPerEU: 16
; NumVGPRsForWavesPerEU: 26
; NamedBarCnt: 0
; Occupancy: 16
; WaveLimiterHint : 0
; COMPUTE_PGM_RSRC2:SCRATCH_EN: 0
; COMPUTE_PGM_RSRC2:USER_SGPR: 2
; COMPUTE_PGM_RSRC2:TRAP_HANDLER: 0
; COMPUTE_PGM_RSRC2:TGID_X_EN: 1
; COMPUTE_PGM_RSRC2:TGID_Y_EN: 0
; COMPUTE_PGM_RSRC2:TGID_Z_EN: 0
; COMPUTE_PGM_RSRC2:TIDIG_COMP_CNT: 0
	.section	.text._ZN2at6native12_GLOBAL__N_125multi_tensor_apply_kernelINS1_18TensorListMetadataILi1EEENS0_13LpNormFunctorIdLNS0_8NormTypeE2EdLi1ELi1ELi0EEEJPdiEEEvT_T0_DpT1_,"axG",@progbits,_ZN2at6native12_GLOBAL__N_125multi_tensor_apply_kernelINS1_18TensorListMetadataILi1EEENS0_13LpNormFunctorIdLNS0_8NormTypeE2EdLi1ELi1ELi0EEEJPdiEEEvT_T0_DpT1_,comdat
	.globl	_ZN2at6native12_GLOBAL__N_125multi_tensor_apply_kernelINS1_18TensorListMetadataILi1EEENS0_13LpNormFunctorIdLNS0_8NormTypeE2EdLi1ELi1ELi0EEEJPdiEEEvT_T0_DpT1_ ; -- Begin function _ZN2at6native12_GLOBAL__N_125multi_tensor_apply_kernelINS1_18TensorListMetadataILi1EEENS0_13LpNormFunctorIdLNS0_8NormTypeE2EdLi1ELi1ELi0EEEJPdiEEEvT_T0_DpT1_
	.p2align	8
	.type	_ZN2at6native12_GLOBAL__N_125multi_tensor_apply_kernelINS1_18TensorListMetadataILi1EEENS0_13LpNormFunctorIdLNS0_8NormTypeE2EdLi1ELi1ELi0EEEJPdiEEEvT_T0_DpT1_,@function
_ZN2at6native12_GLOBAL__N_125multi_tensor_apply_kernelINS1_18TensorListMetadataILi1EEENS0_13LpNormFunctorIdLNS0_8NormTypeE2EdLi1ELi1ELi0EEEJPdiEEEvT_T0_DpT1_: ; @_ZN2at6native12_GLOBAL__N_125multi_tensor_apply_kernelINS1_18TensorListMetadataILi1EEENS0_13LpNormFunctorIdLNS0_8NormTypeE2EdLi1ELi1ELi0EEEJPdiEEEvT_T0_DpT1_
; %bb.0:
	s_bfe_u32 s2, ttmp6, 0x4000c
	s_and_b32 s3, ttmp6, 15
	s_add_co_i32 s2, s2, 1
	s_getreg_b32 s4, hwreg(HW_REG_IB_STS2, 6, 4)
	s_mul_i32 s2, ttmp9, s2
	s_delay_alu instid0(SALU_CYCLE_1)
	s_add_co_i32 s3, s3, s2
	s_cmp_eq_u32 s4, 0
	s_cselect_b32 s2, ttmp9, s3
	s_mov_b32 s3, 0
	v_mov_b32_e32 v1, s2
	s_add_nc_u64 s[4:5], s[0:1], s[2:3]
	s_mul_u64 s[6:7], s[2:3], 3
	s_delay_alu instid0(SALU_CYCLE_1) | instskip(SKIP_4) | instid1(SALU_CYCLE_1)
	s_add_nc_u64 s[4:5], s[4:5], s[6:7]
	global_load_u8 v21, v1, s[0:1] offset:1760
	s_load_b32 s4, s[4:5], 0x820
	s_wait_kmcnt 0x0
	s_ashr_i32 s5, s4, 31
	s_lshl_b64 s[10:11], s[4:5], 19
	s_lshl_b64 s[12:13], s[4:5], 16
	s_wait_loadcnt 0x0
	v_readfirstlane_b32 s2, v21
	s_and_b32 s2, s2, 0xff
	s_clause 0x1
	s_load_b64 s[6:7], s[0:1], s2 offset:0x0 scale_offset
	s_load_b64 s[8:9], s[0:1], s2 offset:0x370 scale_offset
	s_wait_kmcnt 0x0
	s_add_nc_u64 s[6:7], s[6:7], s[10:11]
	s_and_b32 s2, s8, 3
	s_and_b64 s[10:11], s[6:7], 31
	s_sub_nc_u64 s[8:9], s[8:9], s[12:13]
	s_or_b64 s[10:11], s[2:3], s[10:11]
	s_delay_alu instid0(SALU_CYCLE_1)
	s_cmp_eq_u64 s[10:11], 0
	s_cbranch_scc1 .LBB22_12
; %bb.1:
	v_cmp_lt_i64_e64 s2, s[8:9], 1
	s_and_b32 vcc_lo, exec_lo, s2
	s_cbranch_vccnz .LBB22_28
; %bb.2:
	s_load_b32 s2, s[0:1], 0xd4c
	v_min_i64 v[18:19], 0x10000, s[8:9]
	s_mov_b32 s11, 0
	s_mov_b64 s[12:13], 0
	s_wait_kmcnt 0x0
	s_and_b32 s2, s2, 0xffff
	s_delay_alu instid0(SALU_CYCLE_1) | instskip(SKIP_3) | instid1(VALU_DEP_3)
	v_dual_mov_b32 v11, 0 :: v_dual_add_nc_u32 v24, s2, v0
	v_mad_u32 v20, s2, 3, v0
	v_lshl_add_u32 v22, s2, 1, v0
	s_lshl_b32 s10, s2, 2
	v_dual_mov_b32 v10, v11 :: v_dual_mov_b32 v12, v11
	v_dual_mov_b32 v13, v11 :: v_dual_mov_b32 v14, v11
	;; [unrolled: 1-line block ×3, first 2 shown]
	v_mov_b32_e32 v17, v11
	s_delay_alu instid0(VALU_DEP_4) | instskip(NEXT) | instid1(VALU_DEP_4)
	v_mov_b64_e32 v[2:3], v[10:11]
	v_mov_b64_e32 v[4:5], v[12:13]
	s_delay_alu instid0(VALU_DEP_4) | instskip(NEXT) | instid1(VALU_DEP_4)
	v_mov_b64_e32 v[6:7], v[14:15]
	v_mov_b64_e32 v[8:9], v[16:17]
	s_branch .LBB22_4
.LBB22_3:                               ;   in Loop: Header=BB22_4 Depth=1
	s_or_b32 exec_lo, exec_lo, s2
	s_add_nc_u64 s[12:13], s[12:13], s[10:11]
	s_delay_alu instid0(SALU_CYCLE_1)
	v_cmp_lt_i64_e32 vcc_lo, s[12:13], v[18:19]
	s_cbranch_vccz .LBB22_13
.LBB22_4:                               ; =>This Inner Loop Header: Depth=1
	v_add_nc_u32_e32 v10, s12, v0
	s_delay_alu instid0(VALU_DEP_1) | instskip(SKIP_2) | instid1(SALU_CYCLE_1)
	v_cmp_gt_i64_e32 vcc_lo, s[8:9], v[10:11]
	v_cmp_gt_u32_e64 s2, 0x10000, v10
	s_and_b32 s5, s2, vcc_lo
	s_and_saveexec_b32 s2, s5
	s_cbranch_execz .LBB22_6
; %bb.5:                                ;   in Loop: Header=BB22_4 Depth=1
	v_lshl_add_u64 v[12:13], v[10:11], 3, s[6:7]
	global_load_b64 v[12:13], v[12:13], off
	s_wait_loadcnt 0x0
	v_fmac_f64_e32 v[2:3], v[12:13], v[12:13]
.LBB22_6:                               ;   in Loop: Header=BB22_4 Depth=1
	s_or_b32 exec_lo, exec_lo, s2
	v_add_nc_u32_e32 v10, s12, v24
	s_delay_alu instid0(VALU_DEP_1) | instskip(SKIP_2) | instid1(SALU_CYCLE_1)
	v_cmp_gt_i64_e32 vcc_lo, s[8:9], v[10:11]
	v_cmp_gt_u32_e64 s2, 0x10000, v10
	s_and_b32 s5, s2, vcc_lo
	s_and_saveexec_b32 s2, s5
	s_cbranch_execz .LBB22_8
; %bb.7:                                ;   in Loop: Header=BB22_4 Depth=1
	v_lshl_add_u64 v[12:13], v[10:11], 3, s[6:7]
	global_load_b64 v[12:13], v[12:13], off
	s_wait_loadcnt 0x0
	v_fmac_f64_e32 v[4:5], v[12:13], v[12:13]
.LBB22_8:                               ;   in Loop: Header=BB22_4 Depth=1
	s_or_b32 exec_lo, exec_lo, s2
	v_add_nc_u32_e32 v10, s12, v22
	s_delay_alu instid0(VALU_DEP_1) | instskip(SKIP_2) | instid1(SALU_CYCLE_1)
	v_cmp_gt_i64_e32 vcc_lo, s[8:9], v[10:11]
	v_cmp_gt_u32_e64 s2, 0x10000, v10
	s_and_b32 s5, s2, vcc_lo
	s_and_saveexec_b32 s2, s5
	s_cbranch_execz .LBB22_10
; %bb.9:                                ;   in Loop: Header=BB22_4 Depth=1
	v_lshl_add_u64 v[12:13], v[10:11], 3, s[6:7]
	global_load_b64 v[12:13], v[12:13], off
	s_wait_loadcnt 0x0
	v_fmac_f64_e32 v[6:7], v[12:13], v[12:13]
.LBB22_10:                              ;   in Loop: Header=BB22_4 Depth=1
	s_or_b32 exec_lo, exec_lo, s2
	v_add_nc_u32_e32 v10, s12, v20
	s_delay_alu instid0(VALU_DEP_1) | instskip(SKIP_2) | instid1(SALU_CYCLE_1)
	v_cmp_gt_i64_e32 vcc_lo, s[8:9], v[10:11]
	v_cmp_gt_u32_e64 s2, 0x10000, v10
	s_and_b32 s5, s2, vcc_lo
	s_and_saveexec_b32 s2, s5
	s_cbranch_execz .LBB22_3
; %bb.11:                               ;   in Loop: Header=BB22_4 Depth=1
	v_lshl_add_u64 v[12:13], v[10:11], 3, s[6:7]
	global_load_b64 v[12:13], v[12:13], off
	s_wait_loadcnt 0x0
	v_fmac_f64_e32 v[8:9], v[12:13], v[12:13]
	s_branch .LBB22_3
.LBB22_12:
	s_mov_b32 s3, -1
                                        ; implicit-def: $vgpr2_vgpr3_vgpr4_vgpr5_vgpr6_vgpr7_vgpr8_vgpr9
.LBB22_13:
	s_delay_alu instid0(SALU_CYCLE_1)
	s_and_not1_b32 vcc_lo, exec_lo, s3
	s_cbranch_vccnz .LBB22_19
.LBB22_14:
	v_min_i64 v[10:11], 0x10000, s[8:9]
	v_dual_mov_b32 v3, 0 :: v_dual_lshlrev_b32 v2, 2, v0
	s_mov_b32 s3, 0
	s_delay_alu instid0(VALU_DEP_1)
	v_dual_mov_b32 v4, v3 :: v_dual_mov_b32 v5, v3
	v_dual_mov_b32 v6, v3 :: v_dual_mov_b32 v7, v3
	;; [unrolled: 1-line block ×3, first 2 shown]
	v_cmp_lt_i64_e32 vcc_lo, v[2:3], v[10:11]
	v_mov_b32_e32 v2, v3
	s_and_saveexec_b32 s5, vcc_lo
	s_cbranch_execz .LBB22_18
; %bb.15:
	s_load_b32 s2, s[0:1], 0xd4c
	v_dual_mov_b32 v1, v3 :: v_dual_lshlrev_b32 v2, 5, v0
	v_mov_b64_e32 v[4:5], 0
	v_mov_b64_e32 v[6:7], 0
	;; [unrolled: 1-line block ×3, first 2 shown]
	s_delay_alu instid0(VALU_DEP_4) | instskip(SKIP_4) | instid1(VALU_DEP_3)
	v_add_nc_u64_e32 v[12:13], s[6:7], v[2:3]
	v_mov_b64_e32 v[2:3], 0
	v_mov_b64_e32 v[14:15], v[0:1]
	s_mov_b32 s7, s3
	s_mov_b32 s8, s3
	v_add_nc_u64_e32 v[12:13], 16, v[12:13]
	s_wait_kmcnt 0x0
	s_and_b32 s2, s2, 0xffff
	s_delay_alu instid0(SALU_CYCLE_1)
	s_lshl_b32 s6, s2, 5
.LBB22_16:                              ; =>This Inner Loop Header: Depth=1
	s_clause 0x1
	global_load_b128 v[16:19], v[12:13], off offset:-16
	global_load_b128 v[22:25], v[12:13], off
	v_add_nc_u64_e32 v[14:15], s[2:3], v[14:15]
	s_wait_xcnt 0x0
	v_add_nc_u64_e32 v[12:13], s[6:7], v[12:13]
	s_wait_loadcnt 0x1
	v_fmac_f64_e32 v[2:3], v[16:17], v[16:17]
	v_fmac_f64_e32 v[4:5], v[18:19], v[18:19]
	s_wait_loadcnt 0x0
	v_fmac_f64_e32 v[6:7], v[22:23], v[22:23]
	v_fmac_f64_e32 v[8:9], v[24:25], v[24:25]
	v_lshlrev_b64_e32 v[16:17], 2, v[14:15]
	s_delay_alu instid0(VALU_DEP_1) | instskip(SKIP_1) | instid1(SALU_CYCLE_1)
	v_cmp_ge_i64_e32 vcc_lo, v[16:17], v[10:11]
	s_or_b32 s8, vcc_lo, s8
	s_and_not1_b32 exec_lo, exec_lo, s8
	s_cbranch_execnz .LBB22_16
; %bb.17:
	s_or_b32 exec_lo, exec_lo, s8
.LBB22_18:
	s_delay_alu instid0(SALU_CYCLE_1)
	s_or_b32 exec_lo, exec_lo, s5
.LBB22_19:
	s_delay_alu instid0(VALU_DEP_1) | instskip(SKIP_3) | instid1(VALU_DEP_1)
	v_add_f64_e32 v[2:3], 0, v[2:3]
	s_mov_b32 s2, exec_lo
	s_barrier_signal -1
	s_barrier_wait -1
	v_dual_add_f64 v[2:3], v[4:5], v[2:3] :: v_dual_bitop2_b32 v10, 31, v0 bitop3:0x40
	s_delay_alu instid0(VALU_DEP_1) | instskip(NEXT) | instid1(VALU_DEP_1)
	v_add_f64_e32 v[2:3], v[6:7], v[2:3]
	v_add_f64_e32 v[2:3], v[8:9], v[2:3]
	v_mbcnt_lo_u32_b32 v9, -1, 0
	s_delay_alu instid0(VALU_DEP_1)
	v_lshl_or_b32 v1, v9, 2, 64
	v_cmp_gt_u32_e32 vcc_lo, 24, v9
	ds_bpermute_b32 v4, v1, v2
	ds_bpermute_b32 v5, v1, v3
	s_wait_dscnt 0x0
	v_add_f64_e32 v[2:3], v[2:3], v[4:5]
	v_cndmask_b32_e64 v4, 0, 8, vcc_lo
	v_cmp_gt_u32_e32 vcc_lo, 28, v9
	s_delay_alu instid0(VALU_DEP_2)
	v_add_lshl_u32 v6, v4, v9, 2
	ds_bpermute_b32 v4, v6, v2
	ds_bpermute_b32 v5, v6, v3
	s_wait_dscnt 0x0
	v_add_f64_e32 v[2:3], v[2:3], v[4:5]
	v_cndmask_b32_e64 v4, 0, 4, vcc_lo
	v_cmp_gt_u32_e32 vcc_lo, 30, v9
	s_delay_alu instid0(VALU_DEP_2)
	v_add_lshl_u32 v7, v4, v9, 2
	ds_bpermute_b32 v4, v7, v2
	ds_bpermute_b32 v5, v7, v3
	s_wait_dscnt 0x0
	v_add_f64_e32 v[2:3], v[2:3], v[4:5]
	v_cndmask_b32_e64 v4, 0, 2, vcc_lo
	v_cmp_ne_u32_e32 vcc_lo, 31, v9
	s_delay_alu instid0(VALU_DEP_2)
	v_add_lshl_u32 v8, v4, v9, 2
	ds_bpermute_b32 v4, v8, v2
	ds_bpermute_b32 v5, v8, v3
	s_wait_dscnt 0x0
	v_add_f64_e32 v[2:3], v[2:3], v[4:5]
	v_add_co_ci_u32_e64 v4, null, 0, v9, vcc_lo
	s_delay_alu instid0(VALU_DEP_1)
	v_lshlrev_b32_e32 v9, 2, v4
	ds_bpermute_b32 v4, v9, v2
	ds_bpermute_b32 v5, v9, v3
	v_cmpx_eq_u32_e32 0, v10
	s_cbranch_execz .LBB22_21
; %bb.20:
	s_wait_dscnt 0x0
	v_add_f64_e32 v[2:3], v[2:3], v[4:5]
	v_lshrrev_b32_e32 v4, 2, v0
	ds_store_b64 v4, v[2:3]
.LBB22_21:
	s_or_b32 exec_lo, exec_lo, s2
	s_wait_dscnt 0x0
	s_barrier_signal -1
	s_barrier_wait -1
	s_load_b32 s2, s[0:1], 0xd4c
	v_mov_b64_e32 v[2:3], 0
	s_wait_kmcnt 0x0
	s_bfe_u32 s2, s2, 0xb0005
	s_delay_alu instid0(SALU_CYCLE_1)
	v_cmp_gt_u32_e32 vcc_lo, s2, v0
	s_and_saveexec_b32 s2, vcc_lo
; %bb.22:
	v_lshlrev_b32_e32 v2, 3, v10
	ds_load_b64 v[2:3], v2
; %bb.23:
	s_or_b32 exec_lo, exec_lo, s2
	s_delay_alu instid0(SALU_CYCLE_1)
	s_mov_b32 s2, exec_lo
	v_cmpx_gt_u32_e32 32, v0
	s_cbranch_execz .LBB22_25
; %bb.24:
	s_wait_dscnt 0x0
	ds_bpermute_b32 v4, v1, v2
	ds_bpermute_b32 v5, v1, v3
	s_wait_dscnt 0x0
	v_add_f64_e32 v[2:3], v[2:3], v[4:5]
	ds_bpermute_b32 v4, v6, v2
	ds_bpermute_b32 v5, v6, v3
	s_wait_dscnt 0x0
	v_add_f64_e32 v[2:3], v[2:3], v[4:5]
	;; [unrolled: 4-line block ×5, first 2 shown]
.LBB22_25:
	s_or_b32 exec_lo, exec_lo, s2
	s_delay_alu instid0(SALU_CYCLE_1)
	s_mov_b32 s2, exec_lo
	v_cmpx_eq_u32_e32 0, v0
	s_cbranch_execz .LBB22_27
; %bb.26:
	s_clause 0x1
	s_load_b32 s2, s[0:1], 0xd20
	s_load_b96 s[8:10], s[0:1], 0xd30
	v_and_b32_e32 v0, 0xff, v21
	s_wait_kmcnt 0x0
	s_delay_alu instid0(VALU_DEP_1) | instskip(NEXT) | instid1(VALU_DEP_1)
	v_add_nc_u32_e32 v0, s2, v0
	v_mul_lo_u32 v0, v0, s10
	s_delay_alu instid0(VALU_DEP_1)
	v_add_nc_u32_e32 v0, s4, v0
	s_wait_dscnt 0x0
	global_store_b64 v0, v[2:3], s[8:9] scale_offset
.LBB22_27:
	s_endpgm
.LBB22_28:
	v_mov_b32_e32 v2, 0
	s_delay_alu instid0(VALU_DEP_1)
	v_dual_mov_b32 v3, v2 :: v_dual_mov_b32 v4, v2
	v_dual_mov_b32 v5, v2 :: v_dual_mov_b32 v6, v2
	;; [unrolled: 1-line block ×3, first 2 shown]
	v_mov_b32_e32 v9, v2
	s_and_not1_b32 vcc_lo, exec_lo, s3
	s_cbranch_vccz .LBB22_14
	s_branch .LBB22_19
	.section	.rodata,"a",@progbits
	.p2align	6, 0x0
	.amdhsa_kernel _ZN2at6native12_GLOBAL__N_125multi_tensor_apply_kernelINS1_18TensorListMetadataILi1EEENS0_13LpNormFunctorIdLNS0_8NormTypeE2EdLi1ELi1ELi0EEEJPdiEEEvT_T0_DpT1_
		.amdhsa_group_segment_fixed_size 4096
		.amdhsa_private_segment_fixed_size 0
		.amdhsa_kernarg_size 3648
		.amdhsa_user_sgpr_count 2
		.amdhsa_user_sgpr_dispatch_ptr 0
		.amdhsa_user_sgpr_queue_ptr 0
		.amdhsa_user_sgpr_kernarg_segment_ptr 1
		.amdhsa_user_sgpr_dispatch_id 0
		.amdhsa_user_sgpr_kernarg_preload_length 0
		.amdhsa_user_sgpr_kernarg_preload_offset 0
		.amdhsa_user_sgpr_private_segment_size 0
		.amdhsa_wavefront_size32 1
		.amdhsa_uses_dynamic_stack 0
		.amdhsa_enable_private_segment 0
		.amdhsa_system_sgpr_workgroup_id_x 1
		.amdhsa_system_sgpr_workgroup_id_y 0
		.amdhsa_system_sgpr_workgroup_id_z 0
		.amdhsa_system_sgpr_workgroup_info 0
		.amdhsa_system_vgpr_workitem_id 0
		.amdhsa_next_free_vgpr 26
		.amdhsa_next_free_sgpr 14
		.amdhsa_named_barrier_count 0
		.amdhsa_reserve_vcc 1
		.amdhsa_float_round_mode_32 0
		.amdhsa_float_round_mode_16_64 0
		.amdhsa_float_denorm_mode_32 3
		.amdhsa_float_denorm_mode_16_64 3
		.amdhsa_fp16_overflow 0
		.amdhsa_memory_ordered 1
		.amdhsa_forward_progress 1
		.amdhsa_inst_pref_size 12
		.amdhsa_round_robin_scheduling 0
		.amdhsa_exception_fp_ieee_invalid_op 0
		.amdhsa_exception_fp_denorm_src 0
		.amdhsa_exception_fp_ieee_div_zero 0
		.amdhsa_exception_fp_ieee_overflow 0
		.amdhsa_exception_fp_ieee_underflow 0
		.amdhsa_exception_fp_ieee_inexact 0
		.amdhsa_exception_int_div_zero 0
	.end_amdhsa_kernel
	.section	.text._ZN2at6native12_GLOBAL__N_125multi_tensor_apply_kernelINS1_18TensorListMetadataILi1EEENS0_13LpNormFunctorIdLNS0_8NormTypeE2EdLi1ELi1ELi0EEEJPdiEEEvT_T0_DpT1_,"axG",@progbits,_ZN2at6native12_GLOBAL__N_125multi_tensor_apply_kernelINS1_18TensorListMetadataILi1EEENS0_13LpNormFunctorIdLNS0_8NormTypeE2EdLi1ELi1ELi0EEEJPdiEEEvT_T0_DpT1_,comdat
.Lfunc_end22:
	.size	_ZN2at6native12_GLOBAL__N_125multi_tensor_apply_kernelINS1_18TensorListMetadataILi1EEENS0_13LpNormFunctorIdLNS0_8NormTypeE2EdLi1ELi1ELi0EEEJPdiEEEvT_T0_DpT1_, .Lfunc_end22-_ZN2at6native12_GLOBAL__N_125multi_tensor_apply_kernelINS1_18TensorListMetadataILi1EEENS0_13LpNormFunctorIdLNS0_8NormTypeE2EdLi1ELi1ELi0EEEJPdiEEEvT_T0_DpT1_
                                        ; -- End function
	.set _ZN2at6native12_GLOBAL__N_125multi_tensor_apply_kernelINS1_18TensorListMetadataILi1EEENS0_13LpNormFunctorIdLNS0_8NormTypeE2EdLi1ELi1ELi0EEEJPdiEEEvT_T0_DpT1_.num_vgpr, 26
	.set _ZN2at6native12_GLOBAL__N_125multi_tensor_apply_kernelINS1_18TensorListMetadataILi1EEENS0_13LpNormFunctorIdLNS0_8NormTypeE2EdLi1ELi1ELi0EEEJPdiEEEvT_T0_DpT1_.num_agpr, 0
	.set _ZN2at6native12_GLOBAL__N_125multi_tensor_apply_kernelINS1_18TensorListMetadataILi1EEENS0_13LpNormFunctorIdLNS0_8NormTypeE2EdLi1ELi1ELi0EEEJPdiEEEvT_T0_DpT1_.numbered_sgpr, 14
	.set _ZN2at6native12_GLOBAL__N_125multi_tensor_apply_kernelINS1_18TensorListMetadataILi1EEENS0_13LpNormFunctorIdLNS0_8NormTypeE2EdLi1ELi1ELi0EEEJPdiEEEvT_T0_DpT1_.num_named_barrier, 0
	.set _ZN2at6native12_GLOBAL__N_125multi_tensor_apply_kernelINS1_18TensorListMetadataILi1EEENS0_13LpNormFunctorIdLNS0_8NormTypeE2EdLi1ELi1ELi0EEEJPdiEEEvT_T0_DpT1_.private_seg_size, 0
	.set _ZN2at6native12_GLOBAL__N_125multi_tensor_apply_kernelINS1_18TensorListMetadataILi1EEENS0_13LpNormFunctorIdLNS0_8NormTypeE2EdLi1ELi1ELi0EEEJPdiEEEvT_T0_DpT1_.uses_vcc, 1
	.set _ZN2at6native12_GLOBAL__N_125multi_tensor_apply_kernelINS1_18TensorListMetadataILi1EEENS0_13LpNormFunctorIdLNS0_8NormTypeE2EdLi1ELi1ELi0EEEJPdiEEEvT_T0_DpT1_.uses_flat_scratch, 0
	.set _ZN2at6native12_GLOBAL__N_125multi_tensor_apply_kernelINS1_18TensorListMetadataILi1EEENS0_13LpNormFunctorIdLNS0_8NormTypeE2EdLi1ELi1ELi0EEEJPdiEEEvT_T0_DpT1_.has_dyn_sized_stack, 0
	.set _ZN2at6native12_GLOBAL__N_125multi_tensor_apply_kernelINS1_18TensorListMetadataILi1EEENS0_13LpNormFunctorIdLNS0_8NormTypeE2EdLi1ELi1ELi0EEEJPdiEEEvT_T0_DpT1_.has_recursion, 0
	.set _ZN2at6native12_GLOBAL__N_125multi_tensor_apply_kernelINS1_18TensorListMetadataILi1EEENS0_13LpNormFunctorIdLNS0_8NormTypeE2EdLi1ELi1ELi0EEEJPdiEEEvT_T0_DpT1_.has_indirect_call, 0
	.section	.AMDGPU.csdata,"",@progbits
; Kernel info:
; codeLenInByte = 1520
; TotalNumSgprs: 16
; NumVgprs: 26
; ScratchSize: 0
; MemoryBound: 0
; FloatMode: 240
; IeeeMode: 1
; LDSByteSize: 4096 bytes/workgroup (compile time only)
; SGPRBlocks: 0
; VGPRBlocks: 1
; NumSGPRsForWavesPerEU: 16
; NumVGPRsForWavesPerEU: 26
; NamedBarCnt: 0
; Occupancy: 16
; WaveLimiterHint : 0
; COMPUTE_PGM_RSRC2:SCRATCH_EN: 0
; COMPUTE_PGM_RSRC2:USER_SGPR: 2
; COMPUTE_PGM_RSRC2:TRAP_HANDLER: 0
; COMPUTE_PGM_RSRC2:TGID_X_EN: 1
; COMPUTE_PGM_RSRC2:TGID_Y_EN: 0
; COMPUTE_PGM_RSRC2:TGID_Z_EN: 0
; COMPUTE_PGM_RSRC2:TIDIG_COMP_CNT: 0
	.section	.text._ZN2at6native12_GLOBAL__N_125multi_tensor_apply_kernelINS1_18TensorListMetadataILi1EEENS0_13LpNormFunctorIdLNS0_8NormTypeE3EdLi1ELi1ELi0EEEJPdiEEEvT_T0_DpT1_,"axG",@progbits,_ZN2at6native12_GLOBAL__N_125multi_tensor_apply_kernelINS1_18TensorListMetadataILi1EEENS0_13LpNormFunctorIdLNS0_8NormTypeE3EdLi1ELi1ELi0EEEJPdiEEEvT_T0_DpT1_,comdat
	.globl	_ZN2at6native12_GLOBAL__N_125multi_tensor_apply_kernelINS1_18TensorListMetadataILi1EEENS0_13LpNormFunctorIdLNS0_8NormTypeE3EdLi1ELi1ELi0EEEJPdiEEEvT_T0_DpT1_ ; -- Begin function _ZN2at6native12_GLOBAL__N_125multi_tensor_apply_kernelINS1_18TensorListMetadataILi1EEENS0_13LpNormFunctorIdLNS0_8NormTypeE3EdLi1ELi1ELi0EEEJPdiEEEvT_T0_DpT1_
	.p2align	8
	.type	_ZN2at6native12_GLOBAL__N_125multi_tensor_apply_kernelINS1_18TensorListMetadataILi1EEENS0_13LpNormFunctorIdLNS0_8NormTypeE3EdLi1ELi1ELi0EEEJPdiEEEvT_T0_DpT1_,@function
_ZN2at6native12_GLOBAL__N_125multi_tensor_apply_kernelINS1_18TensorListMetadataILi1EEENS0_13LpNormFunctorIdLNS0_8NormTypeE3EdLi1ELi1ELi0EEEJPdiEEEvT_T0_DpT1_: ; @_ZN2at6native12_GLOBAL__N_125multi_tensor_apply_kernelINS1_18TensorListMetadataILi1EEENS0_13LpNormFunctorIdLNS0_8NormTypeE3EdLi1ELi1ELi0EEEJPdiEEEvT_T0_DpT1_
; %bb.0:
	s_bfe_u32 s2, ttmp6, 0x4000c
	s_and_b32 s3, ttmp6, 15
	s_add_co_i32 s2, s2, 1
	s_getreg_b32 s4, hwreg(HW_REG_IB_STS2, 6, 4)
	s_mul_i32 s2, ttmp9, s2
	s_delay_alu instid0(SALU_CYCLE_1)
	s_add_co_i32 s3, s3, s2
	s_cmp_eq_u32 s4, 0
	s_cselect_b32 s2, ttmp9, s3
	s_mov_b32 s3, 0
	v_mov_b32_e32 v1, s2
	s_add_nc_u64 s[4:5], s[0:1], s[2:3]
	s_mul_u64 s[6:7], s[2:3], 3
	s_delay_alu instid0(SALU_CYCLE_1) | instskip(SKIP_4) | instid1(SALU_CYCLE_1)
	s_add_nc_u64 s[4:5], s[4:5], s[6:7]
	global_load_u8 v21, v1, s[0:1] offset:1760
	s_load_b32 s6, s[4:5], 0x820
	s_wait_kmcnt 0x0
	s_ashr_i32 s7, s6, 31
	s_lshl_b64 s[10:11], s[6:7], 19
	s_lshl_b64 s[12:13], s[6:7], 16
	s_wait_loadcnt 0x0
	v_readfirstlane_b32 s2, v21
	s_and_b32 s2, s2, 0xff
	s_clause 0x1
	s_load_b64 s[4:5], s[0:1], s2 offset:0x0 scale_offset
	s_load_b64 s[8:9], s[0:1], s2 offset:0x370 scale_offset
	s_wait_kmcnt 0x0
	s_add_nc_u64 s[4:5], s[4:5], s[10:11]
	s_and_b32 s2, s8, 3
	s_and_b64 s[10:11], s[4:5], 31
	s_sub_nc_u64 s[8:9], s[8:9], s[12:13]
	s_or_b64 s[10:11], s[2:3], s[10:11]
	s_delay_alu instid0(SALU_CYCLE_1)
	s_cmp_eq_u64 s[10:11], 0
	s_cbranch_scc1 .LBB23_12
; %bb.1:
	v_cmp_lt_i64_e64 s2, s[8:9], 1
	s_and_b32 vcc_lo, exec_lo, s2
	s_cbranch_vccnz .LBB23_28
; %bb.2:
	s_load_b32 s2, s[0:1], 0xd4c
	v_min_i64 v[18:19], 0x10000, s[8:9]
	s_mov_b32 s11, 0
	s_mov_b64 s[12:13], 0
	s_wait_kmcnt 0x0
	s_and_b32 s2, s2, 0xffff
	s_delay_alu instid0(SALU_CYCLE_1) | instskip(SKIP_3) | instid1(VALU_DEP_3)
	v_dual_mov_b32 v11, 0 :: v_dual_add_nc_u32 v24, s2, v0
	v_mad_u32 v20, s2, 3, v0
	v_lshl_add_u32 v22, s2, 1, v0
	s_lshl_b32 s10, s2, 2
	v_dual_mov_b32 v10, v11 :: v_dual_mov_b32 v12, v11
	v_dual_mov_b32 v13, v11 :: v_dual_mov_b32 v14, v11
	;; [unrolled: 1-line block ×3, first 2 shown]
	v_mov_b32_e32 v17, v11
	s_delay_alu instid0(VALU_DEP_4) | instskip(NEXT) | instid1(VALU_DEP_4)
	v_mov_b64_e32 v[2:3], v[10:11]
	v_mov_b64_e32 v[4:5], v[12:13]
	s_delay_alu instid0(VALU_DEP_4) | instskip(NEXT) | instid1(VALU_DEP_4)
	v_mov_b64_e32 v[6:7], v[14:15]
	v_mov_b64_e32 v[8:9], v[16:17]
	s_branch .LBB23_4
.LBB23_3:                               ;   in Loop: Header=BB23_4 Depth=1
	s_or_b32 exec_lo, exec_lo, s2
	s_add_nc_u64 s[12:13], s[12:13], s[10:11]
	s_delay_alu instid0(SALU_CYCLE_1)
	v_cmp_lt_i64_e32 vcc_lo, s[12:13], v[18:19]
	s_cbranch_vccz .LBB23_13
.LBB23_4:                               ; =>This Inner Loop Header: Depth=1
	v_add_nc_u32_e32 v10, s12, v0
	s_delay_alu instid0(VALU_DEP_1) | instskip(SKIP_2) | instid1(SALU_CYCLE_1)
	v_cmp_gt_i64_e32 vcc_lo, s[8:9], v[10:11]
	v_cmp_gt_u32_e64 s2, 0x10000, v10
	s_and_b32 s7, s2, vcc_lo
	s_and_saveexec_b32 s2, s7
	s_cbranch_execz .LBB23_6
; %bb.5:                                ;   in Loop: Header=BB23_4 Depth=1
	v_lshl_add_u64 v[12:13], v[10:11], 3, s[4:5]
	global_load_b64 v[12:13], v[12:13], off
	s_wait_loadcnt 0x0
	v_cmp_u_f64_e32 vcc_lo, v[12:13], v[12:13]
	v_cmp_lt_f64_e64 s7, v[2:3], |v[12:13]|
	v_and_b32_e32 v1, 0x7fffffff, v13
	s_or_b32 vcc_lo, vcc_lo, s7
	s_delay_alu instid0(VALU_DEP_1)
	v_dual_cndmask_b32 v3, v3, v1 :: v_dual_cndmask_b32 v2, v2, v12
.LBB23_6:                               ;   in Loop: Header=BB23_4 Depth=1
	s_or_b32 exec_lo, exec_lo, s2
	v_add_nc_u32_e32 v10, s12, v24
	s_delay_alu instid0(VALU_DEP_1) | instskip(SKIP_2) | instid1(SALU_CYCLE_1)
	v_cmp_gt_i64_e32 vcc_lo, s[8:9], v[10:11]
	v_cmp_gt_u32_e64 s2, 0x10000, v10
	s_and_b32 s7, s2, vcc_lo
	s_and_saveexec_b32 s2, s7
	s_cbranch_execz .LBB23_8
; %bb.7:                                ;   in Loop: Header=BB23_4 Depth=1
	v_lshl_add_u64 v[12:13], v[10:11], 3, s[4:5]
	global_load_b64 v[12:13], v[12:13], off
	s_wait_loadcnt 0x0
	v_cmp_u_f64_e32 vcc_lo, v[12:13], v[12:13]
	v_cmp_lt_f64_e64 s7, v[4:5], |v[12:13]|
	v_and_b32_e32 v1, 0x7fffffff, v13
	s_or_b32 vcc_lo, vcc_lo, s7
	s_delay_alu instid0(VALU_DEP_1)
	v_dual_cndmask_b32 v5, v5, v1 :: v_dual_cndmask_b32 v4, v4, v12
.LBB23_8:                               ;   in Loop: Header=BB23_4 Depth=1
	s_or_b32 exec_lo, exec_lo, s2
	v_add_nc_u32_e32 v10, s12, v22
	s_delay_alu instid0(VALU_DEP_1) | instskip(SKIP_2) | instid1(SALU_CYCLE_1)
	v_cmp_gt_i64_e32 vcc_lo, s[8:9], v[10:11]
	v_cmp_gt_u32_e64 s2, 0x10000, v10
	s_and_b32 s7, s2, vcc_lo
	s_and_saveexec_b32 s2, s7
	s_cbranch_execz .LBB23_10
; %bb.9:                                ;   in Loop: Header=BB23_4 Depth=1
	v_lshl_add_u64 v[12:13], v[10:11], 3, s[4:5]
	global_load_b64 v[12:13], v[12:13], off
	s_wait_loadcnt 0x0
	v_cmp_u_f64_e32 vcc_lo, v[12:13], v[12:13]
	v_cmp_lt_f64_e64 s7, v[6:7], |v[12:13]|
	v_and_b32_e32 v1, 0x7fffffff, v13
	s_or_b32 vcc_lo, vcc_lo, s7
	s_delay_alu instid0(VALU_DEP_1)
	v_dual_cndmask_b32 v7, v7, v1 :: v_dual_cndmask_b32 v6, v6, v12
.LBB23_10:                              ;   in Loop: Header=BB23_4 Depth=1
	s_or_b32 exec_lo, exec_lo, s2
	v_add_nc_u32_e32 v10, s12, v20
	s_delay_alu instid0(VALU_DEP_1) | instskip(SKIP_2) | instid1(SALU_CYCLE_1)
	v_cmp_gt_i64_e32 vcc_lo, s[8:9], v[10:11]
	v_cmp_gt_u32_e64 s2, 0x10000, v10
	s_and_b32 s7, s2, vcc_lo
	s_and_saveexec_b32 s2, s7
	s_cbranch_execz .LBB23_3
; %bb.11:                               ;   in Loop: Header=BB23_4 Depth=1
	v_lshl_add_u64 v[12:13], v[10:11], 3, s[4:5]
	global_load_b64 v[12:13], v[12:13], off
	s_wait_loadcnt 0x0
	v_cmp_u_f64_e32 vcc_lo, v[12:13], v[12:13]
	v_cmp_lt_f64_e64 s7, v[8:9], |v[12:13]|
	v_and_b32_e32 v1, 0x7fffffff, v13
	s_or_b32 vcc_lo, vcc_lo, s7
	s_delay_alu instid0(VALU_DEP_1)
	v_dual_cndmask_b32 v9, v9, v1 :: v_dual_cndmask_b32 v8, v8, v12
	s_branch .LBB23_3
.LBB23_12:
	s_mov_b32 s3, -1
                                        ; implicit-def: $vgpr2_vgpr3_vgpr4_vgpr5_vgpr6_vgpr7_vgpr8_vgpr9
.LBB23_13:
	s_delay_alu instid0(SALU_CYCLE_1)
	s_and_not1_b32 vcc_lo, exec_lo, s3
	s_cbranch_vccnz .LBB23_19
.LBB23_14:
	v_min_i64 v[10:11], 0x10000, s[8:9]
	v_dual_mov_b32 v3, 0 :: v_dual_lshlrev_b32 v2, 2, v0
	s_mov_b32 s9, 0
	s_delay_alu instid0(VALU_DEP_1)
	v_dual_mov_b32 v4, v3 :: v_dual_mov_b32 v5, v3
	v_dual_mov_b32 v6, v3 :: v_dual_mov_b32 v7, v3
	;; [unrolled: 1-line block ×3, first 2 shown]
	v_cmp_lt_i64_e32 vcc_lo, v[2:3], v[10:11]
	v_mov_b32_e32 v2, v3
	s_and_saveexec_b32 s7, vcc_lo
	s_cbranch_execz .LBB23_18
; %bb.15:
	s_load_b32 s2, s[0:1], 0xd4c
	v_dual_mov_b32 v1, v3 :: v_dual_lshlrev_b32 v2, 5, v0
	v_mov_b64_e32 v[4:5], 0
	v_mov_b64_e32 v[6:7], 0
	v_mov_b64_e32 v[8:9], 0
	s_delay_alu instid0(VALU_DEP_4) | instskip(SKIP_4) | instid1(VALU_DEP_3)
	v_add_nc_u64_e32 v[12:13], s[4:5], v[2:3]
	v_mov_b64_e32 v[2:3], 0
	v_mov_b64_e32 v[14:15], v[0:1]
	s_mov_b32 s11, s9
	s_mov_b32 s12, s9
	v_add_nc_u64_e32 v[12:13], 16, v[12:13]
	s_wait_kmcnt 0x0
	s_and_b32 s8, s2, 0xffff
	s_delay_alu instid0(SALU_CYCLE_1)
	s_lshl_b32 s10, s8, 5
.LBB23_16:                              ; =>This Inner Loop Header: Depth=1
	s_clause 0x1
	global_load_b128 v[16:19], v[12:13], off offset:-16
	global_load_b128 v[22:25], v[12:13], off
	v_add_nc_u64_e32 v[14:15], s[8:9], v[14:15]
	s_wait_xcnt 0x0
	v_add_nc_u64_e32 v[12:13], s[10:11], v[12:13]
	s_delay_alu instid0(VALU_DEP_2) | instskip(NEXT) | instid1(VALU_DEP_1)
	v_lshlrev_b64_e32 v[26:27], 2, v[14:15]
	v_cmp_ge_i64_e64 s5, v[26:27], v[10:11]
	s_wait_loadcnt 0x1
	v_cmp_u_f64_e32 vcc_lo, v[16:17], v[16:17]
	v_cmp_lt_f64_e64 s13, v[2:3], |v[16:17]|
	v_cmp_u_f64_e64 s2, v[18:19], v[18:19]
	v_cmp_lt_f64_e64 s14, v[4:5], |v[18:19]|
	s_wait_loadcnt 0x0
	v_cmp_u_f64_e64 s3, v[22:23], v[22:23]
	v_cmp_lt_f64_e64 s15, v[6:7], |v[22:23]|
	v_cmp_u_f64_e64 s4, v[24:25], v[24:25]
	v_cmp_lt_f64_e64 s16, v[8:9], |v[24:25]|
	v_and_b32_e32 v1, 0x7fffffff, v17
	v_and_b32_e32 v17, 0x7fffffff, v19
	;; [unrolled: 1-line block ×4, first 2 shown]
	s_or_b32 vcc_lo, vcc_lo, s13
	s_or_b32 s2, s2, s14
	s_delay_alu instid0(SALU_CYCLE_1) | instskip(SKIP_2) | instid1(SALU_CYCLE_1)
	v_dual_cndmask_b32 v2, v2, v16, vcc_lo :: v_dual_cndmask_b32 v4, v4, v18, s2
	s_or_b32 s3, s3, s15
	s_or_b32 s4, s4, s16
	v_dual_cndmask_b32 v3, v3, v1, vcc_lo :: v_dual_cndmask_b32 v9, v9, v20, s4
	v_dual_cndmask_b32 v5, v5, v17, s2 :: v_dual_cndmask_b32 v7, v7, v19, s3
	v_dual_cndmask_b32 v6, v6, v22, s3 :: v_dual_cndmask_b32 v8, v8, v24, s4
	s_or_b32 s12, s5, s12
	s_delay_alu instid0(SALU_CYCLE_1)
	s_and_not1_b32 exec_lo, exec_lo, s12
	s_cbranch_execnz .LBB23_16
; %bb.17:
	s_or_b32 exec_lo, exec_lo, s12
.LBB23_18:
	s_delay_alu instid0(SALU_CYCLE_1)
	s_or_b32 exec_lo, exec_lo, s7
.LBB23_19:
	s_delay_alu instid0(VALU_DEP_1) | instskip(SKIP_3) | instid1(VALU_DEP_1)
	v_cmp_nge_f64_e32 vcc_lo, 0, v[2:3]
	v_mbcnt_lo_u32_b32 v10, -1, 0
	s_barrier_signal -1
	s_barrier_wait -1
	v_lshl_or_b32 v1, v10, 2, 64
	v_cmp_gt_u32_e64 s3, 24, v10
	v_dual_cndmask_b32 v3, 0, v3 :: v_dual_cndmask_b32 v2, 0, v2
	v_cmp_u_f64_e32 vcc_lo, v[4:5], v[4:5]
	s_delay_alu instid0(VALU_DEP_2) | instskip(SKIP_3) | instid1(VALU_DEP_2)
	v_cmp_lt_f64_e64 s2, v[2:3], v[4:5]
	s_or_b32 vcc_lo, vcc_lo, s2
	v_dual_cndmask_b32 v3, v3, v5 :: v_dual_cndmask_b32 v2, v2, v4
	v_cmp_u_f64_e32 vcc_lo, v[6:7], v[6:7]
	v_cmp_lt_f64_e64 s2, v[2:3], v[6:7]
	s_or_b32 vcc_lo, vcc_lo, s2
	v_dual_cndmask_b32 v3, v3, v7 :: v_dual_cndmask_b32 v2, v2, v6
	v_cmp_u_f64_e32 vcc_lo, v[8:9], v[8:9]
	v_cndmask_b32_e64 v6, 0, 8, s3
	v_cmp_gt_u32_e64 s3, 28, v10
	s_delay_alu instid0(VALU_DEP_4) | instskip(NEXT) | instid1(VALU_DEP_3)
	v_cmp_lt_f64_e64 s2, v[2:3], v[8:9]
	v_add_lshl_u32 v6, v6, v10, 2
	s_delay_alu instid0(VALU_DEP_3) | instskip(SKIP_1) | instid1(VALU_DEP_2)
	v_cndmask_b32_e64 v7, 0, 4, s3
	v_cmp_gt_u32_e64 s3, 30, v10
	v_add_lshl_u32 v7, v7, v10, 2
	s_or_b32 vcc_lo, vcc_lo, s2
	v_dual_cndmask_b32 v3, v3, v9 :: v_dual_cndmask_b32 v2, v2, v8
	v_cndmask_b32_e64 v8, 0, 2, s3
	v_cmp_ne_u32_e64 s3, 31, v10
	ds_bpermute_b32 v5, v1, v3
	ds_bpermute_b32 v4, v1, v2
	v_add_lshl_u32 v8, v8, v10, 2
	v_add_co_ci_u32_e64 v9, null, 0, v10, s3
	s_mov_b32 s3, exec_lo
	v_and_b32_e32 v10, 31, v0
	s_wait_dscnt 0x0
	v_cmp_u_f64_e32 vcc_lo, v[4:5], v[4:5]
	v_cmp_lt_f64_e64 s2, v[2:3], v[4:5]
	s_or_b32 vcc_lo, vcc_lo, s2
	v_dual_cndmask_b32 v3, v3, v5 :: v_dual_cndmask_b32 v2, v2, v4
	ds_bpermute_b32 v5, v6, v3
	ds_bpermute_b32 v4, v6, v2
	s_wait_dscnt 0x0
	v_cmp_u_f64_e32 vcc_lo, v[4:5], v[4:5]
	v_cmp_lt_f64_e64 s2, v[2:3], v[4:5]
	s_or_b32 vcc_lo, vcc_lo, s2
	v_dual_cndmask_b32 v3, v3, v5 :: v_dual_cndmask_b32 v2, v2, v4
	ds_bpermute_b32 v5, v7, v3
	ds_bpermute_b32 v4, v7, v2
	;; [unrolled: 7-line block ×3, first 2 shown]
	s_wait_dscnt 0x0
	v_cmp_u_f64_e32 vcc_lo, v[4:5], v[4:5]
	v_cmp_lt_f64_e64 s2, v[2:3], v[4:5]
	s_or_b32 vcc_lo, vcc_lo, s2
	v_dual_cndmask_b32 v2, v2, v4 :: v_dual_lshlrev_b32 v9, 2, v9
	v_cndmask_b32_e32 v3, v3, v5, vcc_lo
	ds_bpermute_b32 v4, v9, v2
	ds_bpermute_b32 v5, v9, v3
	v_cmpx_eq_u32_e32 0, v10
	s_cbranch_execz .LBB23_21
; %bb.20:
	s_wait_dscnt 0x0
	v_cmp_u_f64_e32 vcc_lo, v[4:5], v[4:5]
	v_cmp_lt_f64_e64 s2, v[2:3], v[4:5]
	s_or_b32 vcc_lo, vcc_lo, s2
	s_delay_alu instid0(SALU_CYCLE_1)
	v_dual_lshrrev_b32 v11, 2, v0 :: v_dual_cndmask_b32 v3, v3, v5, vcc_lo
	v_cndmask_b32_e32 v2, v2, v4, vcc_lo
	ds_store_b64 v11, v[2:3]
.LBB23_21:
	s_or_b32 exec_lo, exec_lo, s3
	s_wait_dscnt 0x0
	s_barrier_signal -1
	s_barrier_wait -1
	s_load_b32 s2, s[0:1], 0xd4c
	v_mov_b64_e32 v[2:3], 0xffefffffffffffff
	s_wait_kmcnt 0x0
	s_bfe_u32 s2, s2, 0xb0005
	s_delay_alu instid0(SALU_CYCLE_1)
	v_cmp_gt_u32_e32 vcc_lo, s2, v0
	s_and_saveexec_b32 s2, vcc_lo
; %bb.22:
	v_lshlrev_b32_e32 v2, 3, v10
	ds_load_b64 v[2:3], v2
; %bb.23:
	s_or_b32 exec_lo, exec_lo, s2
	s_delay_alu instid0(SALU_CYCLE_1)
	s_mov_b32 s3, exec_lo
	v_cmpx_gt_u32_e32 32, v0
	s_cbranch_execz .LBB23_25
; %bb.24:
	s_wait_dscnt 0x0
	ds_bpermute_b32 v4, v1, v2
	ds_bpermute_b32 v5, v1, v3
	s_wait_dscnt 0x0
	v_cmp_u_f64_e32 vcc_lo, v[4:5], v[4:5]
	v_cmp_lt_f64_e64 s2, v[2:3], v[4:5]
	s_or_b32 vcc_lo, vcc_lo, s2
	v_dual_cndmask_b32 v3, v3, v5 :: v_dual_cndmask_b32 v2, v2, v4
	ds_bpermute_b32 v5, v6, v3
	ds_bpermute_b32 v4, v6, v2
	s_wait_dscnt 0x0
	v_cmp_u_f64_e32 vcc_lo, v[4:5], v[4:5]
	v_cmp_lt_f64_e64 s2, v[2:3], v[4:5]
	s_or_b32 vcc_lo, vcc_lo, s2
	v_dual_cndmask_b32 v3, v3, v5 :: v_dual_cndmask_b32 v2, v2, v4
	;; [unrolled: 7-line block ×5, first 2 shown]
.LBB23_25:
	s_or_b32 exec_lo, exec_lo, s3
	s_delay_alu instid0(SALU_CYCLE_1)
	s_mov_b32 s2, exec_lo
	v_cmpx_eq_u32_e32 0, v0
	s_cbranch_execz .LBB23_27
; %bb.26:
	s_clause 0x1
	s_load_b32 s2, s[0:1], 0xd20
	s_load_b96 s[8:10], s[0:1], 0xd30
	v_and_b32_e32 v0, 0xff, v21
	s_wait_kmcnt 0x0
	s_delay_alu instid0(VALU_DEP_1) | instskip(NEXT) | instid1(VALU_DEP_1)
	v_add_nc_u32_e32 v0, s2, v0
	v_mul_lo_u32 v0, v0, s10
	s_delay_alu instid0(VALU_DEP_1)
	v_add_nc_u32_e32 v0, s6, v0
	s_wait_dscnt 0x0
	global_store_b64 v0, v[2:3], s[8:9] scale_offset
.LBB23_27:
	s_endpgm
.LBB23_28:
	v_mov_b32_e32 v2, 0
	s_delay_alu instid0(VALU_DEP_1)
	v_dual_mov_b32 v3, v2 :: v_dual_mov_b32 v4, v2
	v_dual_mov_b32 v5, v2 :: v_dual_mov_b32 v6, v2
	;; [unrolled: 1-line block ×3, first 2 shown]
	v_mov_b32_e32 v9, v2
	s_and_not1_b32 vcc_lo, exec_lo, s3
	s_cbranch_vccz .LBB23_14
	s_branch .LBB23_19
	.section	.rodata,"a",@progbits
	.p2align	6, 0x0
	.amdhsa_kernel _ZN2at6native12_GLOBAL__N_125multi_tensor_apply_kernelINS1_18TensorListMetadataILi1EEENS0_13LpNormFunctorIdLNS0_8NormTypeE3EdLi1ELi1ELi0EEEJPdiEEEvT_T0_DpT1_
		.amdhsa_group_segment_fixed_size 4096
		.amdhsa_private_segment_fixed_size 0
		.amdhsa_kernarg_size 3648
		.amdhsa_user_sgpr_count 2
		.amdhsa_user_sgpr_dispatch_ptr 0
		.amdhsa_user_sgpr_queue_ptr 0
		.amdhsa_user_sgpr_kernarg_segment_ptr 1
		.amdhsa_user_sgpr_dispatch_id 0
		.amdhsa_user_sgpr_kernarg_preload_length 0
		.amdhsa_user_sgpr_kernarg_preload_offset 0
		.amdhsa_user_sgpr_private_segment_size 0
		.amdhsa_wavefront_size32 1
		.amdhsa_uses_dynamic_stack 0
		.amdhsa_enable_private_segment 0
		.amdhsa_system_sgpr_workgroup_id_x 1
		.amdhsa_system_sgpr_workgroup_id_y 0
		.amdhsa_system_sgpr_workgroup_id_z 0
		.amdhsa_system_sgpr_workgroup_info 0
		.amdhsa_system_vgpr_workitem_id 0
		.amdhsa_next_free_vgpr 28
		.amdhsa_next_free_sgpr 17
		.amdhsa_named_barrier_count 0
		.amdhsa_reserve_vcc 1
		.amdhsa_float_round_mode_32 0
		.amdhsa_float_round_mode_16_64 0
		.amdhsa_float_denorm_mode_32 3
		.amdhsa_float_denorm_mode_16_64 3
		.amdhsa_fp16_overflow 0
		.amdhsa_memory_ordered 1
		.amdhsa_forward_progress 1
		.amdhsa_inst_pref_size 17
		.amdhsa_round_robin_scheduling 0
		.amdhsa_exception_fp_ieee_invalid_op 0
		.amdhsa_exception_fp_denorm_src 0
		.amdhsa_exception_fp_ieee_div_zero 0
		.amdhsa_exception_fp_ieee_overflow 0
		.amdhsa_exception_fp_ieee_underflow 0
		.amdhsa_exception_fp_ieee_inexact 0
		.amdhsa_exception_int_div_zero 0
	.end_amdhsa_kernel
	.section	.text._ZN2at6native12_GLOBAL__N_125multi_tensor_apply_kernelINS1_18TensorListMetadataILi1EEENS0_13LpNormFunctorIdLNS0_8NormTypeE3EdLi1ELi1ELi0EEEJPdiEEEvT_T0_DpT1_,"axG",@progbits,_ZN2at6native12_GLOBAL__N_125multi_tensor_apply_kernelINS1_18TensorListMetadataILi1EEENS0_13LpNormFunctorIdLNS0_8NormTypeE3EdLi1ELi1ELi0EEEJPdiEEEvT_T0_DpT1_,comdat
.Lfunc_end23:
	.size	_ZN2at6native12_GLOBAL__N_125multi_tensor_apply_kernelINS1_18TensorListMetadataILi1EEENS0_13LpNormFunctorIdLNS0_8NormTypeE3EdLi1ELi1ELi0EEEJPdiEEEvT_T0_DpT1_, .Lfunc_end23-_ZN2at6native12_GLOBAL__N_125multi_tensor_apply_kernelINS1_18TensorListMetadataILi1EEENS0_13LpNormFunctorIdLNS0_8NormTypeE3EdLi1ELi1ELi0EEEJPdiEEEvT_T0_DpT1_
                                        ; -- End function
	.set _ZN2at6native12_GLOBAL__N_125multi_tensor_apply_kernelINS1_18TensorListMetadataILi1EEENS0_13LpNormFunctorIdLNS0_8NormTypeE3EdLi1ELi1ELi0EEEJPdiEEEvT_T0_DpT1_.num_vgpr, 28
	.set _ZN2at6native12_GLOBAL__N_125multi_tensor_apply_kernelINS1_18TensorListMetadataILi1EEENS0_13LpNormFunctorIdLNS0_8NormTypeE3EdLi1ELi1ELi0EEEJPdiEEEvT_T0_DpT1_.num_agpr, 0
	.set _ZN2at6native12_GLOBAL__N_125multi_tensor_apply_kernelINS1_18TensorListMetadataILi1EEENS0_13LpNormFunctorIdLNS0_8NormTypeE3EdLi1ELi1ELi0EEEJPdiEEEvT_T0_DpT1_.numbered_sgpr, 17
	.set _ZN2at6native12_GLOBAL__N_125multi_tensor_apply_kernelINS1_18TensorListMetadataILi1EEENS0_13LpNormFunctorIdLNS0_8NormTypeE3EdLi1ELi1ELi0EEEJPdiEEEvT_T0_DpT1_.num_named_barrier, 0
	.set _ZN2at6native12_GLOBAL__N_125multi_tensor_apply_kernelINS1_18TensorListMetadataILi1EEENS0_13LpNormFunctorIdLNS0_8NormTypeE3EdLi1ELi1ELi0EEEJPdiEEEvT_T0_DpT1_.private_seg_size, 0
	.set _ZN2at6native12_GLOBAL__N_125multi_tensor_apply_kernelINS1_18TensorListMetadataILi1EEENS0_13LpNormFunctorIdLNS0_8NormTypeE3EdLi1ELi1ELi0EEEJPdiEEEvT_T0_DpT1_.uses_vcc, 1
	.set _ZN2at6native12_GLOBAL__N_125multi_tensor_apply_kernelINS1_18TensorListMetadataILi1EEENS0_13LpNormFunctorIdLNS0_8NormTypeE3EdLi1ELi1ELi0EEEJPdiEEEvT_T0_DpT1_.uses_flat_scratch, 0
	.set _ZN2at6native12_GLOBAL__N_125multi_tensor_apply_kernelINS1_18TensorListMetadataILi1EEENS0_13LpNormFunctorIdLNS0_8NormTypeE3EdLi1ELi1ELi0EEEJPdiEEEvT_T0_DpT1_.has_dyn_sized_stack, 0
	.set _ZN2at6native12_GLOBAL__N_125multi_tensor_apply_kernelINS1_18TensorListMetadataILi1EEENS0_13LpNormFunctorIdLNS0_8NormTypeE3EdLi1ELi1ELi0EEEJPdiEEEvT_T0_DpT1_.has_recursion, 0
	.set _ZN2at6native12_GLOBAL__N_125multi_tensor_apply_kernelINS1_18TensorListMetadataILi1EEENS0_13LpNormFunctorIdLNS0_8NormTypeE3EdLi1ELi1ELi0EEEJPdiEEEvT_T0_DpT1_.has_indirect_call, 0
	.section	.AMDGPU.csdata,"",@progbits
; Kernel info:
; codeLenInByte = 2084
; TotalNumSgprs: 19
; NumVgprs: 28
; ScratchSize: 0
; MemoryBound: 0
; FloatMode: 240
; IeeeMode: 1
; LDSByteSize: 4096 bytes/workgroup (compile time only)
; SGPRBlocks: 0
; VGPRBlocks: 1
; NumSGPRsForWavesPerEU: 19
; NumVGPRsForWavesPerEU: 28
; NamedBarCnt: 0
; Occupancy: 16
; WaveLimiterHint : 0
; COMPUTE_PGM_RSRC2:SCRATCH_EN: 0
; COMPUTE_PGM_RSRC2:USER_SGPR: 2
; COMPUTE_PGM_RSRC2:TRAP_HANDLER: 0
; COMPUTE_PGM_RSRC2:TGID_X_EN: 1
; COMPUTE_PGM_RSRC2:TGID_Y_EN: 0
; COMPUTE_PGM_RSRC2:TGID_Z_EN: 0
; COMPUTE_PGM_RSRC2:TIDIG_COMP_CNT: 0
	.section	.text._ZN2at6native14lpnorm_cleanupIdLNS0_8NormTypeE0EdLb1EdEEvPKT3_NS0_19TensorListAddressesEi,"axG",@progbits,_ZN2at6native14lpnorm_cleanupIdLNS0_8NormTypeE0EdLb1EdEEvPKT3_NS0_19TensorListAddressesEi,comdat
	.protected	_ZN2at6native14lpnorm_cleanupIdLNS0_8NormTypeE0EdLb1EdEEvPKT3_NS0_19TensorListAddressesEi ; -- Begin function _ZN2at6native14lpnorm_cleanupIdLNS0_8NormTypeE0EdLb1EdEEvPKT3_NS0_19TensorListAddressesEi
	.globl	_ZN2at6native14lpnorm_cleanupIdLNS0_8NormTypeE0EdLb1EdEEvPKT3_NS0_19TensorListAddressesEi
	.p2align	8
	.type	_ZN2at6native14lpnorm_cleanupIdLNS0_8NormTypeE0EdLb1EdEEvPKT3_NS0_19TensorListAddressesEi,@function
_ZN2at6native14lpnorm_cleanupIdLNS0_8NormTypeE0EdLb1EdEEvPKT3_NS0_19TensorListAddressesEi: ; @_ZN2at6native14lpnorm_cleanupIdLNS0_8NormTypeE0EdLb1EdEEvPKT3_NS0_19TensorListAddressesEi
; %bb.0:
	s_load_b32 s2, s[0:1], 0xc88
	s_bfe_u32 s3, ttmp6, 0x4000c
	s_and_b32 s4, ttmp6, 15
	s_add_co_i32 s3, s3, 1
	v_mov_b64_e32 v[2:3], 0
	s_mul_i32 s3, ttmp9, s3
	s_mov_b32 s5, 0
	s_add_co_i32 s4, s4, s3
	s_getreg_b32 s3, hwreg(HW_REG_IB_STS2, 6, 4)
	s_mov_b32 s9, exec_lo
	s_cmp_eq_u32 s3, 0
	s_cselect_b32 s8, ttmp9, s4
	s_wait_kmcnt 0x0
	v_cmpx_gt_u32_e64 s2, v0
	s_cbranch_execz .LBB24_4
; %bb.1:
	s_clause 0x1
	s_load_b64 s[6:7], s[0:1], 0x0
	s_load_b32 s4, s[0:1], 0xc9c
	v_dual_mov_b32 v1, 0 :: v_dual_lshlrev_b32 v2, 3, v0
	s_mul_i32 s10, s2, s8
	s_mov_b32 s11, s5
	s_ashr_i32 s3, s2, 31
	s_delay_alu instid0(VALU_DEP_1)
	v_mov_b32_e32 v3, v1
	s_lshl_b64 s[10:11], s[10:11], 3
	v_mov_b64_e32 v[6:7], v[0:1]
	s_wait_kmcnt 0x0
	s_add_nc_u64 s[6:7], s[6:7], s[10:11]
	s_and_b32 s4, s4, 0xffff
	v_add_nc_u64_e32 v[4:5], s[6:7], v[2:3]
	v_mov_b64_e32 v[2:3], 0
	s_lshl_b32 s6, s4, 3
	s_mov_b32 s7, s5
	s_mov_b32 s10, s5
.LBB24_2:                               ; =>This Inner Loop Header: Depth=1
	global_load_b64 v[8:9], v[4:5], off
	v_add_nc_u64_e32 v[6:7], s[4:5], v[6:7]
	s_wait_xcnt 0x0
	v_add_nc_u64_e32 v[4:5], s[6:7], v[4:5]
	s_delay_alu instid0(VALU_DEP_2)
	v_cmp_le_u64_e32 vcc_lo, s[2:3], v[6:7]
	s_or_b32 s10, vcc_lo, s10
	s_wait_loadcnt 0x0
	v_add_f64_e32 v[2:3], v[2:3], v[8:9]
	s_and_not1_b32 exec_lo, exec_lo, s10
	s_cbranch_execnz .LBB24_2
; %bb.3:
	s_or_b32 exec_lo, exec_lo, s10
.LBB24_4:
	s_delay_alu instid0(SALU_CYCLE_1) | instskip(SKIP_4) | instid1(VALU_DEP_2)
	s_or_b32 exec_lo, exec_lo, s9
	v_mbcnt_lo_u32_b32 v9, -1, 0
	v_and_b32_e32 v10, 31, v0
	s_mov_b32 s2, exec_lo
	s_barrier_signal -1
	v_lshl_or_b32 v1, v9, 2, 64
	v_cmp_gt_u32_e32 vcc_lo, 24, v9
	s_barrier_wait -1
	ds_bpermute_b32 v4, v1, v2
	ds_bpermute_b32 v5, v1, v3
	s_wait_dscnt 0x0
	v_add_f64_e32 v[2:3], v[2:3], v[4:5]
	v_cndmask_b32_e64 v4, 0, 8, vcc_lo
	v_cmp_gt_u32_e32 vcc_lo, 28, v9
	s_delay_alu instid0(VALU_DEP_2)
	v_add_lshl_u32 v6, v4, v9, 2
	ds_bpermute_b32 v4, v6, v2
	ds_bpermute_b32 v5, v6, v3
	s_wait_dscnt 0x0
	v_add_f64_e32 v[2:3], v[2:3], v[4:5]
	v_cndmask_b32_e64 v4, 0, 4, vcc_lo
	v_cmp_gt_u32_e32 vcc_lo, 30, v9
	s_delay_alu instid0(VALU_DEP_2)
	v_add_lshl_u32 v7, v4, v9, 2
	ds_bpermute_b32 v4, v7, v2
	ds_bpermute_b32 v5, v7, v3
	s_wait_dscnt 0x0
	v_add_f64_e32 v[2:3], v[2:3], v[4:5]
	v_cndmask_b32_e64 v4, 0, 2, vcc_lo
	v_cmp_ne_u32_e32 vcc_lo, 31, v9
	s_delay_alu instid0(VALU_DEP_2)
	v_add_lshl_u32 v8, v4, v9, 2
	ds_bpermute_b32 v4, v8, v2
	ds_bpermute_b32 v5, v8, v3
	s_wait_dscnt 0x0
	v_add_f64_e32 v[2:3], v[2:3], v[4:5]
	v_add_co_ci_u32_e64 v4, null, 0, v9, vcc_lo
	s_delay_alu instid0(VALU_DEP_1)
	v_lshlrev_b32_e32 v9, 2, v4
	ds_bpermute_b32 v4, v9, v2
	ds_bpermute_b32 v5, v9, v3
	v_cmpx_eq_u32_e32 0, v10
	s_cbranch_execz .LBB24_6
; %bb.5:
	s_wait_dscnt 0x0
	v_add_f64_e32 v[2:3], v[2:3], v[4:5]
	v_lshrrev_b32_e32 v4, 2, v0
	ds_store_b64 v4, v[2:3]
.LBB24_6:
	s_or_b32 exec_lo, exec_lo, s2
	s_wait_dscnt 0x0
	s_barrier_signal -1
	s_barrier_wait -1
	s_load_b32 s2, s[0:1], 0xc9c
	v_mov_b64_e32 v[2:3], 0
	s_wait_kmcnt 0x0
	s_bfe_u32 s2, s2, 0xb0005
	s_delay_alu instid0(SALU_CYCLE_1)
	v_cmp_gt_u32_e32 vcc_lo, s2, v0
	s_and_saveexec_b32 s2, vcc_lo
; %bb.7:
	v_lshlrev_b32_e32 v2, 3, v10
	ds_load_b64 v[2:3], v2
; %bb.8:
	s_or_b32 exec_lo, exec_lo, s2
	s_delay_alu instid0(SALU_CYCLE_1)
	s_mov_b32 s2, exec_lo
	v_cmpx_gt_u32_e32 32, v0
	s_cbranch_execz .LBB24_10
; %bb.9:
	s_wait_dscnt 0x0
	ds_bpermute_b32 v4, v1, v2
	ds_bpermute_b32 v5, v1, v3
	s_wait_dscnt 0x0
	v_add_f64_e32 v[2:3], v[2:3], v[4:5]
	ds_bpermute_b32 v4, v6, v2
	ds_bpermute_b32 v5, v6, v3
	s_wait_dscnt 0x0
	v_add_f64_e32 v[2:3], v[2:3], v[4:5]
	;; [unrolled: 4-line block ×5, first 2 shown]
.LBB24_10:
	s_or_b32 exec_lo, exec_lo, s2
	s_delay_alu instid0(SALU_CYCLE_1)
	s_mov_b32 s2, exec_lo
	v_cmpx_eq_u32_e32 0, v0
	s_cbranch_execz .LBB24_12
; %bb.11:
	s_load_b64 s[0:1], s[0:1], s8 offset:0x8 scale_offset
	v_mov_b32_e32 v0, 0
	s_wait_dscnt 0x0
	s_wait_kmcnt 0x0
	global_store_b64 v0, v[2:3], s[0:1]
.LBB24_12:
	s_endpgm
	.section	.rodata,"a",@progbits
	.p2align	6, 0x0
	.amdhsa_kernel _ZN2at6native14lpnorm_cleanupIdLNS0_8NormTypeE0EdLb1EdEEvPKT3_NS0_19TensorListAddressesEi
		.amdhsa_group_segment_fixed_size 4096
		.amdhsa_private_segment_fixed_size 0
		.amdhsa_kernarg_size 3472
		.amdhsa_user_sgpr_count 2
		.amdhsa_user_sgpr_dispatch_ptr 0
		.amdhsa_user_sgpr_queue_ptr 0
		.amdhsa_user_sgpr_kernarg_segment_ptr 1
		.amdhsa_user_sgpr_dispatch_id 0
		.amdhsa_user_sgpr_kernarg_preload_length 0
		.amdhsa_user_sgpr_kernarg_preload_offset 0
		.amdhsa_user_sgpr_private_segment_size 0
		.amdhsa_wavefront_size32 1
		.amdhsa_uses_dynamic_stack 0
		.amdhsa_enable_private_segment 0
		.amdhsa_system_sgpr_workgroup_id_x 1
		.amdhsa_system_sgpr_workgroup_id_y 0
		.amdhsa_system_sgpr_workgroup_id_z 0
		.amdhsa_system_sgpr_workgroup_info 0
		.amdhsa_system_vgpr_workitem_id 0
		.amdhsa_next_free_vgpr 11
		.amdhsa_next_free_sgpr 12
		.amdhsa_named_barrier_count 0
		.amdhsa_reserve_vcc 1
		.amdhsa_float_round_mode_32 0
		.amdhsa_float_round_mode_16_64 0
		.amdhsa_float_denorm_mode_32 3
		.amdhsa_float_denorm_mode_16_64 3
		.amdhsa_fp16_overflow 0
		.amdhsa_memory_ordered 1
		.amdhsa_forward_progress 1
		.amdhsa_inst_pref_size 6
		.amdhsa_round_robin_scheduling 0
		.amdhsa_exception_fp_ieee_invalid_op 0
		.amdhsa_exception_fp_denorm_src 0
		.amdhsa_exception_fp_ieee_div_zero 0
		.amdhsa_exception_fp_ieee_overflow 0
		.amdhsa_exception_fp_ieee_underflow 0
		.amdhsa_exception_fp_ieee_inexact 0
		.amdhsa_exception_int_div_zero 0
	.end_amdhsa_kernel
	.section	.text._ZN2at6native14lpnorm_cleanupIdLNS0_8NormTypeE0EdLb1EdEEvPKT3_NS0_19TensorListAddressesEi,"axG",@progbits,_ZN2at6native14lpnorm_cleanupIdLNS0_8NormTypeE0EdLb1EdEEvPKT3_NS0_19TensorListAddressesEi,comdat
.Lfunc_end24:
	.size	_ZN2at6native14lpnorm_cleanupIdLNS0_8NormTypeE0EdLb1EdEEvPKT3_NS0_19TensorListAddressesEi, .Lfunc_end24-_ZN2at6native14lpnorm_cleanupIdLNS0_8NormTypeE0EdLb1EdEEvPKT3_NS0_19TensorListAddressesEi
                                        ; -- End function
	.set _ZN2at6native14lpnorm_cleanupIdLNS0_8NormTypeE0EdLb1EdEEvPKT3_NS0_19TensorListAddressesEi.num_vgpr, 11
	.set _ZN2at6native14lpnorm_cleanupIdLNS0_8NormTypeE0EdLb1EdEEvPKT3_NS0_19TensorListAddressesEi.num_agpr, 0
	.set _ZN2at6native14lpnorm_cleanupIdLNS0_8NormTypeE0EdLb1EdEEvPKT3_NS0_19TensorListAddressesEi.numbered_sgpr, 12
	.set _ZN2at6native14lpnorm_cleanupIdLNS0_8NormTypeE0EdLb1EdEEvPKT3_NS0_19TensorListAddressesEi.num_named_barrier, 0
	.set _ZN2at6native14lpnorm_cleanupIdLNS0_8NormTypeE0EdLb1EdEEvPKT3_NS0_19TensorListAddressesEi.private_seg_size, 0
	.set _ZN2at6native14lpnorm_cleanupIdLNS0_8NormTypeE0EdLb1EdEEvPKT3_NS0_19TensorListAddressesEi.uses_vcc, 1
	.set _ZN2at6native14lpnorm_cleanupIdLNS0_8NormTypeE0EdLb1EdEEvPKT3_NS0_19TensorListAddressesEi.uses_flat_scratch, 0
	.set _ZN2at6native14lpnorm_cleanupIdLNS0_8NormTypeE0EdLb1EdEEvPKT3_NS0_19TensorListAddressesEi.has_dyn_sized_stack, 0
	.set _ZN2at6native14lpnorm_cleanupIdLNS0_8NormTypeE0EdLb1EdEEvPKT3_NS0_19TensorListAddressesEi.has_recursion, 0
	.set _ZN2at6native14lpnorm_cleanupIdLNS0_8NormTypeE0EdLb1EdEEvPKT3_NS0_19TensorListAddressesEi.has_indirect_call, 0
	.section	.AMDGPU.csdata,"",@progbits
; Kernel info:
; codeLenInByte = 756
; TotalNumSgprs: 14
; NumVgprs: 11
; ScratchSize: 0
; MemoryBound: 0
; FloatMode: 240
; IeeeMode: 1
; LDSByteSize: 4096 bytes/workgroup (compile time only)
; SGPRBlocks: 0
; VGPRBlocks: 0
; NumSGPRsForWavesPerEU: 14
; NumVGPRsForWavesPerEU: 11
; NamedBarCnt: 0
; Occupancy: 16
; WaveLimiterHint : 0
; COMPUTE_PGM_RSRC2:SCRATCH_EN: 0
; COMPUTE_PGM_RSRC2:USER_SGPR: 2
; COMPUTE_PGM_RSRC2:TRAP_HANDLER: 0
; COMPUTE_PGM_RSRC2:TGID_X_EN: 1
; COMPUTE_PGM_RSRC2:TGID_Y_EN: 0
; COMPUTE_PGM_RSRC2:TGID_Z_EN: 0
; COMPUTE_PGM_RSRC2:TIDIG_COMP_CNT: 0
	.section	.text._ZN2at6native14lpnorm_cleanupIdLNS0_8NormTypeE1EdLb1EdEEvPKT3_NS0_19TensorListAddressesEi,"axG",@progbits,_ZN2at6native14lpnorm_cleanupIdLNS0_8NormTypeE1EdLb1EdEEvPKT3_NS0_19TensorListAddressesEi,comdat
	.protected	_ZN2at6native14lpnorm_cleanupIdLNS0_8NormTypeE1EdLb1EdEEvPKT3_NS0_19TensorListAddressesEi ; -- Begin function _ZN2at6native14lpnorm_cleanupIdLNS0_8NormTypeE1EdLb1EdEEvPKT3_NS0_19TensorListAddressesEi
	.globl	_ZN2at6native14lpnorm_cleanupIdLNS0_8NormTypeE1EdLb1EdEEvPKT3_NS0_19TensorListAddressesEi
	.p2align	8
	.type	_ZN2at6native14lpnorm_cleanupIdLNS0_8NormTypeE1EdLb1EdEEvPKT3_NS0_19TensorListAddressesEi,@function
_ZN2at6native14lpnorm_cleanupIdLNS0_8NormTypeE1EdLb1EdEEvPKT3_NS0_19TensorListAddressesEi: ; @_ZN2at6native14lpnorm_cleanupIdLNS0_8NormTypeE1EdLb1EdEEvPKT3_NS0_19TensorListAddressesEi
; %bb.0:
	s_load_b32 s2, s[0:1], 0xc88
	s_bfe_u32 s3, ttmp6, 0x4000c
	s_and_b32 s4, ttmp6, 15
	s_add_co_i32 s3, s3, 1
	v_mov_b64_e32 v[2:3], 0
	s_mul_i32 s3, ttmp9, s3
	s_mov_b32 s5, 0
	s_add_co_i32 s4, s4, s3
	s_getreg_b32 s3, hwreg(HW_REG_IB_STS2, 6, 4)
	s_mov_b32 s9, exec_lo
	s_cmp_eq_u32 s3, 0
	s_cselect_b32 s8, ttmp9, s4
	s_wait_kmcnt 0x0
	v_cmpx_gt_u32_e64 s2, v0
	s_cbranch_execz .LBB25_4
; %bb.1:
	s_clause 0x1
	s_load_b64 s[6:7], s[0:1], 0x0
	s_load_b32 s4, s[0:1], 0xc9c
	v_dual_mov_b32 v1, 0 :: v_dual_lshlrev_b32 v2, 3, v0
	s_mul_i32 s10, s2, s8
	s_mov_b32 s11, s5
	s_ashr_i32 s3, s2, 31
	s_delay_alu instid0(VALU_DEP_1)
	v_mov_b32_e32 v3, v1
	s_lshl_b64 s[10:11], s[10:11], 3
	v_mov_b64_e32 v[6:7], v[0:1]
	s_wait_kmcnt 0x0
	s_add_nc_u64 s[6:7], s[6:7], s[10:11]
	s_and_b32 s4, s4, 0xffff
	v_add_nc_u64_e32 v[4:5], s[6:7], v[2:3]
	v_mov_b64_e32 v[2:3], 0
	s_lshl_b32 s6, s4, 3
	s_mov_b32 s7, s5
	s_mov_b32 s10, s5
.LBB25_2:                               ; =>This Inner Loop Header: Depth=1
	global_load_b64 v[8:9], v[4:5], off
	v_add_nc_u64_e32 v[6:7], s[4:5], v[6:7]
	s_wait_xcnt 0x0
	v_add_nc_u64_e32 v[4:5], s[6:7], v[4:5]
	s_delay_alu instid0(VALU_DEP_2)
	v_cmp_le_u64_e32 vcc_lo, s[2:3], v[6:7]
	s_or_b32 s10, vcc_lo, s10
	s_wait_loadcnt 0x0
	v_add_f64_e32 v[2:3], v[2:3], v[8:9]
	s_and_not1_b32 exec_lo, exec_lo, s10
	s_cbranch_execnz .LBB25_2
; %bb.3:
	s_or_b32 exec_lo, exec_lo, s10
.LBB25_4:
	s_delay_alu instid0(SALU_CYCLE_1) | instskip(SKIP_4) | instid1(VALU_DEP_2)
	s_or_b32 exec_lo, exec_lo, s9
	v_mbcnt_lo_u32_b32 v9, -1, 0
	v_and_b32_e32 v10, 31, v0
	s_mov_b32 s2, exec_lo
	s_barrier_signal -1
	v_lshl_or_b32 v1, v9, 2, 64
	v_cmp_gt_u32_e32 vcc_lo, 24, v9
	s_barrier_wait -1
	ds_bpermute_b32 v4, v1, v2
	ds_bpermute_b32 v5, v1, v3
	s_wait_dscnt 0x0
	v_add_f64_e32 v[2:3], v[2:3], v[4:5]
	v_cndmask_b32_e64 v4, 0, 8, vcc_lo
	v_cmp_gt_u32_e32 vcc_lo, 28, v9
	s_delay_alu instid0(VALU_DEP_2)
	v_add_lshl_u32 v6, v4, v9, 2
	ds_bpermute_b32 v4, v6, v2
	ds_bpermute_b32 v5, v6, v3
	s_wait_dscnt 0x0
	v_add_f64_e32 v[2:3], v[2:3], v[4:5]
	v_cndmask_b32_e64 v4, 0, 4, vcc_lo
	v_cmp_gt_u32_e32 vcc_lo, 30, v9
	s_delay_alu instid0(VALU_DEP_2)
	v_add_lshl_u32 v7, v4, v9, 2
	ds_bpermute_b32 v4, v7, v2
	ds_bpermute_b32 v5, v7, v3
	s_wait_dscnt 0x0
	v_add_f64_e32 v[2:3], v[2:3], v[4:5]
	v_cndmask_b32_e64 v4, 0, 2, vcc_lo
	v_cmp_ne_u32_e32 vcc_lo, 31, v9
	s_delay_alu instid0(VALU_DEP_2)
	v_add_lshl_u32 v8, v4, v9, 2
	ds_bpermute_b32 v4, v8, v2
	ds_bpermute_b32 v5, v8, v3
	s_wait_dscnt 0x0
	v_add_f64_e32 v[2:3], v[2:3], v[4:5]
	v_add_co_ci_u32_e64 v4, null, 0, v9, vcc_lo
	s_delay_alu instid0(VALU_DEP_1)
	v_lshlrev_b32_e32 v9, 2, v4
	ds_bpermute_b32 v4, v9, v2
	ds_bpermute_b32 v5, v9, v3
	v_cmpx_eq_u32_e32 0, v10
	s_cbranch_execz .LBB25_6
; %bb.5:
	s_wait_dscnt 0x0
	v_add_f64_e32 v[2:3], v[2:3], v[4:5]
	v_lshrrev_b32_e32 v4, 2, v0
	ds_store_b64 v4, v[2:3]
.LBB25_6:
	s_or_b32 exec_lo, exec_lo, s2
	s_wait_dscnt 0x0
	s_barrier_signal -1
	s_barrier_wait -1
	s_load_b32 s2, s[0:1], 0xc9c
	v_mov_b64_e32 v[2:3], 0
	s_wait_kmcnt 0x0
	s_bfe_u32 s2, s2, 0xb0005
	s_delay_alu instid0(SALU_CYCLE_1)
	v_cmp_gt_u32_e32 vcc_lo, s2, v0
	s_and_saveexec_b32 s2, vcc_lo
; %bb.7:
	v_lshlrev_b32_e32 v2, 3, v10
	ds_load_b64 v[2:3], v2
; %bb.8:
	s_or_b32 exec_lo, exec_lo, s2
	s_delay_alu instid0(SALU_CYCLE_1)
	s_mov_b32 s2, exec_lo
	v_cmpx_gt_u32_e32 32, v0
	s_cbranch_execz .LBB25_10
; %bb.9:
	s_wait_dscnt 0x0
	ds_bpermute_b32 v4, v1, v2
	ds_bpermute_b32 v5, v1, v3
	s_wait_dscnt 0x0
	v_add_f64_e32 v[2:3], v[2:3], v[4:5]
	ds_bpermute_b32 v4, v6, v2
	ds_bpermute_b32 v5, v6, v3
	s_wait_dscnt 0x0
	v_add_f64_e32 v[2:3], v[2:3], v[4:5]
	;; [unrolled: 4-line block ×5, first 2 shown]
.LBB25_10:
	s_or_b32 exec_lo, exec_lo, s2
	s_delay_alu instid0(SALU_CYCLE_1)
	s_mov_b32 s2, exec_lo
	v_cmpx_eq_u32_e32 0, v0
	s_cbranch_execz .LBB25_12
; %bb.11:
	s_load_b64 s[0:1], s[0:1], s8 offset:0x8 scale_offset
	v_mov_b32_e32 v0, 0
	s_wait_dscnt 0x0
	s_wait_kmcnt 0x0
	global_store_b64 v0, v[2:3], s[0:1]
.LBB25_12:
	s_endpgm
	.section	.rodata,"a",@progbits
	.p2align	6, 0x0
	.amdhsa_kernel _ZN2at6native14lpnorm_cleanupIdLNS0_8NormTypeE1EdLb1EdEEvPKT3_NS0_19TensorListAddressesEi
		.amdhsa_group_segment_fixed_size 4096
		.amdhsa_private_segment_fixed_size 0
		.amdhsa_kernarg_size 3472
		.amdhsa_user_sgpr_count 2
		.amdhsa_user_sgpr_dispatch_ptr 0
		.amdhsa_user_sgpr_queue_ptr 0
		.amdhsa_user_sgpr_kernarg_segment_ptr 1
		.amdhsa_user_sgpr_dispatch_id 0
		.amdhsa_user_sgpr_kernarg_preload_length 0
		.amdhsa_user_sgpr_kernarg_preload_offset 0
		.amdhsa_user_sgpr_private_segment_size 0
		.amdhsa_wavefront_size32 1
		.amdhsa_uses_dynamic_stack 0
		.amdhsa_enable_private_segment 0
		.amdhsa_system_sgpr_workgroup_id_x 1
		.amdhsa_system_sgpr_workgroup_id_y 0
		.amdhsa_system_sgpr_workgroup_id_z 0
		.amdhsa_system_sgpr_workgroup_info 0
		.amdhsa_system_vgpr_workitem_id 0
		.amdhsa_next_free_vgpr 11
		.amdhsa_next_free_sgpr 12
		.amdhsa_named_barrier_count 0
		.amdhsa_reserve_vcc 1
		.amdhsa_float_round_mode_32 0
		.amdhsa_float_round_mode_16_64 0
		.amdhsa_float_denorm_mode_32 3
		.amdhsa_float_denorm_mode_16_64 3
		.amdhsa_fp16_overflow 0
		.amdhsa_memory_ordered 1
		.amdhsa_forward_progress 1
		.amdhsa_inst_pref_size 6
		.amdhsa_round_robin_scheduling 0
		.amdhsa_exception_fp_ieee_invalid_op 0
		.amdhsa_exception_fp_denorm_src 0
		.amdhsa_exception_fp_ieee_div_zero 0
		.amdhsa_exception_fp_ieee_overflow 0
		.amdhsa_exception_fp_ieee_underflow 0
		.amdhsa_exception_fp_ieee_inexact 0
		.amdhsa_exception_int_div_zero 0
	.end_amdhsa_kernel
	.section	.text._ZN2at6native14lpnorm_cleanupIdLNS0_8NormTypeE1EdLb1EdEEvPKT3_NS0_19TensorListAddressesEi,"axG",@progbits,_ZN2at6native14lpnorm_cleanupIdLNS0_8NormTypeE1EdLb1EdEEvPKT3_NS0_19TensorListAddressesEi,comdat
.Lfunc_end25:
	.size	_ZN2at6native14lpnorm_cleanupIdLNS0_8NormTypeE1EdLb1EdEEvPKT3_NS0_19TensorListAddressesEi, .Lfunc_end25-_ZN2at6native14lpnorm_cleanupIdLNS0_8NormTypeE1EdLb1EdEEvPKT3_NS0_19TensorListAddressesEi
                                        ; -- End function
	.set _ZN2at6native14lpnorm_cleanupIdLNS0_8NormTypeE1EdLb1EdEEvPKT3_NS0_19TensorListAddressesEi.num_vgpr, 11
	.set _ZN2at6native14lpnorm_cleanupIdLNS0_8NormTypeE1EdLb1EdEEvPKT3_NS0_19TensorListAddressesEi.num_agpr, 0
	.set _ZN2at6native14lpnorm_cleanupIdLNS0_8NormTypeE1EdLb1EdEEvPKT3_NS0_19TensorListAddressesEi.numbered_sgpr, 12
	.set _ZN2at6native14lpnorm_cleanupIdLNS0_8NormTypeE1EdLb1EdEEvPKT3_NS0_19TensorListAddressesEi.num_named_barrier, 0
	.set _ZN2at6native14lpnorm_cleanupIdLNS0_8NormTypeE1EdLb1EdEEvPKT3_NS0_19TensorListAddressesEi.private_seg_size, 0
	.set _ZN2at6native14lpnorm_cleanupIdLNS0_8NormTypeE1EdLb1EdEEvPKT3_NS0_19TensorListAddressesEi.uses_vcc, 1
	.set _ZN2at6native14lpnorm_cleanupIdLNS0_8NormTypeE1EdLb1EdEEvPKT3_NS0_19TensorListAddressesEi.uses_flat_scratch, 0
	.set _ZN2at6native14lpnorm_cleanupIdLNS0_8NormTypeE1EdLb1EdEEvPKT3_NS0_19TensorListAddressesEi.has_dyn_sized_stack, 0
	.set _ZN2at6native14lpnorm_cleanupIdLNS0_8NormTypeE1EdLb1EdEEvPKT3_NS0_19TensorListAddressesEi.has_recursion, 0
	.set _ZN2at6native14lpnorm_cleanupIdLNS0_8NormTypeE1EdLb1EdEEvPKT3_NS0_19TensorListAddressesEi.has_indirect_call, 0
	.section	.AMDGPU.csdata,"",@progbits
; Kernel info:
; codeLenInByte = 756
; TotalNumSgprs: 14
; NumVgprs: 11
; ScratchSize: 0
; MemoryBound: 0
; FloatMode: 240
; IeeeMode: 1
; LDSByteSize: 4096 bytes/workgroup (compile time only)
; SGPRBlocks: 0
; VGPRBlocks: 0
; NumSGPRsForWavesPerEU: 14
; NumVGPRsForWavesPerEU: 11
; NamedBarCnt: 0
; Occupancy: 16
; WaveLimiterHint : 0
; COMPUTE_PGM_RSRC2:SCRATCH_EN: 0
; COMPUTE_PGM_RSRC2:USER_SGPR: 2
; COMPUTE_PGM_RSRC2:TRAP_HANDLER: 0
; COMPUTE_PGM_RSRC2:TGID_X_EN: 1
; COMPUTE_PGM_RSRC2:TGID_Y_EN: 0
; COMPUTE_PGM_RSRC2:TGID_Z_EN: 0
; COMPUTE_PGM_RSRC2:TIDIG_COMP_CNT: 0
	.section	.text._ZN2at6native14lpnorm_cleanupIdLNS0_8NormTypeE2EdLb1EdEEvPKT3_NS0_19TensorListAddressesEi,"axG",@progbits,_ZN2at6native14lpnorm_cleanupIdLNS0_8NormTypeE2EdLb1EdEEvPKT3_NS0_19TensorListAddressesEi,comdat
	.protected	_ZN2at6native14lpnorm_cleanupIdLNS0_8NormTypeE2EdLb1EdEEvPKT3_NS0_19TensorListAddressesEi ; -- Begin function _ZN2at6native14lpnorm_cleanupIdLNS0_8NormTypeE2EdLb1EdEEvPKT3_NS0_19TensorListAddressesEi
	.globl	_ZN2at6native14lpnorm_cleanupIdLNS0_8NormTypeE2EdLb1EdEEvPKT3_NS0_19TensorListAddressesEi
	.p2align	8
	.type	_ZN2at6native14lpnorm_cleanupIdLNS0_8NormTypeE2EdLb1EdEEvPKT3_NS0_19TensorListAddressesEi,@function
_ZN2at6native14lpnorm_cleanupIdLNS0_8NormTypeE2EdLb1EdEEvPKT3_NS0_19TensorListAddressesEi: ; @_ZN2at6native14lpnorm_cleanupIdLNS0_8NormTypeE2EdLb1EdEEvPKT3_NS0_19TensorListAddressesEi
; %bb.0:
	s_load_b32 s2, s[0:1], 0xc88
	s_bfe_u32 s3, ttmp6, 0x4000c
	s_and_b32 s4, ttmp6, 15
	s_add_co_i32 s3, s3, 1
	v_mov_b64_e32 v[2:3], 0
	s_mul_i32 s3, ttmp9, s3
	s_mov_b32 s5, 0
	s_add_co_i32 s4, s4, s3
	s_getreg_b32 s3, hwreg(HW_REG_IB_STS2, 6, 4)
	s_mov_b32 s9, exec_lo
	s_cmp_eq_u32 s3, 0
	s_cselect_b32 s8, ttmp9, s4
	s_wait_kmcnt 0x0
	v_cmpx_gt_u32_e64 s2, v0
	s_cbranch_execz .LBB26_4
; %bb.1:
	s_clause 0x1
	s_load_b64 s[6:7], s[0:1], 0x0
	s_load_b32 s4, s[0:1], 0xc9c
	v_dual_mov_b32 v1, 0 :: v_dual_lshlrev_b32 v2, 3, v0
	s_mul_i32 s10, s2, s8
	s_mov_b32 s11, s5
	s_ashr_i32 s3, s2, 31
	s_delay_alu instid0(VALU_DEP_1)
	v_mov_b32_e32 v3, v1
	s_lshl_b64 s[10:11], s[10:11], 3
	v_mov_b64_e32 v[6:7], v[0:1]
	s_wait_kmcnt 0x0
	s_add_nc_u64 s[6:7], s[6:7], s[10:11]
	s_and_b32 s4, s4, 0xffff
	v_add_nc_u64_e32 v[4:5], s[6:7], v[2:3]
	v_mov_b64_e32 v[2:3], 0
	s_lshl_b32 s6, s4, 3
	s_mov_b32 s7, s5
	s_mov_b32 s10, s5
.LBB26_2:                               ; =>This Inner Loop Header: Depth=1
	global_load_b64 v[8:9], v[4:5], off
	v_add_nc_u64_e32 v[6:7], s[4:5], v[6:7]
	s_wait_xcnt 0x0
	v_add_nc_u64_e32 v[4:5], s[6:7], v[4:5]
	s_delay_alu instid0(VALU_DEP_2)
	v_cmp_le_u64_e32 vcc_lo, s[2:3], v[6:7]
	s_or_b32 s10, vcc_lo, s10
	s_wait_loadcnt 0x0
	v_add_f64_e32 v[2:3], v[2:3], v[8:9]
	s_and_not1_b32 exec_lo, exec_lo, s10
	s_cbranch_execnz .LBB26_2
; %bb.3:
	s_or_b32 exec_lo, exec_lo, s10
.LBB26_4:
	s_delay_alu instid0(SALU_CYCLE_1) | instskip(SKIP_4) | instid1(VALU_DEP_2)
	s_or_b32 exec_lo, exec_lo, s9
	v_mbcnt_lo_u32_b32 v9, -1, 0
	v_and_b32_e32 v10, 31, v0
	s_mov_b32 s2, exec_lo
	s_barrier_signal -1
	v_lshl_or_b32 v1, v9, 2, 64
	v_cmp_gt_u32_e32 vcc_lo, 24, v9
	s_barrier_wait -1
	ds_bpermute_b32 v4, v1, v2
	ds_bpermute_b32 v5, v1, v3
	s_wait_dscnt 0x0
	v_add_f64_e32 v[2:3], v[2:3], v[4:5]
	v_cndmask_b32_e64 v4, 0, 8, vcc_lo
	v_cmp_gt_u32_e32 vcc_lo, 28, v9
	s_delay_alu instid0(VALU_DEP_2)
	v_add_lshl_u32 v6, v4, v9, 2
	ds_bpermute_b32 v4, v6, v2
	ds_bpermute_b32 v5, v6, v3
	s_wait_dscnt 0x0
	v_add_f64_e32 v[2:3], v[2:3], v[4:5]
	v_cndmask_b32_e64 v4, 0, 4, vcc_lo
	v_cmp_gt_u32_e32 vcc_lo, 30, v9
	s_delay_alu instid0(VALU_DEP_2)
	v_add_lshl_u32 v7, v4, v9, 2
	ds_bpermute_b32 v4, v7, v2
	ds_bpermute_b32 v5, v7, v3
	s_wait_dscnt 0x0
	v_add_f64_e32 v[2:3], v[2:3], v[4:5]
	v_cndmask_b32_e64 v4, 0, 2, vcc_lo
	v_cmp_ne_u32_e32 vcc_lo, 31, v9
	s_delay_alu instid0(VALU_DEP_2)
	v_add_lshl_u32 v8, v4, v9, 2
	ds_bpermute_b32 v4, v8, v2
	ds_bpermute_b32 v5, v8, v3
	s_wait_dscnt 0x0
	v_add_f64_e32 v[2:3], v[2:3], v[4:5]
	v_add_co_ci_u32_e64 v4, null, 0, v9, vcc_lo
	s_delay_alu instid0(VALU_DEP_1)
	v_lshlrev_b32_e32 v9, 2, v4
	ds_bpermute_b32 v4, v9, v2
	ds_bpermute_b32 v5, v9, v3
	v_cmpx_eq_u32_e32 0, v10
	s_cbranch_execz .LBB26_6
; %bb.5:
	s_wait_dscnt 0x0
	v_add_f64_e32 v[2:3], v[2:3], v[4:5]
	v_lshrrev_b32_e32 v4, 2, v0
	ds_store_b64 v4, v[2:3]
.LBB26_6:
	s_or_b32 exec_lo, exec_lo, s2
	s_wait_dscnt 0x0
	s_barrier_signal -1
	s_barrier_wait -1
	s_load_b32 s2, s[0:1], 0xc9c
	v_mov_b64_e32 v[2:3], 0
	s_wait_kmcnt 0x0
	s_bfe_u32 s2, s2, 0xb0005
	s_delay_alu instid0(SALU_CYCLE_1)
	v_cmp_gt_u32_e32 vcc_lo, s2, v0
	s_and_saveexec_b32 s2, vcc_lo
; %bb.7:
	v_lshlrev_b32_e32 v2, 3, v10
	ds_load_b64 v[2:3], v2
; %bb.8:
	s_or_b32 exec_lo, exec_lo, s2
	s_delay_alu instid0(SALU_CYCLE_1)
	s_mov_b32 s2, exec_lo
	v_cmpx_gt_u32_e32 32, v0
	s_cbranch_execz .LBB26_10
; %bb.9:
	s_wait_dscnt 0x0
	ds_bpermute_b32 v4, v1, v2
	ds_bpermute_b32 v5, v1, v3
	s_wait_dscnt 0x0
	v_add_f64_e32 v[2:3], v[2:3], v[4:5]
	ds_bpermute_b32 v4, v6, v2
	ds_bpermute_b32 v5, v6, v3
	s_wait_dscnt 0x0
	v_add_f64_e32 v[2:3], v[2:3], v[4:5]
	;; [unrolled: 4-line block ×5, first 2 shown]
.LBB26_10:
	s_or_b32 exec_lo, exec_lo, s2
	s_delay_alu instid0(SALU_CYCLE_1)
	s_mov_b32 s2, exec_lo
	v_cmpx_eq_u32_e32 0, v0
	s_cbranch_execz .LBB26_12
; %bb.11:
	s_wait_dscnt 0x0
	s_delay_alu instid0(VALU_DEP_2) | instskip(SKIP_2) | instid1(VALU_DEP_1)
	v_cmp_gt_f64_e32 vcc_lo, 0x10000000, v[2:3]
	s_load_b64 s[0:1], s[0:1], s8 offset:0x8 scale_offset
	v_cndmask_b32_e64 v0, 0, 0x100, vcc_lo
	v_ldexp_f64 v[0:1], v[2:3], v0
	s_delay_alu instid0(VALU_DEP_1) | instskip(SKIP_1) | instid1(TRANS32_DEP_1)
	v_rsq_f64_e32 v[2:3], v[0:1]
	v_nop
	v_mul_f64_e32 v[4:5], v[0:1], v[2:3]
	v_mul_f64_e32 v[2:3], 0.5, v[2:3]
	s_delay_alu instid0(VALU_DEP_1) | instskip(NEXT) | instid1(VALU_DEP_1)
	v_fma_f64 v[6:7], -v[2:3], v[4:5], 0.5
	v_fmac_f64_e32 v[4:5], v[4:5], v[6:7]
	v_fmac_f64_e32 v[2:3], v[2:3], v[6:7]
	s_delay_alu instid0(VALU_DEP_2) | instskip(NEXT) | instid1(VALU_DEP_1)
	v_fma_f64 v[6:7], -v[4:5], v[4:5], v[0:1]
	v_fmac_f64_e32 v[4:5], v[6:7], v[2:3]
	s_delay_alu instid0(VALU_DEP_1) | instskip(NEXT) | instid1(VALU_DEP_1)
	v_fma_f64 v[6:7], -v[4:5], v[4:5], v[0:1]
	v_fmac_f64_e32 v[4:5], v[6:7], v[2:3]
	v_cndmask_b32_e64 v2, 0, 0xffffff80, vcc_lo
	v_cmp_class_f64_e64 vcc_lo, v[0:1], 0x260
	s_delay_alu instid0(VALU_DEP_2) | instskip(NEXT) | instid1(VALU_DEP_1)
	v_ldexp_f64 v[2:3], v[4:5], v2
	v_dual_cndmask_b32 v1, v3, v1 :: v_dual_cndmask_b32 v0, v2, v0
	v_mov_b32_e32 v2, 0
	s_wait_kmcnt 0x0
	global_store_b64 v2, v[0:1], s[0:1]
.LBB26_12:
	s_endpgm
	.section	.rodata,"a",@progbits
	.p2align	6, 0x0
	.amdhsa_kernel _ZN2at6native14lpnorm_cleanupIdLNS0_8NormTypeE2EdLb1EdEEvPKT3_NS0_19TensorListAddressesEi
		.amdhsa_group_segment_fixed_size 4096
		.amdhsa_private_segment_fixed_size 0
		.amdhsa_kernarg_size 3472
		.amdhsa_user_sgpr_count 2
		.amdhsa_user_sgpr_dispatch_ptr 0
		.amdhsa_user_sgpr_queue_ptr 0
		.amdhsa_user_sgpr_kernarg_segment_ptr 1
		.amdhsa_user_sgpr_dispatch_id 0
		.amdhsa_user_sgpr_kernarg_preload_length 0
		.amdhsa_user_sgpr_kernarg_preload_offset 0
		.amdhsa_user_sgpr_private_segment_size 0
		.amdhsa_wavefront_size32 1
		.amdhsa_uses_dynamic_stack 0
		.amdhsa_enable_private_segment 0
		.amdhsa_system_sgpr_workgroup_id_x 1
		.amdhsa_system_sgpr_workgroup_id_y 0
		.amdhsa_system_sgpr_workgroup_id_z 0
		.amdhsa_system_sgpr_workgroup_info 0
		.amdhsa_system_vgpr_workitem_id 0
		.amdhsa_next_free_vgpr 11
		.amdhsa_next_free_sgpr 12
		.amdhsa_named_barrier_count 0
		.amdhsa_reserve_vcc 1
		.amdhsa_float_round_mode_32 0
		.amdhsa_float_round_mode_16_64 0
		.amdhsa_float_denorm_mode_32 3
		.amdhsa_float_denorm_mode_16_64 3
		.amdhsa_fp16_overflow 0
		.amdhsa_memory_ordered 1
		.amdhsa_forward_progress 1
		.amdhsa_inst_pref_size 8
		.amdhsa_round_robin_scheduling 0
		.amdhsa_exception_fp_ieee_invalid_op 0
		.amdhsa_exception_fp_denorm_src 0
		.amdhsa_exception_fp_ieee_div_zero 0
		.amdhsa_exception_fp_ieee_overflow 0
		.amdhsa_exception_fp_ieee_underflow 0
		.amdhsa_exception_fp_ieee_inexact 0
		.amdhsa_exception_int_div_zero 0
	.end_amdhsa_kernel
	.section	.text._ZN2at6native14lpnorm_cleanupIdLNS0_8NormTypeE2EdLb1EdEEvPKT3_NS0_19TensorListAddressesEi,"axG",@progbits,_ZN2at6native14lpnorm_cleanupIdLNS0_8NormTypeE2EdLb1EdEEvPKT3_NS0_19TensorListAddressesEi,comdat
.Lfunc_end26:
	.size	_ZN2at6native14lpnorm_cleanupIdLNS0_8NormTypeE2EdLb1EdEEvPKT3_NS0_19TensorListAddressesEi, .Lfunc_end26-_ZN2at6native14lpnorm_cleanupIdLNS0_8NormTypeE2EdLb1EdEEvPKT3_NS0_19TensorListAddressesEi
                                        ; -- End function
	.set _ZN2at6native14lpnorm_cleanupIdLNS0_8NormTypeE2EdLb1EdEEvPKT3_NS0_19TensorListAddressesEi.num_vgpr, 11
	.set _ZN2at6native14lpnorm_cleanupIdLNS0_8NormTypeE2EdLb1EdEEvPKT3_NS0_19TensorListAddressesEi.num_agpr, 0
	.set _ZN2at6native14lpnorm_cleanupIdLNS0_8NormTypeE2EdLb1EdEEvPKT3_NS0_19TensorListAddressesEi.numbered_sgpr, 12
	.set _ZN2at6native14lpnorm_cleanupIdLNS0_8NormTypeE2EdLb1EdEEvPKT3_NS0_19TensorListAddressesEi.num_named_barrier, 0
	.set _ZN2at6native14lpnorm_cleanupIdLNS0_8NormTypeE2EdLb1EdEEvPKT3_NS0_19TensorListAddressesEi.private_seg_size, 0
	.set _ZN2at6native14lpnorm_cleanupIdLNS0_8NormTypeE2EdLb1EdEEvPKT3_NS0_19TensorListAddressesEi.uses_vcc, 1
	.set _ZN2at6native14lpnorm_cleanupIdLNS0_8NormTypeE2EdLb1EdEEvPKT3_NS0_19TensorListAddressesEi.uses_flat_scratch, 0
	.set _ZN2at6native14lpnorm_cleanupIdLNS0_8NormTypeE2EdLb1EdEEvPKT3_NS0_19TensorListAddressesEi.has_dyn_sized_stack, 0
	.set _ZN2at6native14lpnorm_cleanupIdLNS0_8NormTypeE2EdLb1EdEEvPKT3_NS0_19TensorListAddressesEi.has_recursion, 0
	.set _ZN2at6native14lpnorm_cleanupIdLNS0_8NormTypeE2EdLb1EdEEvPKT3_NS0_19TensorListAddressesEi.has_indirect_call, 0
	.section	.AMDGPU.csdata,"",@progbits
; Kernel info:
; codeLenInByte = 904
; TotalNumSgprs: 14
; NumVgprs: 11
; ScratchSize: 0
; MemoryBound: 0
; FloatMode: 240
; IeeeMode: 1
; LDSByteSize: 4096 bytes/workgroup (compile time only)
; SGPRBlocks: 0
; VGPRBlocks: 0
; NumSGPRsForWavesPerEU: 14
; NumVGPRsForWavesPerEU: 11
; NamedBarCnt: 0
; Occupancy: 16
; WaveLimiterHint : 0
; COMPUTE_PGM_RSRC2:SCRATCH_EN: 0
; COMPUTE_PGM_RSRC2:USER_SGPR: 2
; COMPUTE_PGM_RSRC2:TRAP_HANDLER: 0
; COMPUTE_PGM_RSRC2:TGID_X_EN: 1
; COMPUTE_PGM_RSRC2:TGID_Y_EN: 0
; COMPUTE_PGM_RSRC2:TGID_Z_EN: 0
; COMPUTE_PGM_RSRC2:TIDIG_COMP_CNT: 0
	.section	.text._ZN2at6native14lpnorm_cleanupIdLNS0_8NormTypeE3EdLb1EdEEvPKT3_NS0_19TensorListAddressesEi,"axG",@progbits,_ZN2at6native14lpnorm_cleanupIdLNS0_8NormTypeE3EdLb1EdEEvPKT3_NS0_19TensorListAddressesEi,comdat
	.protected	_ZN2at6native14lpnorm_cleanupIdLNS0_8NormTypeE3EdLb1EdEEvPKT3_NS0_19TensorListAddressesEi ; -- Begin function _ZN2at6native14lpnorm_cleanupIdLNS0_8NormTypeE3EdLb1EdEEvPKT3_NS0_19TensorListAddressesEi
	.globl	_ZN2at6native14lpnorm_cleanupIdLNS0_8NormTypeE3EdLb1EdEEvPKT3_NS0_19TensorListAddressesEi
	.p2align	8
	.type	_ZN2at6native14lpnorm_cleanupIdLNS0_8NormTypeE3EdLb1EdEEvPKT3_NS0_19TensorListAddressesEi,@function
_ZN2at6native14lpnorm_cleanupIdLNS0_8NormTypeE3EdLb1EdEEvPKT3_NS0_19TensorListAddressesEi: ; @_ZN2at6native14lpnorm_cleanupIdLNS0_8NormTypeE3EdLb1EdEEvPKT3_NS0_19TensorListAddressesEi
; %bb.0:
	s_load_b32 s4, s[0:1], 0xc88
	s_bfe_u32 s2, ttmp6, 0x4000c
	s_and_b32 s3, ttmp6, 15
	s_add_co_i32 s2, s2, 1
	v_mov_b64_e32 v[2:3], 0
	s_mul_i32 s2, ttmp9, s2
	s_mov_b32 s7, 0
	s_add_co_i32 s3, s3, s2
	s_getreg_b32 s2, hwreg(HW_REG_IB_STS2, 6, 4)
	s_mov_b32 s11, exec_lo
	s_cmp_eq_u32 s2, 0
	s_cselect_b32 s10, ttmp9, s3
	s_wait_kmcnt 0x0
	v_cmpx_gt_u32_e64 s4, v0
	s_cbranch_execz .LBB27_4
; %bb.1:
	s_clause 0x1
	s_load_b64 s[2:3], s[0:1], 0x0
	s_load_b32 s6, s[0:1], 0xc9c
	v_dual_mov_b32 v1, 0 :: v_dual_lshlrev_b32 v2, 3, v0
	s_mul_i32 s8, s4, s10
	s_mov_b32 s9, s7
	s_ashr_i32 s5, s4, 31
	s_delay_alu instid0(VALU_DEP_1)
	v_mov_b32_e32 v3, v1
	s_lshl_b64 s[8:9], s[8:9], 3
	v_mov_b64_e32 v[6:7], v[0:1]
	s_mov_b32 s12, s7
	s_wait_kmcnt 0x0
	s_add_nc_u64 s[2:3], s[2:3], s[8:9]
	s_and_b32 s6, s6, 0xffff
	v_add_nc_u64_e32 v[4:5], s[2:3], v[2:3]
	v_mov_b64_e32 v[2:3], 0
	s_lshl_b32 s8, s6, 3
	s_mov_b32 s9, s7
.LBB27_2:                               ; =>This Inner Loop Header: Depth=1
	global_load_b64 v[8:9], v[4:5], off
	v_add_nc_u64_e32 v[6:7], s[6:7], v[6:7]
	s_wait_xcnt 0x0
	v_add_nc_u64_e32 v[4:5], s[8:9], v[4:5]
	s_delay_alu instid0(VALU_DEP_2)
	v_cmp_le_u64_e64 s3, s[4:5], v[6:7]
	s_wait_loadcnt 0x0
	v_cmp_u_f64_e32 vcc_lo, v[8:9], v[8:9]
	v_cmp_lt_f64_e64 s2, v[2:3], v[8:9]
	s_or_b32 vcc_lo, vcc_lo, s2
	s_or_b32 s12, s3, s12
	v_dual_cndmask_b32 v3, v3, v9 :: v_dual_cndmask_b32 v2, v2, v8
	s_and_not1_b32 exec_lo, exec_lo, s12
	s_cbranch_execnz .LBB27_2
; %bb.3:
	s_or_b32 exec_lo, exec_lo, s12
.LBB27_4:
	s_delay_alu instid0(SALU_CYCLE_1) | instskip(SKIP_3) | instid1(VALU_DEP_1)
	s_or_b32 exec_lo, exec_lo, s11
	v_mbcnt_lo_u32_b32 v9, -1, 0
	s_barrier_signal -1
	s_barrier_wait -1
	v_lshl_or_b32 v1, v9, 2, 64
	v_cmp_gt_u32_e64 s3, 24, v9
	v_and_b32_e32 v10, 31, v0
	ds_bpermute_b32 v4, v1, v2
	ds_bpermute_b32 v5, v1, v3
	v_cndmask_b32_e64 v6, 0, 8, s3
	v_cmp_gt_u32_e64 s3, 28, v9
	s_delay_alu instid0(VALU_DEP_2) | instskip(NEXT) | instid1(VALU_DEP_2)
	v_add_lshl_u32 v6, v6, v9, 2
	v_cndmask_b32_e64 v7, 0, 4, s3
	v_cmp_gt_u32_e64 s3, 30, v9
	s_delay_alu instid0(VALU_DEP_2) | instskip(NEXT) | instid1(VALU_DEP_2)
	v_add_lshl_u32 v7, v7, v9, 2
	v_cndmask_b32_e64 v8, 0, 2, s3
	v_cmp_ne_u32_e64 s3, 31, v9
	s_delay_alu instid0(VALU_DEP_2) | instskip(NEXT) | instid1(VALU_DEP_2)
	v_add_lshl_u32 v8, v8, v9, 2
	v_add_co_ci_u32_e64 v9, null, 0, v9, s3
	s_wait_dscnt 0x0
	v_cmp_u_f64_e32 vcc_lo, v[4:5], v[4:5]
	v_cmp_lt_f64_e64 s2, v[2:3], v[4:5]
	s_mov_b32 s3, exec_lo
	s_or_b32 vcc_lo, vcc_lo, s2
	v_dual_cndmask_b32 v3, v3, v5 :: v_dual_cndmask_b32 v2, v2, v4
	ds_bpermute_b32 v5, v6, v3
	ds_bpermute_b32 v4, v6, v2
	s_wait_dscnt 0x0
	v_cmp_u_f64_e32 vcc_lo, v[4:5], v[4:5]
	v_cmp_lt_f64_e64 s2, v[2:3], v[4:5]
	s_or_b32 vcc_lo, vcc_lo, s2
	v_dual_cndmask_b32 v3, v3, v5 :: v_dual_cndmask_b32 v2, v2, v4
	ds_bpermute_b32 v5, v7, v3
	ds_bpermute_b32 v4, v7, v2
	s_wait_dscnt 0x0
	v_cmp_u_f64_e32 vcc_lo, v[4:5], v[4:5]
	v_cmp_lt_f64_e64 s2, v[2:3], v[4:5]
	;; [unrolled: 7-line block ×3, first 2 shown]
	s_or_b32 vcc_lo, vcc_lo, s2
	v_dual_cndmask_b32 v2, v2, v4 :: v_dual_lshlrev_b32 v9, 2, v9
	v_cndmask_b32_e32 v3, v3, v5, vcc_lo
	ds_bpermute_b32 v4, v9, v2
	ds_bpermute_b32 v5, v9, v3
	v_cmpx_eq_u32_e32 0, v10
	s_cbranch_execz .LBB27_6
; %bb.5:
	s_wait_dscnt 0x0
	v_cmp_u_f64_e32 vcc_lo, v[4:5], v[4:5]
	v_cmp_lt_f64_e64 s2, v[2:3], v[4:5]
	s_or_b32 vcc_lo, vcc_lo, s2
	s_delay_alu instid0(SALU_CYCLE_1)
	v_dual_lshrrev_b32 v11, 2, v0 :: v_dual_cndmask_b32 v3, v3, v5, vcc_lo
	v_cndmask_b32_e32 v2, v2, v4, vcc_lo
	ds_store_b64 v11, v[2:3]
.LBB27_6:
	s_or_b32 exec_lo, exec_lo, s3
	s_wait_dscnt 0x0
	s_barrier_signal -1
	s_barrier_wait -1
	s_load_b32 s2, s[0:1], 0xc9c
	v_mov_b64_e32 v[2:3], 0xffefffffffffffff
	s_wait_kmcnt 0x0
	s_bfe_u32 s2, s2, 0xb0005
	s_delay_alu instid0(SALU_CYCLE_1)
	v_cmp_gt_u32_e32 vcc_lo, s2, v0
	s_and_saveexec_b32 s2, vcc_lo
; %bb.7:
	v_lshlrev_b32_e32 v2, 3, v10
	ds_load_b64 v[2:3], v2
; %bb.8:
	s_or_b32 exec_lo, exec_lo, s2
	s_delay_alu instid0(SALU_CYCLE_1)
	s_mov_b32 s3, exec_lo
	v_cmpx_gt_u32_e32 32, v0
	s_cbranch_execz .LBB27_10
; %bb.9:
	s_wait_dscnt 0x0
	ds_bpermute_b32 v4, v1, v2
	ds_bpermute_b32 v5, v1, v3
	s_wait_dscnt 0x0
	v_cmp_u_f64_e32 vcc_lo, v[4:5], v[4:5]
	v_cmp_lt_f64_e64 s2, v[2:3], v[4:5]
	s_or_b32 vcc_lo, vcc_lo, s2
	v_dual_cndmask_b32 v3, v3, v5 :: v_dual_cndmask_b32 v2, v2, v4
	ds_bpermute_b32 v5, v6, v3
	ds_bpermute_b32 v4, v6, v2
	s_wait_dscnt 0x0
	v_cmp_u_f64_e32 vcc_lo, v[4:5], v[4:5]
	v_cmp_lt_f64_e64 s2, v[2:3], v[4:5]
	s_or_b32 vcc_lo, vcc_lo, s2
	v_dual_cndmask_b32 v3, v3, v5 :: v_dual_cndmask_b32 v2, v2, v4
	;; [unrolled: 7-line block ×5, first 2 shown]
.LBB27_10:
	s_or_b32 exec_lo, exec_lo, s3
	s_delay_alu instid0(SALU_CYCLE_1)
	s_mov_b32 s2, exec_lo
	v_cmpx_eq_u32_e32 0, v0
	s_cbranch_execz .LBB27_12
; %bb.11:
	s_load_b64 s[0:1], s[0:1], s10 offset:0x8 scale_offset
	v_mov_b32_e32 v0, 0
	s_wait_dscnt 0x0
	s_wait_kmcnt 0x0
	global_store_b64 v0, v[2:3], s[0:1]
.LBB27_12:
	s_endpgm
	.section	.rodata,"a",@progbits
	.p2align	6, 0x0
	.amdhsa_kernel _ZN2at6native14lpnorm_cleanupIdLNS0_8NormTypeE3EdLb1EdEEvPKT3_NS0_19TensorListAddressesEi
		.amdhsa_group_segment_fixed_size 4096
		.amdhsa_private_segment_fixed_size 0
		.amdhsa_kernarg_size 3472
		.amdhsa_user_sgpr_count 2
		.amdhsa_user_sgpr_dispatch_ptr 0
		.amdhsa_user_sgpr_queue_ptr 0
		.amdhsa_user_sgpr_kernarg_segment_ptr 1
		.amdhsa_user_sgpr_dispatch_id 0
		.amdhsa_user_sgpr_kernarg_preload_length 0
		.amdhsa_user_sgpr_kernarg_preload_offset 0
		.amdhsa_user_sgpr_private_segment_size 0
		.amdhsa_wavefront_size32 1
		.amdhsa_uses_dynamic_stack 0
		.amdhsa_enable_private_segment 0
		.amdhsa_system_sgpr_workgroup_id_x 1
		.amdhsa_system_sgpr_workgroup_id_y 0
		.amdhsa_system_sgpr_workgroup_id_z 0
		.amdhsa_system_sgpr_workgroup_info 0
		.amdhsa_system_vgpr_workitem_id 0
		.amdhsa_next_free_vgpr 12
		.amdhsa_next_free_sgpr 13
		.amdhsa_named_barrier_count 0
		.amdhsa_reserve_vcc 1
		.amdhsa_float_round_mode_32 0
		.amdhsa_float_round_mode_16_64 0
		.amdhsa_float_denorm_mode_32 3
		.amdhsa_float_denorm_mode_16_64 3
		.amdhsa_fp16_overflow 0
		.amdhsa_memory_ordered 1
		.amdhsa_forward_progress 1
		.amdhsa_inst_pref_size 8
		.amdhsa_round_robin_scheduling 0
		.amdhsa_exception_fp_ieee_invalid_op 0
		.amdhsa_exception_fp_denorm_src 0
		.amdhsa_exception_fp_ieee_div_zero 0
		.amdhsa_exception_fp_ieee_overflow 0
		.amdhsa_exception_fp_ieee_underflow 0
		.amdhsa_exception_fp_ieee_inexact 0
		.amdhsa_exception_int_div_zero 0
	.end_amdhsa_kernel
	.section	.text._ZN2at6native14lpnorm_cleanupIdLNS0_8NormTypeE3EdLb1EdEEvPKT3_NS0_19TensorListAddressesEi,"axG",@progbits,_ZN2at6native14lpnorm_cleanupIdLNS0_8NormTypeE3EdLb1EdEEvPKT3_NS0_19TensorListAddressesEi,comdat
.Lfunc_end27:
	.size	_ZN2at6native14lpnorm_cleanupIdLNS0_8NormTypeE3EdLb1EdEEvPKT3_NS0_19TensorListAddressesEi, .Lfunc_end27-_ZN2at6native14lpnorm_cleanupIdLNS0_8NormTypeE3EdLb1EdEEvPKT3_NS0_19TensorListAddressesEi
                                        ; -- End function
	.set _ZN2at6native14lpnorm_cleanupIdLNS0_8NormTypeE3EdLb1EdEEvPKT3_NS0_19TensorListAddressesEi.num_vgpr, 12
	.set _ZN2at6native14lpnorm_cleanupIdLNS0_8NormTypeE3EdLb1EdEEvPKT3_NS0_19TensorListAddressesEi.num_agpr, 0
	.set _ZN2at6native14lpnorm_cleanupIdLNS0_8NormTypeE3EdLb1EdEEvPKT3_NS0_19TensorListAddressesEi.numbered_sgpr, 13
	.set _ZN2at6native14lpnorm_cleanupIdLNS0_8NormTypeE3EdLb1EdEEvPKT3_NS0_19TensorListAddressesEi.num_named_barrier, 0
	.set _ZN2at6native14lpnorm_cleanupIdLNS0_8NormTypeE3EdLb1EdEEvPKT3_NS0_19TensorListAddressesEi.private_seg_size, 0
	.set _ZN2at6native14lpnorm_cleanupIdLNS0_8NormTypeE3EdLb1EdEEvPKT3_NS0_19TensorListAddressesEi.uses_vcc, 1
	.set _ZN2at6native14lpnorm_cleanupIdLNS0_8NormTypeE3EdLb1EdEEvPKT3_NS0_19TensorListAddressesEi.uses_flat_scratch, 0
	.set _ZN2at6native14lpnorm_cleanupIdLNS0_8NormTypeE3EdLb1EdEEvPKT3_NS0_19TensorListAddressesEi.has_dyn_sized_stack, 0
	.set _ZN2at6native14lpnorm_cleanupIdLNS0_8NormTypeE3EdLb1EdEEvPKT3_NS0_19TensorListAddressesEi.has_recursion, 0
	.set _ZN2at6native14lpnorm_cleanupIdLNS0_8NormTypeE3EdLb1EdEEvPKT3_NS0_19TensorListAddressesEi.has_indirect_call, 0
	.section	.AMDGPU.csdata,"",@progbits
; Kernel info:
; codeLenInByte = 1008
; TotalNumSgprs: 15
; NumVgprs: 12
; ScratchSize: 0
; MemoryBound: 0
; FloatMode: 240
; IeeeMode: 1
; LDSByteSize: 4096 bytes/workgroup (compile time only)
; SGPRBlocks: 0
; VGPRBlocks: 0
; NumSGPRsForWavesPerEU: 15
; NumVGPRsForWavesPerEU: 12
; NamedBarCnt: 0
; Occupancy: 16
; WaveLimiterHint : 0
; COMPUTE_PGM_RSRC2:SCRATCH_EN: 0
; COMPUTE_PGM_RSRC2:USER_SGPR: 2
; COMPUTE_PGM_RSRC2:TRAP_HANDLER: 0
; COMPUTE_PGM_RSRC2:TGID_X_EN: 1
; COMPUTE_PGM_RSRC2:TGID_Y_EN: 0
; COMPUTE_PGM_RSRC2:TGID_Z_EN: 0
; COMPUTE_PGM_RSRC2:TIDIG_COMP_CNT: 0
	.section	.text._ZN2at6native12_GLOBAL__N_125multi_tensor_apply_kernelINS1_18TensorListMetadataILi1EEENS0_13LpNormFunctorIdLNS0_8NormTypeE0EfLi1ELi1ELi0EEEJPfiEEEvT_T0_DpT1_,"axG",@progbits,_ZN2at6native12_GLOBAL__N_125multi_tensor_apply_kernelINS1_18TensorListMetadataILi1EEENS0_13LpNormFunctorIdLNS0_8NormTypeE0EfLi1ELi1ELi0EEEJPfiEEEvT_T0_DpT1_,comdat
	.globl	_ZN2at6native12_GLOBAL__N_125multi_tensor_apply_kernelINS1_18TensorListMetadataILi1EEENS0_13LpNormFunctorIdLNS0_8NormTypeE0EfLi1ELi1ELi0EEEJPfiEEEvT_T0_DpT1_ ; -- Begin function _ZN2at6native12_GLOBAL__N_125multi_tensor_apply_kernelINS1_18TensorListMetadataILi1EEENS0_13LpNormFunctorIdLNS0_8NormTypeE0EfLi1ELi1ELi0EEEJPfiEEEvT_T0_DpT1_
	.p2align	8
	.type	_ZN2at6native12_GLOBAL__N_125multi_tensor_apply_kernelINS1_18TensorListMetadataILi1EEENS0_13LpNormFunctorIdLNS0_8NormTypeE0EfLi1ELi1ELi0EEEJPfiEEEvT_T0_DpT1_,@function
_ZN2at6native12_GLOBAL__N_125multi_tensor_apply_kernelINS1_18TensorListMetadataILi1EEENS0_13LpNormFunctorIdLNS0_8NormTypeE0EfLi1ELi1ELi0EEEJPfiEEEvT_T0_DpT1_: ; @_ZN2at6native12_GLOBAL__N_125multi_tensor_apply_kernelINS1_18TensorListMetadataILi1EEENS0_13LpNormFunctorIdLNS0_8NormTypeE0EfLi1ELi1ELi0EEEJPfiEEEvT_T0_DpT1_
; %bb.0:
	s_bfe_u32 s2, ttmp6, 0x4000c
	s_and_b32 s3, ttmp6, 15
	s_add_co_i32 s2, s2, 1
	s_getreg_b32 s4, hwreg(HW_REG_IB_STS2, 6, 4)
	s_mul_i32 s2, ttmp9, s2
	s_delay_alu instid0(SALU_CYCLE_1)
	s_add_co_i32 s3, s3, s2
	s_cmp_eq_u32 s4, 0
	s_cselect_b32 s2, ttmp9, s3
	s_mov_b32 s3, 0
	v_mov_b32_e32 v1, s2
	s_add_nc_u64 s[4:5], s[0:1], s[2:3]
	s_mul_u64 s[6:7], s[2:3], 3
	s_delay_alu instid0(SALU_CYCLE_1) | instskip(SKIP_4) | instid1(SALU_CYCLE_1)
	s_add_nc_u64 s[4:5], s[4:5], s[6:7]
	global_load_u8 v15, v1, s[0:1] offset:1760
	s_load_b32 s4, s[4:5], 0x820
	s_wait_kmcnt 0x0
	s_ashr_i32 s5, s4, 31
	s_lshl_b64 s[10:11], s[4:5], 19
	s_lshl_b64 s[12:13], s[4:5], 16
	s_wait_loadcnt 0x0
	v_readfirstlane_b32 s2, v15
	s_and_b32 s2, s2, 0xff
	s_clause 0x1
	s_load_b64 s[6:7], s[0:1], s2 offset:0x0 scale_offset
	s_load_b64 s[8:9], s[0:1], s2 offset:0x370 scale_offset
	s_wait_kmcnt 0x0
	s_add_nc_u64 s[6:7], s[6:7], s[10:11]
	s_and_b32 s2, s8, 3
	s_and_b64 s[10:11], s[6:7], 31
	s_sub_nc_u64 s[8:9], s[8:9], s[12:13]
	s_or_b64 s[10:11], s[2:3], s[10:11]
	s_delay_alu instid0(SALU_CYCLE_1)
	s_cmp_eq_u64 s[10:11], 0
	s_cbranch_scc1 .LBB28_12
; %bb.1:
	v_cmp_lt_i64_e64 s2, s[8:9], 1
	s_and_b32 vcc_lo, exec_lo, s2
	s_cbranch_vccnz .LBB28_28
; %bb.2:
	s_load_b32 s2, s[0:1], 0xd4c
	v_min_i64 v[10:11], 0x10000, s[8:9]
	s_mov_b32 s11, 0
	s_mov_b64 s[12:13], 0
	s_wait_kmcnt 0x0
	s_and_b32 s2, s2, 0xffff
	s_delay_alu instid0(SALU_CYCLE_1) | instskip(SKIP_3) | instid1(VALU_DEP_3)
	v_dual_mov_b32 v7, 0 :: v_dual_add_nc_u32 v16, s2, v0
	v_mad_u32 v12, s2, 3, v0
	v_lshl_add_u32 v14, s2, 1, v0
	s_lshl_b32 s10, s2, 2
	v_dual_mov_b32 v6, v7 :: v_dual_mov_b32 v8, v7
	v_mov_b32_e32 v9, v7
	s_delay_alu instid0(VALU_DEP_2) | instskip(NEXT) | instid1(VALU_DEP_2)
	v_mov_b64_e32 v[2:3], v[6:7]
	v_mov_b64_e32 v[4:5], v[8:9]
	s_branch .LBB28_4
.LBB28_3:                               ;   in Loop: Header=BB28_4 Depth=1
	s_or_b32 exec_lo, exec_lo, s2
	s_add_nc_u64 s[12:13], s[12:13], s[10:11]
	s_delay_alu instid0(SALU_CYCLE_1)
	v_cmp_lt_i64_e32 vcc_lo, s[12:13], v[10:11]
	s_cbranch_vccz .LBB28_13
.LBB28_4:                               ; =>This Inner Loop Header: Depth=1
	v_add_nc_u32_e32 v6, s12, v0
	s_delay_alu instid0(VALU_DEP_1) | instskip(SKIP_2) | instid1(SALU_CYCLE_1)
	v_cmp_gt_i64_e32 vcc_lo, s[8:9], v[6:7]
	v_cmp_gt_u32_e64 s2, 0x10000, v6
	s_and_b32 s5, s2, vcc_lo
	s_and_saveexec_b32 s2, s5
	s_cbranch_execz .LBB28_6
; %bb.5:                                ;   in Loop: Header=BB28_4 Depth=1
	v_lshl_add_u64 v[8:9], v[6:7], 3, s[6:7]
	global_load_b64 v[8:9], v[8:9], off
	s_wait_loadcnt 0x0
	v_cvt_f32_f64_e32 v1, v[8:9]
	s_delay_alu instid0(VALU_DEP_1) | instskip(SKIP_1) | instid1(VALU_DEP_1)
	v_cmp_neq_f32_e32 vcc_lo, 0, v1
	v_cndmask_b32_e64 v1, 0, 1.0, vcc_lo
	v_add_f32_e32 v2, v2, v1
.LBB28_6:                               ;   in Loop: Header=BB28_4 Depth=1
	s_or_b32 exec_lo, exec_lo, s2
	v_add_nc_u32_e32 v6, s12, v16
	s_delay_alu instid0(VALU_DEP_1) | instskip(SKIP_2) | instid1(SALU_CYCLE_1)
	v_cmp_gt_i64_e32 vcc_lo, s[8:9], v[6:7]
	v_cmp_gt_u32_e64 s2, 0x10000, v6
	s_and_b32 s5, s2, vcc_lo
	s_and_saveexec_b32 s2, s5
	s_cbranch_execz .LBB28_8
; %bb.7:                                ;   in Loop: Header=BB28_4 Depth=1
	v_lshl_add_u64 v[8:9], v[6:7], 3, s[6:7]
	global_load_b64 v[8:9], v[8:9], off
	s_wait_loadcnt 0x0
	v_cvt_f32_f64_e32 v1, v[8:9]
	s_delay_alu instid0(VALU_DEP_1) | instskip(SKIP_1) | instid1(VALU_DEP_1)
	v_cmp_neq_f32_e32 vcc_lo, 0, v1
	v_cndmask_b32_e64 v1, 0, 1.0, vcc_lo
	v_add_f32_e32 v3, v3, v1
.LBB28_8:                               ;   in Loop: Header=BB28_4 Depth=1
	s_or_b32 exec_lo, exec_lo, s2
	v_add_nc_u32_e32 v6, s12, v14
	s_delay_alu instid0(VALU_DEP_1) | instskip(SKIP_2) | instid1(SALU_CYCLE_1)
	v_cmp_gt_i64_e32 vcc_lo, s[8:9], v[6:7]
	v_cmp_gt_u32_e64 s2, 0x10000, v6
	s_and_b32 s5, s2, vcc_lo
	s_and_saveexec_b32 s2, s5
	s_cbranch_execz .LBB28_10
; %bb.9:                                ;   in Loop: Header=BB28_4 Depth=1
	v_lshl_add_u64 v[8:9], v[6:7], 3, s[6:7]
	global_load_b64 v[8:9], v[8:9], off
	s_wait_loadcnt 0x0
	v_cvt_f32_f64_e32 v1, v[8:9]
	s_delay_alu instid0(VALU_DEP_1) | instskip(SKIP_1) | instid1(VALU_DEP_1)
	v_cmp_neq_f32_e32 vcc_lo, 0, v1
	v_cndmask_b32_e64 v1, 0, 1.0, vcc_lo
	v_add_f32_e32 v4, v4, v1
.LBB28_10:                              ;   in Loop: Header=BB28_4 Depth=1
	s_or_b32 exec_lo, exec_lo, s2
	v_add_nc_u32_e32 v6, s12, v12
	s_delay_alu instid0(VALU_DEP_1) | instskip(SKIP_2) | instid1(SALU_CYCLE_1)
	v_cmp_gt_i64_e32 vcc_lo, s[8:9], v[6:7]
	v_cmp_gt_u32_e64 s2, 0x10000, v6
	s_and_b32 s5, s2, vcc_lo
	s_and_saveexec_b32 s2, s5
	s_cbranch_execz .LBB28_3
; %bb.11:                               ;   in Loop: Header=BB28_4 Depth=1
	v_lshl_add_u64 v[8:9], v[6:7], 3, s[6:7]
	global_load_b64 v[8:9], v[8:9], off
	s_wait_loadcnt 0x0
	v_cvt_f32_f64_e32 v1, v[8:9]
	s_delay_alu instid0(VALU_DEP_1) | instskip(SKIP_1) | instid1(VALU_DEP_1)
	v_cmp_neq_f32_e32 vcc_lo, 0, v1
	v_cndmask_b32_e64 v1, 0, 1.0, vcc_lo
	v_add_f32_e32 v5, v5, v1
	s_branch .LBB28_3
.LBB28_12:
	s_mov_b32 s3, -1
                                        ; implicit-def: $vgpr2_vgpr3_vgpr4_vgpr5
.LBB28_13:
	s_delay_alu instid0(SALU_CYCLE_1)
	s_and_not1_b32 vcc_lo, exec_lo, s3
	s_cbranch_vccnz .LBB28_19
.LBB28_14:
	v_min_i64 v[8:9], 0x10000, s[8:9]
	v_dual_mov_b32 v3, 0 :: v_dual_lshlrev_b32 v2, 2, v0
	s_mov_b32 s9, 0
	s_delay_alu instid0(VALU_DEP_1) | instskip(NEXT) | instid1(VALU_DEP_2)
	v_dual_mov_b32 v5, v3 :: v_dual_mov_b32 v4, v3
	v_cmp_lt_i64_e32 vcc_lo, v[2:3], v[8:9]
	v_mov_b32_e32 v2, v3
	s_and_saveexec_b32 s3, vcc_lo
	s_cbranch_execz .LBB28_18
; %bb.15:
	s_load_b32 s2, s[0:1], 0xd4c
	v_dual_mov_b32 v1, v3 :: v_dual_lshlrev_b32 v2, 5, v0
	v_dual_mov_b32 v5, 0 :: v_dual_mov_b32 v6, 0
	v_mov_b32_e32 v7, 0
	s_delay_alu instid0(VALU_DEP_3) | instskip(NEXT) | instid1(VALU_DEP_4)
	v_add_nc_u64_e32 v[10:11], s[6:7], v[2:3]
	v_mov_b64_e32 v[12:13], v[0:1]
	s_mov_b32 s7, s9
	s_mov_b32 s5, s9
	s_delay_alu instid0(VALU_DEP_2) | instskip(SKIP_2) | instid1(SALU_CYCLE_1)
	v_add_nc_u64_e32 v[10:11], 16, v[10:11]
	s_wait_kmcnt 0x0
	s_and_b32 s8, s2, 0xffff
	s_lshl_b32 s6, s8, 5
.LBB28_16:                              ; =>This Inner Loop Header: Depth=1
	s_clause 0x1
	global_load_b128 v[16:19], v[10:11], off offset:-16
	global_load_b128 v[20:23], v[10:11], off
	v_add_nc_u64_e32 v[12:13], s[8:9], v[12:13]
	s_wait_xcnt 0x0
	v_add_nc_u64_e32 v[10:11], s[6:7], v[10:11]
	s_wait_loadcnt 0x1
	v_cvt_f32_f64_e32 v1, v[16:17]
	v_cvt_f32_f64_e32 v2, v[18:19]
	s_wait_loadcnt 0x0
	v_cvt_f32_f64_e32 v4, v[20:21]
	v_cvt_f32_f64_e32 v14, v[22:23]
	v_lshlrev_b64_e32 v[16:17], 2, v[12:13]
	s_delay_alu instid0(VALU_DEP_1) | instskip(SKIP_2) | instid1(VALU_DEP_1)
	v_cmp_ge_i64_e32 vcc_lo, v[16:17], v[8:9]
	s_or_b32 s5, vcc_lo, s5
	v_cmp_neq_f32_e64 s2, 0, v1
	v_cndmask_b32_e64 v1, 0, 1.0, s2
	v_cmp_neq_f32_e64 s2, 0, v2
	s_delay_alu instid0(VALU_DEP_1) | instskip(SKIP_1) | instid1(VALU_DEP_2)
	v_cndmask_b32_e64 v2, 0, 1.0, s2
	v_cmp_neq_f32_e64 s2, 0, v4
	v_dual_add_f32 v3, v3, v1 :: v_dual_add_f32 v5, v5, v2
	s_delay_alu instid0(VALU_DEP_2) | instskip(SKIP_1) | instid1(VALU_DEP_1)
	v_cndmask_b32_e64 v4, 0, 1.0, s2
	v_cmp_neq_f32_e64 s2, 0, v14
	v_cndmask_b32_e64 v14, 0, 1.0, s2
	s_delay_alu instid0(VALU_DEP_1)
	v_dual_add_f32 v6, v6, v4 :: v_dual_add_f32 v7, v7, v14
	s_and_not1_b32 exec_lo, exec_lo, s5
	s_cbranch_execnz .LBB28_16
; %bb.17:
	s_or_b32 exec_lo, exec_lo, s5
	v_mov_b32_e32 v4, v3
	s_delay_alu instid0(VALU_DEP_1)
	v_mov_b64_e32 v[2:3], v[4:5]
	v_mov_b64_e32 v[4:5], v[6:7]
.LBB28_18:
	s_or_b32 exec_lo, exec_lo, s3
.LBB28_19:
	s_delay_alu instid0(VALU_DEP_1) | instskip(SKIP_3) | instid1(VALU_DEP_2)
	v_add_f32_e32 v1, 0, v2
	v_mbcnt_lo_u32_b32 v6, -1, 0
	s_mov_b32 s2, exec_lo
	s_barrier_signal -1
	v_add_f32_e32 v1, v3, v1
	s_delay_alu instid0(VALU_DEP_2) | instskip(SKIP_1) | instid1(VALU_DEP_2)
	v_cmp_gt_u32_e32 vcc_lo, 24, v6
	s_barrier_wait -1
	v_add_f32_e32 v2, v4, v1
	v_lshl_or_b32 v1, v6, 2, 64
	s_delay_alu instid0(VALU_DEP_2)
	v_add_f32_e32 v3, v5, v2
	v_cndmask_b32_e64 v2, 0, 8, vcc_lo
	v_cmp_gt_u32_e32 vcc_lo, 28, v6
	ds_bpermute_b32 v4, v1, v3
	v_add_lshl_u32 v2, v2, v6, 2
	s_wait_dscnt 0x0
	v_add_f32_e32 v4, v3, v4
	v_cndmask_b32_e64 v3, 0, 4, vcc_lo
	v_cmp_gt_u32_e32 vcc_lo, 30, v6
	ds_bpermute_b32 v5, v2, v4
	v_add_lshl_u32 v3, v3, v6, 2
	s_wait_dscnt 0x0
	v_add_f32_e32 v5, v4, v5
	v_cndmask_b32_e64 v4, 0, 2, vcc_lo
	v_cmp_ne_u32_e32 vcc_lo, 31, v6
	ds_bpermute_b32 v7, v3, v5
	v_add_lshl_u32 v4, v4, v6, 2
	v_add_co_ci_u32_e64 v8, null, 0, v6, vcc_lo
	s_wait_dscnt 0x0
	v_add_f32_e32 v5, v5, v7
	ds_bpermute_b32 v7, v4, v5
	s_wait_dscnt 0x0
	v_dual_add_f32 v6, v5, v7 :: v_dual_lshlrev_b32 v5, 2, v8
	v_and_b32_e32 v7, 31, v0
	ds_bpermute_b32 v8, v5, v6
	v_cmpx_eq_u32_e32 0, v7
	s_cbranch_execz .LBB28_21
; %bb.20:
	v_lshrrev_b32_e32 v9, 3, v0
	s_wait_dscnt 0x0
	v_add_f32_e32 v6, v6, v8
	ds_store_b32 v9, v6
.LBB28_21:
	s_or_b32 exec_lo, exec_lo, s2
	s_wait_dscnt 0x0
	s_barrier_signal -1
	s_barrier_wait -1
	s_load_b32 s2, s[0:1], 0xd4c
	v_mov_b32_e32 v6, 0
	s_wait_kmcnt 0x0
	s_bfe_u32 s2, s2, 0xb0005
	s_delay_alu instid0(SALU_CYCLE_1)
	v_cmp_gt_u32_e32 vcc_lo, s2, v0
	s_and_saveexec_b32 s2, vcc_lo
; %bb.22:
	v_lshlrev_b32_e32 v6, 2, v7
	ds_load_b32 v6, v6
; %bb.23:
	s_or_b32 exec_lo, exec_lo, s2
	s_delay_alu instid0(SALU_CYCLE_1)
	s_mov_b32 s2, exec_lo
	v_cmpx_gt_u32_e32 32, v0
	s_cbranch_execz .LBB28_25
; %bb.24:
	s_wait_dscnt 0x0
	ds_bpermute_b32 v1, v1, v6
	s_wait_dscnt 0x0
	v_add_f32_e32 v1, v6, v1
	ds_bpermute_b32 v2, v2, v1
	s_wait_dscnt 0x0
	v_add_f32_e32 v1, v1, v2
	;; [unrolled: 3-line block ×5, first 2 shown]
.LBB28_25:
	s_or_b32 exec_lo, exec_lo, s2
	s_delay_alu instid0(SALU_CYCLE_1)
	s_mov_b32 s2, exec_lo
	v_cmpx_eq_u32_e32 0, v0
	s_cbranch_execz .LBB28_27
; %bb.26:
	s_clause 0x1
	s_load_b32 s2, s[0:1], 0xd20
	s_load_b96 s[8:10], s[0:1], 0xd30
	v_and_b32_e32 v0, 0xff, v15
	s_wait_kmcnt 0x0
	s_delay_alu instid0(VALU_DEP_1) | instskip(NEXT) | instid1(VALU_DEP_1)
	v_add_nc_u32_e32 v0, s2, v0
	v_mul_lo_u32 v0, v0, s10
	s_delay_alu instid0(VALU_DEP_1)
	v_add_nc_u32_e32 v0, s4, v0
	s_wait_dscnt 0x0
	global_store_b32 v0, v6, s[8:9] scale_offset
.LBB28_27:
	s_endpgm
.LBB28_28:
	v_mov_b32_e32 v2, 0
	s_delay_alu instid0(VALU_DEP_1)
	v_dual_mov_b32 v3, v2 :: v_dual_mov_b32 v4, v2
	v_mov_b32_e32 v5, v2
	s_and_not1_b32 vcc_lo, exec_lo, s3
	s_cbranch_vccz .LBB28_14
	s_branch .LBB28_19
	.section	.rodata,"a",@progbits
	.p2align	6, 0x0
	.amdhsa_kernel _ZN2at6native12_GLOBAL__N_125multi_tensor_apply_kernelINS1_18TensorListMetadataILi1EEENS0_13LpNormFunctorIdLNS0_8NormTypeE0EfLi1ELi1ELi0EEEJPfiEEEvT_T0_DpT1_
		.amdhsa_group_segment_fixed_size 2048
		.amdhsa_private_segment_fixed_size 0
		.amdhsa_kernarg_size 3648
		.amdhsa_user_sgpr_count 2
		.amdhsa_user_sgpr_dispatch_ptr 0
		.amdhsa_user_sgpr_queue_ptr 0
		.amdhsa_user_sgpr_kernarg_segment_ptr 1
		.amdhsa_user_sgpr_dispatch_id 0
		.amdhsa_user_sgpr_kernarg_preload_length 0
		.amdhsa_user_sgpr_kernarg_preload_offset 0
		.amdhsa_user_sgpr_private_segment_size 0
		.amdhsa_wavefront_size32 1
		.amdhsa_uses_dynamic_stack 0
		.amdhsa_enable_private_segment 0
		.amdhsa_system_sgpr_workgroup_id_x 1
		.amdhsa_system_sgpr_workgroup_id_y 0
		.amdhsa_system_sgpr_workgroup_id_z 0
		.amdhsa_system_sgpr_workgroup_info 0
		.amdhsa_system_vgpr_workitem_id 0
		.amdhsa_next_free_vgpr 24
		.amdhsa_next_free_sgpr 14
		.amdhsa_named_barrier_count 0
		.amdhsa_reserve_vcc 1
		.amdhsa_float_round_mode_32 0
		.amdhsa_float_round_mode_16_64 0
		.amdhsa_float_denorm_mode_32 3
		.amdhsa_float_denorm_mode_16_64 3
		.amdhsa_fp16_overflow 0
		.amdhsa_memory_ordered 1
		.amdhsa_forward_progress 1
		.amdhsa_inst_pref_size 13
		.amdhsa_round_robin_scheduling 0
		.amdhsa_exception_fp_ieee_invalid_op 0
		.amdhsa_exception_fp_denorm_src 0
		.amdhsa_exception_fp_ieee_div_zero 0
		.amdhsa_exception_fp_ieee_overflow 0
		.amdhsa_exception_fp_ieee_underflow 0
		.amdhsa_exception_fp_ieee_inexact 0
		.amdhsa_exception_int_div_zero 0
	.end_amdhsa_kernel
	.section	.text._ZN2at6native12_GLOBAL__N_125multi_tensor_apply_kernelINS1_18TensorListMetadataILi1EEENS0_13LpNormFunctorIdLNS0_8NormTypeE0EfLi1ELi1ELi0EEEJPfiEEEvT_T0_DpT1_,"axG",@progbits,_ZN2at6native12_GLOBAL__N_125multi_tensor_apply_kernelINS1_18TensorListMetadataILi1EEENS0_13LpNormFunctorIdLNS0_8NormTypeE0EfLi1ELi1ELi0EEEJPfiEEEvT_T0_DpT1_,comdat
.Lfunc_end28:
	.size	_ZN2at6native12_GLOBAL__N_125multi_tensor_apply_kernelINS1_18TensorListMetadataILi1EEENS0_13LpNormFunctorIdLNS0_8NormTypeE0EfLi1ELi1ELi0EEEJPfiEEEvT_T0_DpT1_, .Lfunc_end28-_ZN2at6native12_GLOBAL__N_125multi_tensor_apply_kernelINS1_18TensorListMetadataILi1EEENS0_13LpNormFunctorIdLNS0_8NormTypeE0EfLi1ELi1ELi0EEEJPfiEEEvT_T0_DpT1_
                                        ; -- End function
	.set _ZN2at6native12_GLOBAL__N_125multi_tensor_apply_kernelINS1_18TensorListMetadataILi1EEENS0_13LpNormFunctorIdLNS0_8NormTypeE0EfLi1ELi1ELi0EEEJPfiEEEvT_T0_DpT1_.num_vgpr, 24
	.set _ZN2at6native12_GLOBAL__N_125multi_tensor_apply_kernelINS1_18TensorListMetadataILi1EEENS0_13LpNormFunctorIdLNS0_8NormTypeE0EfLi1ELi1ELi0EEEJPfiEEEvT_T0_DpT1_.num_agpr, 0
	.set _ZN2at6native12_GLOBAL__N_125multi_tensor_apply_kernelINS1_18TensorListMetadataILi1EEENS0_13LpNormFunctorIdLNS0_8NormTypeE0EfLi1ELi1ELi0EEEJPfiEEEvT_T0_DpT1_.numbered_sgpr, 14
	.set _ZN2at6native12_GLOBAL__N_125multi_tensor_apply_kernelINS1_18TensorListMetadataILi1EEENS0_13LpNormFunctorIdLNS0_8NormTypeE0EfLi1ELi1ELi0EEEJPfiEEEvT_T0_DpT1_.num_named_barrier, 0
	.set _ZN2at6native12_GLOBAL__N_125multi_tensor_apply_kernelINS1_18TensorListMetadataILi1EEENS0_13LpNormFunctorIdLNS0_8NormTypeE0EfLi1ELi1ELi0EEEJPfiEEEvT_T0_DpT1_.private_seg_size, 0
	.set _ZN2at6native12_GLOBAL__N_125multi_tensor_apply_kernelINS1_18TensorListMetadataILi1EEENS0_13LpNormFunctorIdLNS0_8NormTypeE0EfLi1ELi1ELi0EEEJPfiEEEvT_T0_DpT1_.uses_vcc, 1
	.set _ZN2at6native12_GLOBAL__N_125multi_tensor_apply_kernelINS1_18TensorListMetadataILi1EEENS0_13LpNormFunctorIdLNS0_8NormTypeE0EfLi1ELi1ELi0EEEJPfiEEEvT_T0_DpT1_.uses_flat_scratch, 0
	.set _ZN2at6native12_GLOBAL__N_125multi_tensor_apply_kernelINS1_18TensorListMetadataILi1EEENS0_13LpNormFunctorIdLNS0_8NormTypeE0EfLi1ELi1ELi0EEEJPfiEEEvT_T0_DpT1_.has_dyn_sized_stack, 0
	.set _ZN2at6native12_GLOBAL__N_125multi_tensor_apply_kernelINS1_18TensorListMetadataILi1EEENS0_13LpNormFunctorIdLNS0_8NormTypeE0EfLi1ELi1ELi0EEEJPfiEEEvT_T0_DpT1_.has_recursion, 0
	.set _ZN2at6native12_GLOBAL__N_125multi_tensor_apply_kernelINS1_18TensorListMetadataILi1EEENS0_13LpNormFunctorIdLNS0_8NormTypeE0EfLi1ELi1ELi0EEEJPfiEEEvT_T0_DpT1_.has_indirect_call, 0
	.section	.AMDGPU.csdata,"",@progbits
; Kernel info:
; codeLenInByte = 1544
; TotalNumSgprs: 16
; NumVgprs: 24
; ScratchSize: 0
; MemoryBound: 0
; FloatMode: 240
; IeeeMode: 1
; LDSByteSize: 2048 bytes/workgroup (compile time only)
; SGPRBlocks: 0
; VGPRBlocks: 1
; NumSGPRsForWavesPerEU: 16
; NumVGPRsForWavesPerEU: 24
; NamedBarCnt: 0
; Occupancy: 16
; WaveLimiterHint : 0
; COMPUTE_PGM_RSRC2:SCRATCH_EN: 0
; COMPUTE_PGM_RSRC2:USER_SGPR: 2
; COMPUTE_PGM_RSRC2:TRAP_HANDLER: 0
; COMPUTE_PGM_RSRC2:TGID_X_EN: 1
; COMPUTE_PGM_RSRC2:TGID_Y_EN: 0
; COMPUTE_PGM_RSRC2:TGID_Z_EN: 0
; COMPUTE_PGM_RSRC2:TIDIG_COMP_CNT: 0
	.section	.text._ZN2at6native12_GLOBAL__N_125multi_tensor_apply_kernelINS1_18TensorListMetadataILi1EEENS0_13LpNormFunctorIdLNS0_8NormTypeE1EfLi1ELi1ELi0EEEJPfiEEEvT_T0_DpT1_,"axG",@progbits,_ZN2at6native12_GLOBAL__N_125multi_tensor_apply_kernelINS1_18TensorListMetadataILi1EEENS0_13LpNormFunctorIdLNS0_8NormTypeE1EfLi1ELi1ELi0EEEJPfiEEEvT_T0_DpT1_,comdat
	.globl	_ZN2at6native12_GLOBAL__N_125multi_tensor_apply_kernelINS1_18TensorListMetadataILi1EEENS0_13LpNormFunctorIdLNS0_8NormTypeE1EfLi1ELi1ELi0EEEJPfiEEEvT_T0_DpT1_ ; -- Begin function _ZN2at6native12_GLOBAL__N_125multi_tensor_apply_kernelINS1_18TensorListMetadataILi1EEENS0_13LpNormFunctorIdLNS0_8NormTypeE1EfLi1ELi1ELi0EEEJPfiEEEvT_T0_DpT1_
	.p2align	8
	.type	_ZN2at6native12_GLOBAL__N_125multi_tensor_apply_kernelINS1_18TensorListMetadataILi1EEENS0_13LpNormFunctorIdLNS0_8NormTypeE1EfLi1ELi1ELi0EEEJPfiEEEvT_T0_DpT1_,@function
_ZN2at6native12_GLOBAL__N_125multi_tensor_apply_kernelINS1_18TensorListMetadataILi1EEENS0_13LpNormFunctorIdLNS0_8NormTypeE1EfLi1ELi1ELi0EEEJPfiEEEvT_T0_DpT1_: ; @_ZN2at6native12_GLOBAL__N_125multi_tensor_apply_kernelINS1_18TensorListMetadataILi1EEENS0_13LpNormFunctorIdLNS0_8NormTypeE1EfLi1ELi1ELi0EEEJPfiEEEvT_T0_DpT1_
; %bb.0:
	s_bfe_u32 s2, ttmp6, 0x4000c
	s_and_b32 s3, ttmp6, 15
	s_add_co_i32 s2, s2, 1
	s_getreg_b32 s4, hwreg(HW_REG_IB_STS2, 6, 4)
	s_mul_i32 s2, ttmp9, s2
	s_delay_alu instid0(SALU_CYCLE_1)
	s_add_co_i32 s3, s3, s2
	s_cmp_eq_u32 s4, 0
	s_cselect_b32 s2, ttmp9, s3
	s_mov_b32 s3, 0
	v_mov_b32_e32 v1, s2
	s_add_nc_u64 s[4:5], s[0:1], s[2:3]
	s_mul_u64 s[6:7], s[2:3], 3
	s_delay_alu instid0(SALU_CYCLE_1) | instskip(SKIP_4) | instid1(SALU_CYCLE_1)
	s_add_nc_u64 s[4:5], s[4:5], s[6:7]
	global_load_u8 v13, v1, s[0:1] offset:1760
	s_load_b32 s4, s[4:5], 0x820
	s_wait_kmcnt 0x0
	s_ashr_i32 s5, s4, 31
	s_lshl_b64 s[10:11], s[4:5], 19
	s_lshl_b64 s[12:13], s[4:5], 16
	s_wait_loadcnt 0x0
	v_readfirstlane_b32 s2, v13
	s_and_b32 s2, s2, 0xff
	s_clause 0x1
	s_load_b64 s[6:7], s[0:1], s2 offset:0x0 scale_offset
	s_load_b64 s[8:9], s[0:1], s2 offset:0x370 scale_offset
	s_wait_kmcnt 0x0
	s_add_nc_u64 s[6:7], s[6:7], s[10:11]
	s_and_b32 s2, s8, 3
	s_and_b64 s[10:11], s[6:7], 31
	s_sub_nc_u64 s[8:9], s[8:9], s[12:13]
	s_or_b64 s[10:11], s[2:3], s[10:11]
	s_delay_alu instid0(SALU_CYCLE_1)
	s_cmp_eq_u64 s[10:11], 0
	s_cbranch_scc1 .LBB29_12
; %bb.1:
	v_cmp_lt_i64_e64 s2, s[8:9], 1
	s_and_b32 vcc_lo, exec_lo, s2
	s_cbranch_vccnz .LBB29_28
; %bb.2:
	s_load_b32 s2, s[0:1], 0xd4c
	v_min_i64 v[10:11], 0x10000, s[8:9]
	s_mov_b32 s11, 0
	s_mov_b64 s[12:13], 0
	s_wait_kmcnt 0x0
	s_and_b32 s2, s2, 0xffff
	s_delay_alu instid0(SALU_CYCLE_1) | instskip(SKIP_3) | instid1(VALU_DEP_3)
	v_dual_mov_b32 v7, 0 :: v_dual_add_nc_u32 v16, s2, v0
	v_mad_u32 v12, s2, 3, v0
	v_lshl_add_u32 v14, s2, 1, v0
	s_lshl_b32 s10, s2, 2
	v_dual_mov_b32 v6, v7 :: v_dual_mov_b32 v8, v7
	v_mov_b32_e32 v9, v7
	s_delay_alu instid0(VALU_DEP_2) | instskip(NEXT) | instid1(VALU_DEP_2)
	v_mov_b64_e32 v[2:3], v[6:7]
	v_mov_b64_e32 v[4:5], v[8:9]
	s_branch .LBB29_4
.LBB29_3:                               ;   in Loop: Header=BB29_4 Depth=1
	s_or_b32 exec_lo, exec_lo, s2
	s_add_nc_u64 s[12:13], s[12:13], s[10:11]
	s_delay_alu instid0(SALU_CYCLE_1)
	v_cmp_lt_i64_e32 vcc_lo, s[12:13], v[10:11]
	s_cbranch_vccz .LBB29_13
.LBB29_4:                               ; =>This Inner Loop Header: Depth=1
	v_add_nc_u32_e32 v6, s12, v0
	s_delay_alu instid0(VALU_DEP_1) | instskip(SKIP_2) | instid1(SALU_CYCLE_1)
	v_cmp_gt_i64_e32 vcc_lo, s[8:9], v[6:7]
	v_cmp_gt_u32_e64 s2, 0x10000, v6
	s_and_b32 s5, s2, vcc_lo
	s_and_saveexec_b32 s2, s5
	s_cbranch_execz .LBB29_6
; %bb.5:                                ;   in Loop: Header=BB29_4 Depth=1
	v_lshl_add_u64 v[8:9], v[6:7], 3, s[6:7]
	global_load_b64 v[8:9], v[8:9], off
	s_wait_loadcnt 0x0
	v_cvt_f32_f64_e32 v1, v[8:9]
	s_delay_alu instid0(VALU_DEP_1)
	v_add_f32_e64 v2, v2, |v1|
.LBB29_6:                               ;   in Loop: Header=BB29_4 Depth=1
	s_or_b32 exec_lo, exec_lo, s2
	v_add_nc_u32_e32 v6, s12, v16
	s_delay_alu instid0(VALU_DEP_1) | instskip(SKIP_2) | instid1(SALU_CYCLE_1)
	v_cmp_gt_i64_e32 vcc_lo, s[8:9], v[6:7]
	v_cmp_gt_u32_e64 s2, 0x10000, v6
	s_and_b32 s5, s2, vcc_lo
	s_and_saveexec_b32 s2, s5
	s_cbranch_execz .LBB29_8
; %bb.7:                                ;   in Loop: Header=BB29_4 Depth=1
	v_lshl_add_u64 v[8:9], v[6:7], 3, s[6:7]
	global_load_b64 v[8:9], v[8:9], off
	s_wait_loadcnt 0x0
	v_cvt_f32_f64_e32 v1, v[8:9]
	s_delay_alu instid0(VALU_DEP_1)
	v_add_f32_e64 v3, v3, |v1|
.LBB29_8:                               ;   in Loop: Header=BB29_4 Depth=1
	s_or_b32 exec_lo, exec_lo, s2
	v_add_nc_u32_e32 v6, s12, v14
	s_delay_alu instid0(VALU_DEP_1) | instskip(SKIP_2) | instid1(SALU_CYCLE_1)
	v_cmp_gt_i64_e32 vcc_lo, s[8:9], v[6:7]
	v_cmp_gt_u32_e64 s2, 0x10000, v6
	s_and_b32 s5, s2, vcc_lo
	s_and_saveexec_b32 s2, s5
	s_cbranch_execz .LBB29_10
; %bb.9:                                ;   in Loop: Header=BB29_4 Depth=1
	v_lshl_add_u64 v[8:9], v[6:7], 3, s[6:7]
	global_load_b64 v[8:9], v[8:9], off
	s_wait_loadcnt 0x0
	v_cvt_f32_f64_e32 v1, v[8:9]
	s_delay_alu instid0(VALU_DEP_1)
	v_add_f32_e64 v4, v4, |v1|
.LBB29_10:                              ;   in Loop: Header=BB29_4 Depth=1
	s_or_b32 exec_lo, exec_lo, s2
	v_add_nc_u32_e32 v6, s12, v12
	s_delay_alu instid0(VALU_DEP_1) | instskip(SKIP_2) | instid1(SALU_CYCLE_1)
	v_cmp_gt_i64_e32 vcc_lo, s[8:9], v[6:7]
	v_cmp_gt_u32_e64 s2, 0x10000, v6
	s_and_b32 s5, s2, vcc_lo
	s_and_saveexec_b32 s2, s5
	s_cbranch_execz .LBB29_3
; %bb.11:                               ;   in Loop: Header=BB29_4 Depth=1
	v_lshl_add_u64 v[8:9], v[6:7], 3, s[6:7]
	global_load_b64 v[8:9], v[8:9], off
	s_wait_loadcnt 0x0
	v_cvt_f32_f64_e32 v1, v[8:9]
	s_delay_alu instid0(VALU_DEP_1)
	v_add_f32_e64 v5, v5, |v1|
	s_branch .LBB29_3
.LBB29_12:
	s_mov_b32 s3, -1
                                        ; implicit-def: $vgpr2_vgpr3_vgpr4_vgpr5
.LBB29_13:
	s_delay_alu instid0(SALU_CYCLE_1)
	s_and_not1_b32 vcc_lo, exec_lo, s3
	s_cbranch_vccnz .LBB29_19
.LBB29_14:
	v_min_i64 v[6:7], 0x10000, s[8:9]
	v_dual_mov_b32 v2, 0 :: v_dual_lshlrev_b32 v4, 2, v0
	s_mov_b32 s3, 0
	s_delay_alu instid0(VALU_DEP_1) | instskip(NEXT) | instid1(VALU_DEP_1)
	v_dual_mov_b32 v5, v2 :: v_dual_mov_b32 v3, v2
	v_cmp_lt_i64_e32 vcc_lo, v[4:5], v[6:7]
	v_mov_b32_e32 v4, v2
	s_and_saveexec_b32 s5, vcc_lo
	s_cbranch_execz .LBB29_18
; %bb.15:
	s_load_b32 s2, s[0:1], 0xd4c
	v_dual_mov_b32 v5, v2 :: v_dual_lshlrev_b32 v4, 5, v0
	v_dual_mov_b32 v1, v2 :: v_dual_mov_b32 v3, v2
	s_mov_b32 s8, s3
	s_delay_alu instid0(VALU_DEP_2) | instskip(NEXT) | instid1(VALU_DEP_2)
	v_add_nc_u64_e32 v[8:9], s[6:7], v[4:5]
	v_mov_b64_e32 v[10:11], v[0:1]
	v_mov_b32_e32 v4, v2
	s_mov_b32 s7, s3
	s_delay_alu instid0(VALU_DEP_3) | instskip(SKIP_2) | instid1(SALU_CYCLE_1)
	v_add_nc_u64_e32 v[8:9], 16, v[8:9]
	s_wait_kmcnt 0x0
	s_and_b32 s2, s2, 0xffff
	s_lshl_b32 s6, s2, 5
.LBB29_16:                              ; =>This Inner Loop Header: Depth=1
	s_clause 0x1
	global_load_b128 v[14:17], v[8:9], off offset:-16
	global_load_b128 v[18:21], v[8:9], off
	v_add_nc_u64_e32 v[10:11], s[2:3], v[10:11]
	s_wait_xcnt 0x0
	v_add_nc_u64_e32 v[8:9], s[6:7], v[8:9]
	s_wait_loadcnt 0x1
	v_cvt_f32_f64_e32 v1, v[16:17]
	s_wait_loadcnt 0x0
	v_cvt_f32_f64_e32 v12, v[20:21]
	v_cvt_f32_f64_e32 v16, v[18:19]
	;; [unrolled: 1-line block ×3, first 2 shown]
	v_lshlrev_b64_e32 v[14:15], 2, v[10:11]
	s_delay_alu instid0(VALU_DEP_1)
	v_cmp_ge_i64_e32 vcc_lo, v[14:15], v[6:7]
	s_or_b32 s8, vcc_lo, s8
	v_and_b32_e32 v15, 0x7fffffff, v1
	v_and_b32_e32 v17, 0x7fffffff, v12
	;; [unrolled: 1-line block ×4, first 2 shown]
	s_delay_alu instid0(VALU_DEP_2) | instskip(NEXT) | instid1(VALU_DEP_2)
	v_pk_add_f32 v[4:5], v[4:5], v[16:17]
	v_pk_add_f32 v[2:3], v[2:3], v[14:15]
	s_and_not1_b32 exec_lo, exec_lo, s8
	s_cbranch_execnz .LBB29_16
; %bb.17:
	s_or_b32 exec_lo, exec_lo, s8
.LBB29_18:
	s_delay_alu instid0(SALU_CYCLE_1)
	s_or_b32 exec_lo, exec_lo, s5
.LBB29_19:
	v_add_f32_e32 v1, 0, v2
	v_mbcnt_lo_u32_b32 v6, -1, 0
	s_mov_b32 s2, exec_lo
	s_barrier_signal -1
	s_delay_alu instid0(VALU_DEP_2) | instskip(NEXT) | instid1(VALU_DEP_2)
	v_add_f32_e32 v1, v3, v1
	v_cmp_gt_u32_e32 vcc_lo, 24, v6
	s_barrier_wait -1
	s_delay_alu instid0(VALU_DEP_2) | instskip(SKIP_1) | instid1(VALU_DEP_2)
	v_add_f32_e32 v2, v4, v1
	v_lshl_or_b32 v1, v6, 2, 64
	v_add_f32_e32 v3, v5, v2
	v_cndmask_b32_e64 v2, 0, 8, vcc_lo
	v_cmp_gt_u32_e32 vcc_lo, 28, v6
	ds_bpermute_b32 v4, v1, v3
	v_add_lshl_u32 v2, v2, v6, 2
	s_wait_dscnt 0x0
	v_add_f32_e32 v4, v3, v4
	v_cndmask_b32_e64 v3, 0, 4, vcc_lo
	v_cmp_gt_u32_e32 vcc_lo, 30, v6
	ds_bpermute_b32 v5, v2, v4
	v_add_lshl_u32 v3, v3, v6, 2
	s_wait_dscnt 0x0
	v_add_f32_e32 v5, v4, v5
	v_cndmask_b32_e64 v4, 0, 2, vcc_lo
	v_cmp_ne_u32_e32 vcc_lo, 31, v6
	ds_bpermute_b32 v7, v3, v5
	v_add_lshl_u32 v4, v4, v6, 2
	v_add_co_ci_u32_e64 v8, null, 0, v6, vcc_lo
	s_wait_dscnt 0x0
	v_add_f32_e32 v5, v5, v7
	ds_bpermute_b32 v7, v4, v5
	s_wait_dscnt 0x0
	v_dual_add_f32 v6, v5, v7 :: v_dual_lshlrev_b32 v5, 2, v8
	v_and_b32_e32 v7, 31, v0
	ds_bpermute_b32 v8, v5, v6
	v_cmpx_eq_u32_e32 0, v7
	s_cbranch_execz .LBB29_21
; %bb.20:
	v_lshrrev_b32_e32 v9, 3, v0
	s_wait_dscnt 0x0
	v_add_f32_e32 v6, v6, v8
	ds_store_b32 v9, v6
.LBB29_21:
	s_or_b32 exec_lo, exec_lo, s2
	s_wait_dscnt 0x0
	s_barrier_signal -1
	s_barrier_wait -1
	s_load_b32 s2, s[0:1], 0xd4c
	v_mov_b32_e32 v6, 0
	s_wait_kmcnt 0x0
	s_bfe_u32 s2, s2, 0xb0005
	s_delay_alu instid0(SALU_CYCLE_1)
	v_cmp_gt_u32_e32 vcc_lo, s2, v0
	s_and_saveexec_b32 s2, vcc_lo
; %bb.22:
	v_lshlrev_b32_e32 v6, 2, v7
	ds_load_b32 v6, v6
; %bb.23:
	s_or_b32 exec_lo, exec_lo, s2
	s_delay_alu instid0(SALU_CYCLE_1)
	s_mov_b32 s2, exec_lo
	v_cmpx_gt_u32_e32 32, v0
	s_cbranch_execz .LBB29_25
; %bb.24:
	s_wait_dscnt 0x0
	ds_bpermute_b32 v1, v1, v6
	s_wait_dscnt 0x0
	v_add_f32_e32 v1, v6, v1
	ds_bpermute_b32 v2, v2, v1
	s_wait_dscnt 0x0
	v_add_f32_e32 v1, v1, v2
	;; [unrolled: 3-line block ×5, first 2 shown]
.LBB29_25:
	s_or_b32 exec_lo, exec_lo, s2
	s_delay_alu instid0(SALU_CYCLE_1)
	s_mov_b32 s2, exec_lo
	v_cmpx_eq_u32_e32 0, v0
	s_cbranch_execz .LBB29_27
; %bb.26:
	s_clause 0x1
	s_load_b32 s2, s[0:1], 0xd20
	s_load_b96 s[8:10], s[0:1], 0xd30
	v_and_b32_e32 v0, 0xff, v13
	s_wait_kmcnt 0x0
	s_delay_alu instid0(VALU_DEP_1) | instskip(NEXT) | instid1(VALU_DEP_1)
	v_add_nc_u32_e32 v0, s2, v0
	v_mul_lo_u32 v0, v0, s10
	s_delay_alu instid0(VALU_DEP_1)
	v_add_nc_u32_e32 v0, s4, v0
	s_wait_dscnt 0x0
	global_store_b32 v0, v6, s[8:9] scale_offset
.LBB29_27:
	s_endpgm
.LBB29_28:
	v_mov_b32_e32 v2, 0
	s_delay_alu instid0(VALU_DEP_1)
	v_dual_mov_b32 v3, v2 :: v_dual_mov_b32 v4, v2
	v_mov_b32_e32 v5, v2
	s_and_not1_b32 vcc_lo, exec_lo, s3
	s_cbranch_vccz .LBB29_14
	s_branch .LBB29_19
	.section	.rodata,"a",@progbits
	.p2align	6, 0x0
	.amdhsa_kernel _ZN2at6native12_GLOBAL__N_125multi_tensor_apply_kernelINS1_18TensorListMetadataILi1EEENS0_13LpNormFunctorIdLNS0_8NormTypeE1EfLi1ELi1ELi0EEEJPfiEEEvT_T0_DpT1_
		.amdhsa_group_segment_fixed_size 2048
		.amdhsa_private_segment_fixed_size 0
		.amdhsa_kernarg_size 3648
		.amdhsa_user_sgpr_count 2
		.amdhsa_user_sgpr_dispatch_ptr 0
		.amdhsa_user_sgpr_queue_ptr 0
		.amdhsa_user_sgpr_kernarg_segment_ptr 1
		.amdhsa_user_sgpr_dispatch_id 0
		.amdhsa_user_sgpr_kernarg_preload_length 0
		.amdhsa_user_sgpr_kernarg_preload_offset 0
		.amdhsa_user_sgpr_private_segment_size 0
		.amdhsa_wavefront_size32 1
		.amdhsa_uses_dynamic_stack 0
		.amdhsa_enable_private_segment 0
		.amdhsa_system_sgpr_workgroup_id_x 1
		.amdhsa_system_sgpr_workgroup_id_y 0
		.amdhsa_system_sgpr_workgroup_id_z 0
		.amdhsa_system_sgpr_workgroup_info 0
		.amdhsa_system_vgpr_workitem_id 0
		.amdhsa_next_free_vgpr 22
		.amdhsa_next_free_sgpr 14
		.amdhsa_named_barrier_count 0
		.amdhsa_reserve_vcc 1
		.amdhsa_float_round_mode_32 0
		.amdhsa_float_round_mode_16_64 0
		.amdhsa_float_denorm_mode_32 3
		.amdhsa_float_denorm_mode_16_64 3
		.amdhsa_fp16_overflow 0
		.amdhsa_memory_ordered 1
		.amdhsa_forward_progress 1
		.amdhsa_inst_pref_size 12
		.amdhsa_round_robin_scheduling 0
		.amdhsa_exception_fp_ieee_invalid_op 0
		.amdhsa_exception_fp_denorm_src 0
		.amdhsa_exception_fp_ieee_div_zero 0
		.amdhsa_exception_fp_ieee_overflow 0
		.amdhsa_exception_fp_ieee_underflow 0
		.amdhsa_exception_fp_ieee_inexact 0
		.amdhsa_exception_int_div_zero 0
	.end_amdhsa_kernel
	.section	.text._ZN2at6native12_GLOBAL__N_125multi_tensor_apply_kernelINS1_18TensorListMetadataILi1EEENS0_13LpNormFunctorIdLNS0_8NormTypeE1EfLi1ELi1ELi0EEEJPfiEEEvT_T0_DpT1_,"axG",@progbits,_ZN2at6native12_GLOBAL__N_125multi_tensor_apply_kernelINS1_18TensorListMetadataILi1EEENS0_13LpNormFunctorIdLNS0_8NormTypeE1EfLi1ELi1ELi0EEEJPfiEEEvT_T0_DpT1_,comdat
.Lfunc_end29:
	.size	_ZN2at6native12_GLOBAL__N_125multi_tensor_apply_kernelINS1_18TensorListMetadataILi1EEENS0_13LpNormFunctorIdLNS0_8NormTypeE1EfLi1ELi1ELi0EEEJPfiEEEvT_T0_DpT1_, .Lfunc_end29-_ZN2at6native12_GLOBAL__N_125multi_tensor_apply_kernelINS1_18TensorListMetadataILi1EEENS0_13LpNormFunctorIdLNS0_8NormTypeE1EfLi1ELi1ELi0EEEJPfiEEEvT_T0_DpT1_
                                        ; -- End function
	.set _ZN2at6native12_GLOBAL__N_125multi_tensor_apply_kernelINS1_18TensorListMetadataILi1EEENS0_13LpNormFunctorIdLNS0_8NormTypeE1EfLi1ELi1ELi0EEEJPfiEEEvT_T0_DpT1_.num_vgpr, 22
	.set _ZN2at6native12_GLOBAL__N_125multi_tensor_apply_kernelINS1_18TensorListMetadataILi1EEENS0_13LpNormFunctorIdLNS0_8NormTypeE1EfLi1ELi1ELi0EEEJPfiEEEvT_T0_DpT1_.num_agpr, 0
	.set _ZN2at6native12_GLOBAL__N_125multi_tensor_apply_kernelINS1_18TensorListMetadataILi1EEENS0_13LpNormFunctorIdLNS0_8NormTypeE1EfLi1ELi1ELi0EEEJPfiEEEvT_T0_DpT1_.numbered_sgpr, 14
	.set _ZN2at6native12_GLOBAL__N_125multi_tensor_apply_kernelINS1_18TensorListMetadataILi1EEENS0_13LpNormFunctorIdLNS0_8NormTypeE1EfLi1ELi1ELi0EEEJPfiEEEvT_T0_DpT1_.num_named_barrier, 0
	.set _ZN2at6native12_GLOBAL__N_125multi_tensor_apply_kernelINS1_18TensorListMetadataILi1EEENS0_13LpNormFunctorIdLNS0_8NormTypeE1EfLi1ELi1ELi0EEEJPfiEEEvT_T0_DpT1_.private_seg_size, 0
	.set _ZN2at6native12_GLOBAL__N_125multi_tensor_apply_kernelINS1_18TensorListMetadataILi1EEENS0_13LpNormFunctorIdLNS0_8NormTypeE1EfLi1ELi1ELi0EEEJPfiEEEvT_T0_DpT1_.uses_vcc, 1
	.set _ZN2at6native12_GLOBAL__N_125multi_tensor_apply_kernelINS1_18TensorListMetadataILi1EEENS0_13LpNormFunctorIdLNS0_8NormTypeE1EfLi1ELi1ELi0EEEJPfiEEEvT_T0_DpT1_.uses_flat_scratch, 0
	.set _ZN2at6native12_GLOBAL__N_125multi_tensor_apply_kernelINS1_18TensorListMetadataILi1EEENS0_13LpNormFunctorIdLNS0_8NormTypeE1EfLi1ELi1ELi0EEEJPfiEEEvT_T0_DpT1_.has_dyn_sized_stack, 0
	.set _ZN2at6native12_GLOBAL__N_125multi_tensor_apply_kernelINS1_18TensorListMetadataILi1EEENS0_13LpNormFunctorIdLNS0_8NormTypeE1EfLi1ELi1ELi0EEEJPfiEEEvT_T0_DpT1_.has_recursion, 0
	.set _ZN2at6native12_GLOBAL__N_125multi_tensor_apply_kernelINS1_18TensorListMetadataILi1EEENS0_13LpNormFunctorIdLNS0_8NormTypeE1EfLi1ELi1ELi0EEEJPfiEEEvT_T0_DpT1_.has_indirect_call, 0
	.section	.AMDGPU.csdata,"",@progbits
; Kernel info:
; codeLenInByte = 1464
; TotalNumSgprs: 16
; NumVgprs: 22
; ScratchSize: 0
; MemoryBound: 0
; FloatMode: 240
; IeeeMode: 1
; LDSByteSize: 2048 bytes/workgroup (compile time only)
; SGPRBlocks: 0
; VGPRBlocks: 1
; NumSGPRsForWavesPerEU: 16
; NumVGPRsForWavesPerEU: 22
; NamedBarCnt: 0
; Occupancy: 16
; WaveLimiterHint : 0
; COMPUTE_PGM_RSRC2:SCRATCH_EN: 0
; COMPUTE_PGM_RSRC2:USER_SGPR: 2
; COMPUTE_PGM_RSRC2:TRAP_HANDLER: 0
; COMPUTE_PGM_RSRC2:TGID_X_EN: 1
; COMPUTE_PGM_RSRC2:TGID_Y_EN: 0
; COMPUTE_PGM_RSRC2:TGID_Z_EN: 0
; COMPUTE_PGM_RSRC2:TIDIG_COMP_CNT: 0
	.section	.text._ZN2at6native12_GLOBAL__N_125multi_tensor_apply_kernelINS1_18TensorListMetadataILi1EEENS0_13LpNormFunctorIdLNS0_8NormTypeE2EfLi1ELi1ELi0EEEJPfiEEEvT_T0_DpT1_,"axG",@progbits,_ZN2at6native12_GLOBAL__N_125multi_tensor_apply_kernelINS1_18TensorListMetadataILi1EEENS0_13LpNormFunctorIdLNS0_8NormTypeE2EfLi1ELi1ELi0EEEJPfiEEEvT_T0_DpT1_,comdat
	.globl	_ZN2at6native12_GLOBAL__N_125multi_tensor_apply_kernelINS1_18TensorListMetadataILi1EEENS0_13LpNormFunctorIdLNS0_8NormTypeE2EfLi1ELi1ELi0EEEJPfiEEEvT_T0_DpT1_ ; -- Begin function _ZN2at6native12_GLOBAL__N_125multi_tensor_apply_kernelINS1_18TensorListMetadataILi1EEENS0_13LpNormFunctorIdLNS0_8NormTypeE2EfLi1ELi1ELi0EEEJPfiEEEvT_T0_DpT1_
	.p2align	8
	.type	_ZN2at6native12_GLOBAL__N_125multi_tensor_apply_kernelINS1_18TensorListMetadataILi1EEENS0_13LpNormFunctorIdLNS0_8NormTypeE2EfLi1ELi1ELi0EEEJPfiEEEvT_T0_DpT1_,@function
_ZN2at6native12_GLOBAL__N_125multi_tensor_apply_kernelINS1_18TensorListMetadataILi1EEENS0_13LpNormFunctorIdLNS0_8NormTypeE2EfLi1ELi1ELi0EEEJPfiEEEvT_T0_DpT1_: ; @_ZN2at6native12_GLOBAL__N_125multi_tensor_apply_kernelINS1_18TensorListMetadataILi1EEENS0_13LpNormFunctorIdLNS0_8NormTypeE2EfLi1ELi1ELi0EEEJPfiEEEvT_T0_DpT1_
; %bb.0:
	s_bfe_u32 s2, ttmp6, 0x4000c
	s_and_b32 s3, ttmp6, 15
	s_add_co_i32 s2, s2, 1
	s_getreg_b32 s4, hwreg(HW_REG_IB_STS2, 6, 4)
	s_mul_i32 s2, ttmp9, s2
	s_delay_alu instid0(SALU_CYCLE_1)
	s_add_co_i32 s3, s3, s2
	s_cmp_eq_u32 s4, 0
	s_cselect_b32 s2, ttmp9, s3
	s_mov_b32 s3, 0
	v_mov_b32_e32 v1, s2
	s_add_nc_u64 s[4:5], s[0:1], s[2:3]
	s_mul_u64 s[6:7], s[2:3], 3
	s_delay_alu instid0(SALU_CYCLE_1) | instskip(SKIP_4) | instid1(SALU_CYCLE_1)
	s_add_nc_u64 s[4:5], s[4:5], s[6:7]
	global_load_u8 v15, v1, s[0:1] offset:1760
	s_load_b32 s4, s[4:5], 0x820
	s_wait_kmcnt 0x0
	s_ashr_i32 s5, s4, 31
	s_lshl_b64 s[10:11], s[4:5], 19
	s_lshl_b64 s[12:13], s[4:5], 16
	s_wait_loadcnt 0x0
	v_readfirstlane_b32 s2, v15
	s_and_b32 s2, s2, 0xff
	s_clause 0x1
	s_load_b64 s[6:7], s[0:1], s2 offset:0x0 scale_offset
	s_load_b64 s[8:9], s[0:1], s2 offset:0x370 scale_offset
	s_wait_kmcnt 0x0
	s_add_nc_u64 s[6:7], s[6:7], s[10:11]
	s_and_b32 s2, s8, 3
	s_and_b64 s[10:11], s[6:7], 31
	s_sub_nc_u64 s[8:9], s[8:9], s[12:13]
	s_or_b64 s[10:11], s[2:3], s[10:11]
	s_delay_alu instid0(SALU_CYCLE_1)
	s_cmp_eq_u64 s[10:11], 0
	s_cbranch_scc1 .LBB30_12
; %bb.1:
	v_cmp_lt_i64_e64 s2, s[8:9], 1
	s_and_b32 vcc_lo, exec_lo, s2
	s_cbranch_vccnz .LBB30_28
; %bb.2:
	s_load_b32 s2, s[0:1], 0xd4c
	v_min_i64 v[10:11], 0x10000, s[8:9]
	s_mov_b32 s11, 0
	s_mov_b64 s[12:13], 0
	s_wait_kmcnt 0x0
	s_and_b32 s2, s2, 0xffff
	s_delay_alu instid0(SALU_CYCLE_1) | instskip(SKIP_3) | instid1(VALU_DEP_3)
	v_dual_mov_b32 v7, 0 :: v_dual_add_nc_u32 v16, s2, v0
	v_mad_u32 v12, s2, 3, v0
	v_lshl_add_u32 v14, s2, 1, v0
	s_lshl_b32 s10, s2, 2
	v_dual_mov_b32 v6, v7 :: v_dual_mov_b32 v8, v7
	v_mov_b32_e32 v9, v7
	s_delay_alu instid0(VALU_DEP_2) | instskip(NEXT) | instid1(VALU_DEP_2)
	v_mov_b64_e32 v[2:3], v[6:7]
	v_mov_b64_e32 v[4:5], v[8:9]
	s_branch .LBB30_4
.LBB30_3:                               ;   in Loop: Header=BB30_4 Depth=1
	s_or_b32 exec_lo, exec_lo, s2
	s_add_nc_u64 s[12:13], s[12:13], s[10:11]
	s_delay_alu instid0(SALU_CYCLE_1)
	v_cmp_lt_i64_e32 vcc_lo, s[12:13], v[10:11]
	s_cbranch_vccz .LBB30_13
.LBB30_4:                               ; =>This Inner Loop Header: Depth=1
	v_add_nc_u32_e32 v6, s12, v0
	s_delay_alu instid0(VALU_DEP_1) | instskip(SKIP_2) | instid1(SALU_CYCLE_1)
	v_cmp_gt_i64_e32 vcc_lo, s[8:9], v[6:7]
	v_cmp_gt_u32_e64 s2, 0x10000, v6
	s_and_b32 s5, s2, vcc_lo
	s_and_saveexec_b32 s2, s5
	s_cbranch_execz .LBB30_6
; %bb.5:                                ;   in Loop: Header=BB30_4 Depth=1
	v_lshl_add_u64 v[8:9], v[6:7], 3, s[6:7]
	global_load_b64 v[8:9], v[8:9], off
	s_wait_loadcnt 0x0
	v_cvt_f32_f64_e32 v1, v[8:9]
	s_delay_alu instid0(VALU_DEP_1)
	v_fma_f32 v2, v1, v1, v2
.LBB30_6:                               ;   in Loop: Header=BB30_4 Depth=1
	s_or_b32 exec_lo, exec_lo, s2
	v_add_nc_u32_e32 v6, s12, v16
	s_delay_alu instid0(VALU_DEP_1) | instskip(SKIP_2) | instid1(SALU_CYCLE_1)
	v_cmp_gt_i64_e32 vcc_lo, s[8:9], v[6:7]
	v_cmp_gt_u32_e64 s2, 0x10000, v6
	s_and_b32 s5, s2, vcc_lo
	s_and_saveexec_b32 s2, s5
	s_cbranch_execz .LBB30_8
; %bb.7:                                ;   in Loop: Header=BB30_4 Depth=1
	v_lshl_add_u64 v[8:9], v[6:7], 3, s[6:7]
	global_load_b64 v[8:9], v[8:9], off
	s_wait_loadcnt 0x0
	v_cvt_f32_f64_e32 v1, v[8:9]
	s_delay_alu instid0(VALU_DEP_1)
	v_fma_f32 v3, v1, v1, v3
.LBB30_8:                               ;   in Loop: Header=BB30_4 Depth=1
	s_or_b32 exec_lo, exec_lo, s2
	v_add_nc_u32_e32 v6, s12, v14
	s_delay_alu instid0(VALU_DEP_1) | instskip(SKIP_2) | instid1(SALU_CYCLE_1)
	v_cmp_gt_i64_e32 vcc_lo, s[8:9], v[6:7]
	v_cmp_gt_u32_e64 s2, 0x10000, v6
	s_and_b32 s5, s2, vcc_lo
	s_and_saveexec_b32 s2, s5
	s_cbranch_execz .LBB30_10
; %bb.9:                                ;   in Loop: Header=BB30_4 Depth=1
	v_lshl_add_u64 v[8:9], v[6:7], 3, s[6:7]
	global_load_b64 v[8:9], v[8:9], off
	s_wait_loadcnt 0x0
	v_cvt_f32_f64_e32 v1, v[8:9]
	s_delay_alu instid0(VALU_DEP_1)
	v_fma_f32 v4, v1, v1, v4
.LBB30_10:                              ;   in Loop: Header=BB30_4 Depth=1
	s_or_b32 exec_lo, exec_lo, s2
	v_add_nc_u32_e32 v6, s12, v12
	s_delay_alu instid0(VALU_DEP_1) | instskip(SKIP_2) | instid1(SALU_CYCLE_1)
	v_cmp_gt_i64_e32 vcc_lo, s[8:9], v[6:7]
	v_cmp_gt_u32_e64 s2, 0x10000, v6
	s_and_b32 s5, s2, vcc_lo
	s_and_saveexec_b32 s2, s5
	s_cbranch_execz .LBB30_3
; %bb.11:                               ;   in Loop: Header=BB30_4 Depth=1
	v_lshl_add_u64 v[8:9], v[6:7], 3, s[6:7]
	global_load_b64 v[8:9], v[8:9], off
	s_wait_loadcnt 0x0
	v_cvt_f32_f64_e32 v1, v[8:9]
	s_delay_alu instid0(VALU_DEP_1)
	v_fma_f32 v5, v1, v1, v5
	s_branch .LBB30_3
.LBB30_12:
	s_mov_b32 s3, -1
                                        ; implicit-def: $vgpr2_vgpr3_vgpr4_vgpr5
.LBB30_13:
	s_delay_alu instid0(SALU_CYCLE_1)
	s_and_not1_b32 vcc_lo, exec_lo, s3
	s_cbranch_vccnz .LBB30_19
.LBB30_14:
	v_min_i64 v[8:9], 0x10000, s[8:9]
	v_dual_mov_b32 v3, 0 :: v_dual_lshlrev_b32 v2, 2, v0
	s_mov_b32 s3, 0
	s_delay_alu instid0(VALU_DEP_1) | instskip(NEXT) | instid1(VALU_DEP_2)
	v_dual_mov_b32 v5, v3 :: v_dual_mov_b32 v4, v3
	v_cmp_lt_i64_e32 vcc_lo, v[2:3], v[8:9]
	v_mov_b32_e32 v2, v3
	s_and_saveexec_b32 s5, vcc_lo
	s_cbranch_execz .LBB30_18
; %bb.15:
	s_load_b32 s2, s[0:1], 0xd4c
	v_dual_mov_b32 v1, v3 :: v_dual_lshlrev_b32 v2, 5, v0
	v_dual_mov_b32 v5, 0 :: v_dual_mov_b32 v6, 0
	v_mov_b32_e32 v7, 0
	s_delay_alu instid0(VALU_DEP_3) | instskip(NEXT) | instid1(VALU_DEP_4)
	v_add_nc_u64_e32 v[10:11], s[6:7], v[2:3]
	v_mov_b64_e32 v[12:13], v[0:1]
	s_mov_b32 s7, s3
	s_mov_b32 s8, s3
	s_delay_alu instid0(VALU_DEP_2) | instskip(SKIP_2) | instid1(SALU_CYCLE_1)
	v_add_nc_u64_e32 v[10:11], 16, v[10:11]
	s_wait_kmcnt 0x0
	s_and_b32 s2, s2, 0xffff
	s_lshl_b32 s6, s2, 5
.LBB30_16:                              ; =>This Inner Loop Header: Depth=1
	s_clause 0x1
	global_load_b128 v[16:19], v[10:11], off offset:-16
	global_load_b128 v[20:23], v[10:11], off
	v_add_nc_u64_e32 v[12:13], s[2:3], v[12:13]
	s_wait_xcnt 0x0
	v_add_nc_u64_e32 v[10:11], s[6:7], v[10:11]
	s_wait_loadcnt 0x1
	v_cvt_f32_f64_e32 v1, v[16:17]
	v_cvt_f32_f64_e32 v2, v[18:19]
	s_wait_loadcnt 0x0
	v_cvt_f32_f64_e32 v4, v[20:21]
	v_cvt_f32_f64_e32 v14, v[22:23]
	v_lshlrev_b64_e32 v[16:17], 2, v[12:13]
	s_delay_alu instid0(VALU_DEP_1) | instskip(SKIP_2) | instid1(VALU_DEP_4)
	v_cmp_ge_i64_e32 vcc_lo, v[16:17], v[8:9]
	s_or_b32 s8, vcc_lo, s8
	v_dual_fmac_f32 v3, v1, v1 :: v_dual_fmac_f32 v5, v2, v2
	v_dual_fmac_f32 v6, v4, v4 :: v_dual_fmac_f32 v7, v14, v14
	s_and_not1_b32 exec_lo, exec_lo, s8
	s_cbranch_execnz .LBB30_16
; %bb.17:
	s_or_b32 exec_lo, exec_lo, s8
	v_mov_b32_e32 v4, v3
	s_delay_alu instid0(VALU_DEP_1)
	v_mov_b64_e32 v[2:3], v[4:5]
	v_mov_b64_e32 v[4:5], v[6:7]
.LBB30_18:
	s_or_b32 exec_lo, exec_lo, s5
.LBB30_19:
	s_delay_alu instid0(VALU_DEP_1) | instskip(SKIP_3) | instid1(VALU_DEP_2)
	v_add_f32_e32 v1, 0, v2
	v_mbcnt_lo_u32_b32 v6, -1, 0
	s_mov_b32 s2, exec_lo
	s_barrier_signal -1
	v_add_f32_e32 v1, v3, v1
	s_delay_alu instid0(VALU_DEP_2) | instskip(SKIP_1) | instid1(VALU_DEP_2)
	v_cmp_gt_u32_e32 vcc_lo, 24, v6
	s_barrier_wait -1
	v_add_f32_e32 v2, v4, v1
	v_lshl_or_b32 v1, v6, 2, 64
	s_delay_alu instid0(VALU_DEP_2)
	v_add_f32_e32 v3, v5, v2
	v_cndmask_b32_e64 v2, 0, 8, vcc_lo
	v_cmp_gt_u32_e32 vcc_lo, 28, v6
	ds_bpermute_b32 v4, v1, v3
	v_add_lshl_u32 v2, v2, v6, 2
	s_wait_dscnt 0x0
	v_add_f32_e32 v4, v3, v4
	v_cndmask_b32_e64 v3, 0, 4, vcc_lo
	v_cmp_gt_u32_e32 vcc_lo, 30, v6
	ds_bpermute_b32 v5, v2, v4
	v_add_lshl_u32 v3, v3, v6, 2
	s_wait_dscnt 0x0
	v_add_f32_e32 v5, v4, v5
	v_cndmask_b32_e64 v4, 0, 2, vcc_lo
	v_cmp_ne_u32_e32 vcc_lo, 31, v6
	ds_bpermute_b32 v7, v3, v5
	v_add_lshl_u32 v4, v4, v6, 2
	v_add_co_ci_u32_e64 v8, null, 0, v6, vcc_lo
	s_wait_dscnt 0x0
	v_add_f32_e32 v5, v5, v7
	ds_bpermute_b32 v7, v4, v5
	s_wait_dscnt 0x0
	v_dual_add_f32 v6, v5, v7 :: v_dual_lshlrev_b32 v5, 2, v8
	v_and_b32_e32 v7, 31, v0
	ds_bpermute_b32 v8, v5, v6
	v_cmpx_eq_u32_e32 0, v7
	s_cbranch_execz .LBB30_21
; %bb.20:
	v_lshrrev_b32_e32 v9, 3, v0
	s_wait_dscnt 0x0
	v_add_f32_e32 v6, v6, v8
	ds_store_b32 v9, v6
.LBB30_21:
	s_or_b32 exec_lo, exec_lo, s2
	s_wait_dscnt 0x0
	s_barrier_signal -1
	s_barrier_wait -1
	s_load_b32 s2, s[0:1], 0xd4c
	v_mov_b32_e32 v6, 0
	s_wait_kmcnt 0x0
	s_bfe_u32 s2, s2, 0xb0005
	s_delay_alu instid0(SALU_CYCLE_1)
	v_cmp_gt_u32_e32 vcc_lo, s2, v0
	s_and_saveexec_b32 s2, vcc_lo
; %bb.22:
	v_lshlrev_b32_e32 v6, 2, v7
	ds_load_b32 v6, v6
; %bb.23:
	s_or_b32 exec_lo, exec_lo, s2
	s_delay_alu instid0(SALU_CYCLE_1)
	s_mov_b32 s2, exec_lo
	v_cmpx_gt_u32_e32 32, v0
	s_cbranch_execz .LBB30_25
; %bb.24:
	s_wait_dscnt 0x0
	ds_bpermute_b32 v1, v1, v6
	s_wait_dscnt 0x0
	v_add_f32_e32 v1, v6, v1
	ds_bpermute_b32 v2, v2, v1
	s_wait_dscnt 0x0
	v_add_f32_e32 v1, v1, v2
	;; [unrolled: 3-line block ×5, first 2 shown]
.LBB30_25:
	s_or_b32 exec_lo, exec_lo, s2
	s_delay_alu instid0(SALU_CYCLE_1)
	s_mov_b32 s2, exec_lo
	v_cmpx_eq_u32_e32 0, v0
	s_cbranch_execz .LBB30_27
; %bb.26:
	s_clause 0x1
	s_load_b32 s2, s[0:1], 0xd20
	s_load_b96 s[8:10], s[0:1], 0xd30
	v_and_b32_e32 v0, 0xff, v15
	s_wait_kmcnt 0x0
	s_delay_alu instid0(VALU_DEP_1) | instskip(NEXT) | instid1(VALU_DEP_1)
	v_add_nc_u32_e32 v0, s2, v0
	v_mul_lo_u32 v0, v0, s10
	s_delay_alu instid0(VALU_DEP_1)
	v_add_nc_u32_e32 v0, s4, v0
	s_wait_dscnt 0x0
	global_store_b32 v0, v6, s[8:9] scale_offset
.LBB30_27:
	s_endpgm
.LBB30_28:
	v_mov_b32_e32 v2, 0
	s_delay_alu instid0(VALU_DEP_1)
	v_dual_mov_b32 v3, v2 :: v_dual_mov_b32 v4, v2
	v_mov_b32_e32 v5, v2
	s_and_not1_b32 vcc_lo, exec_lo, s3
	s_cbranch_vccz .LBB30_14
	s_branch .LBB30_19
	.section	.rodata,"a",@progbits
	.p2align	6, 0x0
	.amdhsa_kernel _ZN2at6native12_GLOBAL__N_125multi_tensor_apply_kernelINS1_18TensorListMetadataILi1EEENS0_13LpNormFunctorIdLNS0_8NormTypeE2EfLi1ELi1ELi0EEEJPfiEEEvT_T0_DpT1_
		.amdhsa_group_segment_fixed_size 2048
		.amdhsa_private_segment_fixed_size 0
		.amdhsa_kernarg_size 3648
		.amdhsa_user_sgpr_count 2
		.amdhsa_user_sgpr_dispatch_ptr 0
		.amdhsa_user_sgpr_queue_ptr 0
		.amdhsa_user_sgpr_kernarg_segment_ptr 1
		.amdhsa_user_sgpr_dispatch_id 0
		.amdhsa_user_sgpr_kernarg_preload_length 0
		.amdhsa_user_sgpr_kernarg_preload_offset 0
		.amdhsa_user_sgpr_private_segment_size 0
		.amdhsa_wavefront_size32 1
		.amdhsa_uses_dynamic_stack 0
		.amdhsa_enable_private_segment 0
		.amdhsa_system_sgpr_workgroup_id_x 1
		.amdhsa_system_sgpr_workgroup_id_y 0
		.amdhsa_system_sgpr_workgroup_id_z 0
		.amdhsa_system_sgpr_workgroup_info 0
		.amdhsa_system_vgpr_workitem_id 0
		.amdhsa_next_free_vgpr 24
		.amdhsa_next_free_sgpr 14
		.amdhsa_named_barrier_count 0
		.amdhsa_reserve_vcc 1
		.amdhsa_float_round_mode_32 0
		.amdhsa_float_round_mode_16_64 0
		.amdhsa_float_denorm_mode_32 3
		.amdhsa_float_denorm_mode_16_64 3
		.amdhsa_fp16_overflow 0
		.amdhsa_memory_ordered 1
		.amdhsa_forward_progress 1
		.amdhsa_inst_pref_size 12
		.amdhsa_round_robin_scheduling 0
		.amdhsa_exception_fp_ieee_invalid_op 0
		.amdhsa_exception_fp_denorm_src 0
		.amdhsa_exception_fp_ieee_div_zero 0
		.amdhsa_exception_fp_ieee_overflow 0
		.amdhsa_exception_fp_ieee_underflow 0
		.amdhsa_exception_fp_ieee_inexact 0
		.amdhsa_exception_int_div_zero 0
	.end_amdhsa_kernel
	.section	.text._ZN2at6native12_GLOBAL__N_125multi_tensor_apply_kernelINS1_18TensorListMetadataILi1EEENS0_13LpNormFunctorIdLNS0_8NormTypeE2EfLi1ELi1ELi0EEEJPfiEEEvT_T0_DpT1_,"axG",@progbits,_ZN2at6native12_GLOBAL__N_125multi_tensor_apply_kernelINS1_18TensorListMetadataILi1EEENS0_13LpNormFunctorIdLNS0_8NormTypeE2EfLi1ELi1ELi0EEEJPfiEEEvT_T0_DpT1_,comdat
.Lfunc_end30:
	.size	_ZN2at6native12_GLOBAL__N_125multi_tensor_apply_kernelINS1_18TensorListMetadataILi1EEENS0_13LpNormFunctorIdLNS0_8NormTypeE2EfLi1ELi1ELi0EEEJPfiEEEvT_T0_DpT1_, .Lfunc_end30-_ZN2at6native12_GLOBAL__N_125multi_tensor_apply_kernelINS1_18TensorListMetadataILi1EEENS0_13LpNormFunctorIdLNS0_8NormTypeE2EfLi1ELi1ELi0EEEJPfiEEEvT_T0_DpT1_
                                        ; -- End function
	.set _ZN2at6native12_GLOBAL__N_125multi_tensor_apply_kernelINS1_18TensorListMetadataILi1EEENS0_13LpNormFunctorIdLNS0_8NormTypeE2EfLi1ELi1ELi0EEEJPfiEEEvT_T0_DpT1_.num_vgpr, 24
	.set _ZN2at6native12_GLOBAL__N_125multi_tensor_apply_kernelINS1_18TensorListMetadataILi1EEENS0_13LpNormFunctorIdLNS0_8NormTypeE2EfLi1ELi1ELi0EEEJPfiEEEvT_T0_DpT1_.num_agpr, 0
	.set _ZN2at6native12_GLOBAL__N_125multi_tensor_apply_kernelINS1_18TensorListMetadataILi1EEENS0_13LpNormFunctorIdLNS0_8NormTypeE2EfLi1ELi1ELi0EEEJPfiEEEvT_T0_DpT1_.numbered_sgpr, 14
	.set _ZN2at6native12_GLOBAL__N_125multi_tensor_apply_kernelINS1_18TensorListMetadataILi1EEENS0_13LpNormFunctorIdLNS0_8NormTypeE2EfLi1ELi1ELi0EEEJPfiEEEvT_T0_DpT1_.num_named_barrier, 0
	.set _ZN2at6native12_GLOBAL__N_125multi_tensor_apply_kernelINS1_18TensorListMetadataILi1EEENS0_13LpNormFunctorIdLNS0_8NormTypeE2EfLi1ELi1ELi0EEEJPfiEEEvT_T0_DpT1_.private_seg_size, 0
	.set _ZN2at6native12_GLOBAL__N_125multi_tensor_apply_kernelINS1_18TensorListMetadataILi1EEENS0_13LpNormFunctorIdLNS0_8NormTypeE2EfLi1ELi1ELi0EEEJPfiEEEvT_T0_DpT1_.uses_vcc, 1
	.set _ZN2at6native12_GLOBAL__N_125multi_tensor_apply_kernelINS1_18TensorListMetadataILi1EEENS0_13LpNormFunctorIdLNS0_8NormTypeE2EfLi1ELi1ELi0EEEJPfiEEEvT_T0_DpT1_.uses_flat_scratch, 0
	.set _ZN2at6native12_GLOBAL__N_125multi_tensor_apply_kernelINS1_18TensorListMetadataILi1EEENS0_13LpNormFunctorIdLNS0_8NormTypeE2EfLi1ELi1ELi0EEEJPfiEEEvT_T0_DpT1_.has_dyn_sized_stack, 0
	.set _ZN2at6native12_GLOBAL__N_125multi_tensor_apply_kernelINS1_18TensorListMetadataILi1EEENS0_13LpNormFunctorIdLNS0_8NormTypeE2EfLi1ELi1ELi0EEEJPfiEEEvT_T0_DpT1_.has_recursion, 0
	.set _ZN2at6native12_GLOBAL__N_125multi_tensor_apply_kernelINS1_18TensorListMetadataILi1EEENS0_13LpNormFunctorIdLNS0_8NormTypeE2EfLi1ELi1ELi0EEEJPfiEEEvT_T0_DpT1_.has_indirect_call, 0
	.section	.AMDGPU.csdata,"",@progbits
; Kernel info:
; codeLenInByte = 1436
; TotalNumSgprs: 16
; NumVgprs: 24
; ScratchSize: 0
; MemoryBound: 0
; FloatMode: 240
; IeeeMode: 1
; LDSByteSize: 2048 bytes/workgroup (compile time only)
; SGPRBlocks: 0
; VGPRBlocks: 1
; NumSGPRsForWavesPerEU: 16
; NumVGPRsForWavesPerEU: 24
; NamedBarCnt: 0
; Occupancy: 16
; WaveLimiterHint : 0
; COMPUTE_PGM_RSRC2:SCRATCH_EN: 0
; COMPUTE_PGM_RSRC2:USER_SGPR: 2
; COMPUTE_PGM_RSRC2:TRAP_HANDLER: 0
; COMPUTE_PGM_RSRC2:TGID_X_EN: 1
; COMPUTE_PGM_RSRC2:TGID_Y_EN: 0
; COMPUTE_PGM_RSRC2:TGID_Z_EN: 0
; COMPUTE_PGM_RSRC2:TIDIG_COMP_CNT: 0
	.section	.text._ZN2at6native12_GLOBAL__N_125multi_tensor_apply_kernelINS1_18TensorListMetadataILi1EEENS0_13LpNormFunctorIdLNS0_8NormTypeE3EfLi1ELi1ELi0EEEJPfiEEEvT_T0_DpT1_,"axG",@progbits,_ZN2at6native12_GLOBAL__N_125multi_tensor_apply_kernelINS1_18TensorListMetadataILi1EEENS0_13LpNormFunctorIdLNS0_8NormTypeE3EfLi1ELi1ELi0EEEJPfiEEEvT_T0_DpT1_,comdat
	.globl	_ZN2at6native12_GLOBAL__N_125multi_tensor_apply_kernelINS1_18TensorListMetadataILi1EEENS0_13LpNormFunctorIdLNS0_8NormTypeE3EfLi1ELi1ELi0EEEJPfiEEEvT_T0_DpT1_ ; -- Begin function _ZN2at6native12_GLOBAL__N_125multi_tensor_apply_kernelINS1_18TensorListMetadataILi1EEENS0_13LpNormFunctorIdLNS0_8NormTypeE3EfLi1ELi1ELi0EEEJPfiEEEvT_T0_DpT1_
	.p2align	8
	.type	_ZN2at6native12_GLOBAL__N_125multi_tensor_apply_kernelINS1_18TensorListMetadataILi1EEENS0_13LpNormFunctorIdLNS0_8NormTypeE3EfLi1ELi1ELi0EEEJPfiEEEvT_T0_DpT1_,@function
_ZN2at6native12_GLOBAL__N_125multi_tensor_apply_kernelINS1_18TensorListMetadataILi1EEENS0_13LpNormFunctorIdLNS0_8NormTypeE3EfLi1ELi1ELi0EEEJPfiEEEvT_T0_DpT1_: ; @_ZN2at6native12_GLOBAL__N_125multi_tensor_apply_kernelINS1_18TensorListMetadataILi1EEENS0_13LpNormFunctorIdLNS0_8NormTypeE3EfLi1ELi1ELi0EEEJPfiEEEvT_T0_DpT1_
; %bb.0:
	s_bfe_u32 s2, ttmp6, 0x4000c
	s_and_b32 s3, ttmp6, 15
	s_add_co_i32 s2, s2, 1
	s_getreg_b32 s4, hwreg(HW_REG_IB_STS2, 6, 4)
	s_mul_i32 s2, ttmp9, s2
	s_delay_alu instid0(SALU_CYCLE_1)
	s_add_co_i32 s3, s3, s2
	s_cmp_eq_u32 s4, 0
	s_cselect_b32 s2, ttmp9, s3
	s_mov_b32 s3, 0
	v_mov_b32_e32 v1, s2
	s_add_nc_u64 s[4:5], s[0:1], s[2:3]
	s_mul_u64 s[6:7], s[2:3], 3
	s_delay_alu instid0(SALU_CYCLE_1) | instskip(SKIP_4) | instid1(SALU_CYCLE_1)
	s_add_nc_u64 s[4:5], s[4:5], s[6:7]
	global_load_u8 v15, v1, s[0:1] offset:1760
	s_load_b32 s6, s[4:5], 0x820
	s_wait_kmcnt 0x0
	s_ashr_i32 s7, s6, 31
	s_lshl_b64 s[10:11], s[6:7], 19
	s_lshl_b64 s[12:13], s[6:7], 16
	s_wait_loadcnt 0x0
	v_readfirstlane_b32 s2, v15
	s_and_b32 s2, s2, 0xff
	s_clause 0x1
	s_load_b64 s[4:5], s[0:1], s2 offset:0x0 scale_offset
	s_load_b64 s[8:9], s[0:1], s2 offset:0x370 scale_offset
	s_wait_kmcnt 0x0
	s_add_nc_u64 s[4:5], s[4:5], s[10:11]
	s_and_b32 s2, s8, 3
	s_and_b64 s[10:11], s[4:5], 31
	s_sub_nc_u64 s[8:9], s[8:9], s[12:13]
	s_or_b64 s[10:11], s[2:3], s[10:11]
	s_delay_alu instid0(SALU_CYCLE_1)
	s_cmp_eq_u64 s[10:11], 0
	s_cbranch_scc1 .LBB31_12
; %bb.1:
	v_cmp_lt_i64_e64 s2, s[8:9], 1
	s_and_b32 vcc_lo, exec_lo, s2
	s_cbranch_vccnz .LBB31_28
; %bb.2:
	s_load_b32 s2, s[0:1], 0xd4c
	v_min_i64 v[10:11], 0x10000, s[8:9]
	s_mov_b32 s11, 0
	s_mov_b64 s[12:13], 0
	s_wait_kmcnt 0x0
	s_and_b32 s2, s2, 0xffff
	s_delay_alu instid0(SALU_CYCLE_1) | instskip(SKIP_3) | instid1(VALU_DEP_3)
	v_dual_mov_b32 v7, 0 :: v_dual_add_nc_u32 v16, s2, v0
	v_mad_u32 v12, s2, 3, v0
	v_lshl_add_u32 v14, s2, 1, v0
	s_lshl_b32 s10, s2, 2
	v_dual_mov_b32 v6, v7 :: v_dual_mov_b32 v8, v7
	v_mov_b32_e32 v9, v7
	s_delay_alu instid0(VALU_DEP_2) | instskip(NEXT) | instid1(VALU_DEP_2)
	v_mov_b64_e32 v[2:3], v[6:7]
	v_mov_b64_e32 v[4:5], v[8:9]
	s_branch .LBB31_4
.LBB31_3:                               ;   in Loop: Header=BB31_4 Depth=1
	s_or_b32 exec_lo, exec_lo, s2
	s_add_nc_u64 s[12:13], s[12:13], s[10:11]
	s_delay_alu instid0(SALU_CYCLE_1)
	v_cmp_lt_i64_e32 vcc_lo, s[12:13], v[10:11]
	s_cbranch_vccz .LBB31_13
.LBB31_4:                               ; =>This Inner Loop Header: Depth=1
	v_add_nc_u32_e32 v6, s12, v0
	s_delay_alu instid0(VALU_DEP_1) | instskip(SKIP_2) | instid1(SALU_CYCLE_1)
	v_cmp_gt_i64_e32 vcc_lo, s[8:9], v[6:7]
	v_cmp_gt_u32_e64 s2, 0x10000, v6
	s_and_b32 s7, s2, vcc_lo
	s_and_saveexec_b32 s2, s7
	s_cbranch_execz .LBB31_6
; %bb.5:                                ;   in Loop: Header=BB31_4 Depth=1
	v_lshl_add_u64 v[8:9], v[6:7], 3, s[4:5]
	global_load_b64 v[8:9], v[8:9], off
	s_wait_loadcnt 0x0
	v_cvt_f32_f64_e32 v1, v[8:9]
	s_delay_alu instid0(VALU_DEP_1) | instskip(SKIP_2) | instid1(SALU_CYCLE_1)
	v_cmp_u_f32_e32 vcc_lo, v1, v1
	v_cmp_lt_f32_e64 s7, v2, |v1|
	s_or_b32 s7, vcc_lo, s7
	v_cndmask_b32_e64 v2, v2, |v1|, s7
.LBB31_6:                               ;   in Loop: Header=BB31_4 Depth=1
	s_or_b32 exec_lo, exec_lo, s2
	v_add_nc_u32_e32 v6, s12, v16
	s_delay_alu instid0(VALU_DEP_1) | instskip(SKIP_2) | instid1(SALU_CYCLE_1)
	v_cmp_gt_i64_e32 vcc_lo, s[8:9], v[6:7]
	v_cmp_gt_u32_e64 s2, 0x10000, v6
	s_and_b32 s7, s2, vcc_lo
	s_and_saveexec_b32 s2, s7
	s_cbranch_execz .LBB31_8
; %bb.7:                                ;   in Loop: Header=BB31_4 Depth=1
	v_lshl_add_u64 v[8:9], v[6:7], 3, s[4:5]
	global_load_b64 v[8:9], v[8:9], off
	s_wait_loadcnt 0x0
	v_cvt_f32_f64_e32 v1, v[8:9]
	s_delay_alu instid0(VALU_DEP_1) | instskip(SKIP_2) | instid1(SALU_CYCLE_1)
	v_cmp_u_f32_e32 vcc_lo, v1, v1
	v_cmp_lt_f32_e64 s7, v3, |v1|
	s_or_b32 s7, vcc_lo, s7
	v_cndmask_b32_e64 v3, v3, |v1|, s7
.LBB31_8:                               ;   in Loop: Header=BB31_4 Depth=1
	s_or_b32 exec_lo, exec_lo, s2
	v_add_nc_u32_e32 v6, s12, v14
	s_delay_alu instid0(VALU_DEP_1) | instskip(SKIP_2) | instid1(SALU_CYCLE_1)
	v_cmp_gt_i64_e32 vcc_lo, s[8:9], v[6:7]
	v_cmp_gt_u32_e64 s2, 0x10000, v6
	s_and_b32 s7, s2, vcc_lo
	s_and_saveexec_b32 s2, s7
	s_cbranch_execz .LBB31_10
; %bb.9:                                ;   in Loop: Header=BB31_4 Depth=1
	v_lshl_add_u64 v[8:9], v[6:7], 3, s[4:5]
	global_load_b64 v[8:9], v[8:9], off
	s_wait_loadcnt 0x0
	v_cvt_f32_f64_e32 v1, v[8:9]
	s_delay_alu instid0(VALU_DEP_1) | instskip(SKIP_2) | instid1(SALU_CYCLE_1)
	v_cmp_u_f32_e32 vcc_lo, v1, v1
	v_cmp_lt_f32_e64 s7, v4, |v1|
	s_or_b32 s7, vcc_lo, s7
	v_cndmask_b32_e64 v4, v4, |v1|, s7
.LBB31_10:                              ;   in Loop: Header=BB31_4 Depth=1
	s_or_b32 exec_lo, exec_lo, s2
	v_add_nc_u32_e32 v6, s12, v12
	s_delay_alu instid0(VALU_DEP_1) | instskip(SKIP_2) | instid1(SALU_CYCLE_1)
	v_cmp_gt_i64_e32 vcc_lo, s[8:9], v[6:7]
	v_cmp_gt_u32_e64 s2, 0x10000, v6
	s_and_b32 s7, s2, vcc_lo
	s_and_saveexec_b32 s2, s7
	s_cbranch_execz .LBB31_3
; %bb.11:                               ;   in Loop: Header=BB31_4 Depth=1
	v_lshl_add_u64 v[8:9], v[6:7], 3, s[4:5]
	global_load_b64 v[8:9], v[8:9], off
	s_wait_loadcnt 0x0
	v_cvt_f32_f64_e32 v1, v[8:9]
	s_delay_alu instid0(VALU_DEP_1) | instskip(SKIP_2) | instid1(SALU_CYCLE_1)
	v_cmp_u_f32_e32 vcc_lo, v1, v1
	v_cmp_lt_f32_e64 s7, v5, |v1|
	s_or_b32 s7, vcc_lo, s7
	v_cndmask_b32_e64 v5, v5, |v1|, s7
	s_branch .LBB31_3
.LBB31_12:
	s_mov_b32 s3, -1
                                        ; implicit-def: $vgpr2_vgpr3_vgpr4_vgpr5
.LBB31_13:
	s_delay_alu instid0(SALU_CYCLE_1)
	s_and_not1_b32 vcc_lo, exec_lo, s3
	s_cbranch_vccnz .LBB31_19
.LBB31_14:
	v_min_i64 v[8:9], 0x10000, s[8:9]
	v_dual_mov_b32 v3, 0 :: v_dual_lshlrev_b32 v2, 2, v0
	s_mov_b32 s9, 0
	s_delay_alu instid0(VALU_DEP_1) | instskip(NEXT) | instid1(VALU_DEP_2)
	v_dual_mov_b32 v5, v3 :: v_dual_mov_b32 v4, v3
	v_cmp_lt_i64_e32 vcc_lo, v[2:3], v[8:9]
	v_mov_b32_e32 v2, v3
	s_and_saveexec_b32 s7, vcc_lo
	s_cbranch_execz .LBB31_18
; %bb.15:
	s_load_b32 s2, s[0:1], 0xd4c
	v_dual_mov_b32 v1, v3 :: v_dual_lshlrev_b32 v2, 5, v0
	v_dual_mov_b32 v5, 0 :: v_dual_mov_b32 v6, 0
	v_mov_b32_e32 v7, 0
	s_delay_alu instid0(VALU_DEP_3) | instskip(NEXT) | instid1(VALU_DEP_4)
	v_add_nc_u64_e32 v[10:11], s[4:5], v[2:3]
	v_mov_b64_e32 v[12:13], v[0:1]
	s_mov_b32 s11, s9
	s_mov_b32 s12, s9
	s_delay_alu instid0(VALU_DEP_2) | instskip(SKIP_2) | instid1(SALU_CYCLE_1)
	v_add_nc_u64_e32 v[10:11], 16, v[10:11]
	s_wait_kmcnt 0x0
	s_and_b32 s8, s2, 0xffff
	s_lshl_b32 s10, s8, 5
.LBB31_16:                              ; =>This Inner Loop Header: Depth=1
	s_clause 0x1
	global_load_b128 v[16:19], v[10:11], off
	global_load_b128 v[20:23], v[10:11], off offset:-16
	v_add_nc_u64_e32 v[12:13], s[8:9], v[12:13]
	s_wait_xcnt 0x0
	v_add_nc_u64_e32 v[10:11], s[10:11], v[10:11]
	s_wait_loadcnt 0x1
	v_cvt_f32_f64_e32 v1, v[18:19]
	v_cvt_f32_f64_e32 v2, v[16:17]
	s_wait_loadcnt 0x0
	v_cvt_f32_f64_e32 v4, v[22:23]
	v_cvt_f32_f64_e32 v14, v[20:21]
	v_lshlrev_b64_e32 v[16:17], 2, v[12:13]
	s_delay_alu instid0(VALU_DEP_1)
	v_cmp_ge_i64_e32 vcc_lo, v[16:17], v[8:9]
	v_cmp_u_f32_e64 s2, v1, v1
	v_cmp_lt_f32_e64 s13, v7, |v1|
	v_cmp_u_f32_e64 s3, v2, v2
	v_cmp_lt_f32_e64 s14, v6, |v2|
	;; [unrolled: 2-line block ×3, first 2 shown]
	s_or_b32 s2, s2, s13
	v_cmp_u_f32_e64 s5, v14, v14
	v_cmp_lt_f32_e64 s16, v3, |v14|
	v_cndmask_b32_e64 v7, v7, |v1|, s2
	s_or_b32 s2, s3, s14
	s_delay_alu instid0(SALU_CYCLE_1) | instskip(SKIP_1) | instid1(SALU_CYCLE_1)
	v_cndmask_b32_e64 v6, v6, |v2|, s2
	s_or_b32 s2, s4, s15
	v_cndmask_b32_e64 v5, v5, |v4|, s2
	s_or_b32 s2, s5, s16
	s_or_b32 s12, vcc_lo, s12
	v_cndmask_b32_e64 v3, v3, |v14|, s2
	s_and_not1_b32 exec_lo, exec_lo, s12
	s_cbranch_execnz .LBB31_16
; %bb.17:
	s_or_b32 exec_lo, exec_lo, s12
	s_delay_alu instid0(VALU_DEP_1) | instskip(NEXT) | instid1(VALU_DEP_1)
	v_mov_b32_e32 v4, v3
	v_mov_b64_e32 v[2:3], v[4:5]
	v_mov_b64_e32 v[4:5], v[6:7]
.LBB31_18:
	s_or_b32 exec_lo, exec_lo, s7
.LBB31_19:
	s_delay_alu instid0(VALU_DEP_1)
	v_cmp_nge_f32_e32 vcc_lo, 0, v2
	v_mbcnt_lo_u32_b32 v6, -1, 0
	s_barrier_signal -1
	s_barrier_wait -1
	v_cndmask_b32_e32 v1, 0, v2, vcc_lo
	v_cmp_u_f32_e32 vcc_lo, v3, v3
	v_cmp_ne_u32_e64 s3, 31, v6
	s_delay_alu instid0(VALU_DEP_3) | instskip(NEXT) | instid1(VALU_DEP_2)
	v_cmp_lt_f32_e64 s2, v1, v3
	v_add_co_ci_u32_e64 v8, null, 0, v6, s3
	s_mov_b32 s3, exec_lo
	s_or_b32 vcc_lo, vcc_lo, s2
	v_cndmask_b32_e32 v1, v1, v3, vcc_lo
	v_cmp_u_f32_e32 vcc_lo, v4, v4
	s_delay_alu instid0(VALU_DEP_2) | instskip(SKIP_4) | instid1(VALU_DEP_3)
	v_cmp_lt_f32_e64 s2, v1, v4
	s_or_b32 vcc_lo, vcc_lo, s2
	v_cndmask_b32_e32 v2, v1, v4, vcc_lo
	v_cmp_u_f32_e32 vcc_lo, v5, v5
	v_lshl_or_b32 v1, v6, 2, 64
	v_cmp_lt_f32_e64 s2, v2, v5
	s_or_b32 vcc_lo, vcc_lo, s2
	v_cndmask_b32_e32 v3, v2, v5, vcc_lo
	v_cmp_gt_u32_e32 vcc_lo, 24, v6
	ds_bpermute_b32 v4, v1, v3
	v_cndmask_b32_e64 v2, 0, 8, vcc_lo
	s_delay_alu instid0(VALU_DEP_1)
	v_add_lshl_u32 v2, v2, v6, 2
	s_wait_dscnt 0x0
	v_cmp_u_f32_e32 vcc_lo, v4, v4
	v_cmp_lt_f32_e64 s2, v3, v4
	s_or_b32 vcc_lo, vcc_lo, s2
	v_cndmask_b32_e32 v4, v3, v4, vcc_lo
	v_cmp_gt_u32_e32 vcc_lo, 28, v6
	ds_bpermute_b32 v5, v2, v4
	v_cndmask_b32_e64 v3, 0, 4, vcc_lo
	s_delay_alu instid0(VALU_DEP_1)
	v_add_lshl_u32 v3, v3, v6, 2
	s_wait_dscnt 0x0
	v_cmp_u_f32_e32 vcc_lo, v5, v5
	;; [unrolled: 10-line block ×3, first 2 shown]
	v_cmp_lt_f32_e64 s2, v5, v7
	s_or_b32 vcc_lo, vcc_lo, s2
	v_cndmask_b32_e32 v5, v5, v7, vcc_lo
	ds_bpermute_b32 v7, v4, v5
	s_wait_dscnt 0x0
	v_cmp_u_f32_e32 vcc_lo, v7, v7
	v_cmp_lt_f32_e64 s2, v5, v7
	s_or_b32 vcc_lo, vcc_lo, s2
	v_dual_cndmask_b32 v6, v5, v7 :: v_dual_lshlrev_b32 v5, 2, v8
	v_and_b32_e32 v7, 31, v0
	ds_bpermute_b32 v8, v5, v6
	v_cmpx_eq_u32_e32 0, v7
	s_cbranch_execz .LBB31_21
; %bb.20:
	s_wait_dscnt 0x0
	v_cmp_u_f32_e32 vcc_lo, v8, v8
	v_cmp_lt_f32_e64 s2, v6, v8
	v_lshrrev_b32_e32 v9, 3, v0
	s_or_b32 vcc_lo, vcc_lo, s2
	v_cndmask_b32_e32 v6, v6, v8, vcc_lo
	ds_store_b32 v9, v6
.LBB31_21:
	s_or_b32 exec_lo, exec_lo, s3
	s_wait_dscnt 0x0
	s_barrier_signal -1
	s_barrier_wait -1
	s_load_b32 s2, s[0:1], 0xd4c
	v_mov_b32_e32 v6, 0xff7fffff
	s_wait_kmcnt 0x0
	s_bfe_u32 s2, s2, 0xb0005
	s_delay_alu instid0(SALU_CYCLE_1)
	v_cmp_gt_u32_e32 vcc_lo, s2, v0
	s_and_saveexec_b32 s2, vcc_lo
; %bb.22:
	v_lshlrev_b32_e32 v6, 2, v7
	ds_load_b32 v6, v6
; %bb.23:
	s_or_b32 exec_lo, exec_lo, s2
	s_delay_alu instid0(SALU_CYCLE_1)
	s_mov_b32 s3, exec_lo
	v_cmpx_gt_u32_e32 32, v0
	s_cbranch_execz .LBB31_25
; %bb.24:
	s_wait_dscnt 0x0
	ds_bpermute_b32 v1, v1, v6
	s_wait_dscnt 0x0
	v_cmp_u_f32_e32 vcc_lo, v1, v1
	v_cmp_lt_f32_e64 s2, v6, v1
	s_or_b32 vcc_lo, vcc_lo, s2
	v_cndmask_b32_e32 v1, v6, v1, vcc_lo
	ds_bpermute_b32 v2, v2, v1
	s_wait_dscnt 0x0
	v_cmp_u_f32_e32 vcc_lo, v2, v2
	v_cmp_lt_f32_e64 s2, v1, v2
	s_or_b32 vcc_lo, vcc_lo, s2
	v_cndmask_b32_e32 v1, v1, v2, vcc_lo
	;; [unrolled: 6-line block ×5, first 2 shown]
.LBB31_25:
	s_or_b32 exec_lo, exec_lo, s3
	s_delay_alu instid0(SALU_CYCLE_1)
	s_mov_b32 s2, exec_lo
	v_cmpx_eq_u32_e32 0, v0
	s_cbranch_execz .LBB31_27
; %bb.26:
	s_clause 0x1
	s_load_b32 s2, s[0:1], 0xd20
	s_load_b96 s[8:10], s[0:1], 0xd30
	v_and_b32_e32 v0, 0xff, v15
	s_wait_kmcnt 0x0
	s_delay_alu instid0(VALU_DEP_1) | instskip(NEXT) | instid1(VALU_DEP_1)
	v_add_nc_u32_e32 v0, s2, v0
	v_mul_lo_u32 v0, v0, s10
	s_delay_alu instid0(VALU_DEP_1)
	v_add_nc_u32_e32 v0, s6, v0
	s_wait_dscnt 0x0
	global_store_b32 v0, v6, s[8:9] scale_offset
.LBB31_27:
	s_endpgm
.LBB31_28:
	v_mov_b32_e32 v2, 0
	s_delay_alu instid0(VALU_DEP_1)
	v_dual_mov_b32 v3, v2 :: v_dual_mov_b32 v4, v2
	v_mov_b32_e32 v5, v2
	s_and_not1_b32 vcc_lo, exec_lo, s3
	s_cbranch_vccz .LBB31_14
	s_branch .LBB31_19
	.section	.rodata,"a",@progbits
	.p2align	6, 0x0
	.amdhsa_kernel _ZN2at6native12_GLOBAL__N_125multi_tensor_apply_kernelINS1_18TensorListMetadataILi1EEENS0_13LpNormFunctorIdLNS0_8NormTypeE3EfLi1ELi1ELi0EEEJPfiEEEvT_T0_DpT1_
		.amdhsa_group_segment_fixed_size 2048
		.amdhsa_private_segment_fixed_size 0
		.amdhsa_kernarg_size 3648
		.amdhsa_user_sgpr_count 2
		.amdhsa_user_sgpr_dispatch_ptr 0
		.amdhsa_user_sgpr_queue_ptr 0
		.amdhsa_user_sgpr_kernarg_segment_ptr 1
		.amdhsa_user_sgpr_dispatch_id 0
		.amdhsa_user_sgpr_kernarg_preload_length 0
		.amdhsa_user_sgpr_kernarg_preload_offset 0
		.amdhsa_user_sgpr_private_segment_size 0
		.amdhsa_wavefront_size32 1
		.amdhsa_uses_dynamic_stack 0
		.amdhsa_enable_private_segment 0
		.amdhsa_system_sgpr_workgroup_id_x 1
		.amdhsa_system_sgpr_workgroup_id_y 0
		.amdhsa_system_sgpr_workgroup_id_z 0
		.amdhsa_system_sgpr_workgroup_info 0
		.amdhsa_system_vgpr_workitem_id 0
		.amdhsa_next_free_vgpr 24
		.amdhsa_next_free_sgpr 17
		.amdhsa_named_barrier_count 0
		.amdhsa_reserve_vcc 1
		.amdhsa_float_round_mode_32 0
		.amdhsa_float_round_mode_16_64 0
		.amdhsa_float_denorm_mode_32 3
		.amdhsa_float_denorm_mode_16_64 3
		.amdhsa_fp16_overflow 0
		.amdhsa_memory_ordered 1
		.amdhsa_forward_progress 1
		.amdhsa_inst_pref_size 15
		.amdhsa_round_robin_scheduling 0
		.amdhsa_exception_fp_ieee_invalid_op 0
		.amdhsa_exception_fp_denorm_src 0
		.amdhsa_exception_fp_ieee_div_zero 0
		.amdhsa_exception_fp_ieee_overflow 0
		.amdhsa_exception_fp_ieee_underflow 0
		.amdhsa_exception_fp_ieee_inexact 0
		.amdhsa_exception_int_div_zero 0
	.end_amdhsa_kernel
	.section	.text._ZN2at6native12_GLOBAL__N_125multi_tensor_apply_kernelINS1_18TensorListMetadataILi1EEENS0_13LpNormFunctorIdLNS0_8NormTypeE3EfLi1ELi1ELi0EEEJPfiEEEvT_T0_DpT1_,"axG",@progbits,_ZN2at6native12_GLOBAL__N_125multi_tensor_apply_kernelINS1_18TensorListMetadataILi1EEENS0_13LpNormFunctorIdLNS0_8NormTypeE3EfLi1ELi1ELi0EEEJPfiEEEvT_T0_DpT1_,comdat
.Lfunc_end31:
	.size	_ZN2at6native12_GLOBAL__N_125multi_tensor_apply_kernelINS1_18TensorListMetadataILi1EEENS0_13LpNormFunctorIdLNS0_8NormTypeE3EfLi1ELi1ELi0EEEJPfiEEEvT_T0_DpT1_, .Lfunc_end31-_ZN2at6native12_GLOBAL__N_125multi_tensor_apply_kernelINS1_18TensorListMetadataILi1EEENS0_13LpNormFunctorIdLNS0_8NormTypeE3EfLi1ELi1ELi0EEEJPfiEEEvT_T0_DpT1_
                                        ; -- End function
	.set _ZN2at6native12_GLOBAL__N_125multi_tensor_apply_kernelINS1_18TensorListMetadataILi1EEENS0_13LpNormFunctorIdLNS0_8NormTypeE3EfLi1ELi1ELi0EEEJPfiEEEvT_T0_DpT1_.num_vgpr, 24
	.set _ZN2at6native12_GLOBAL__N_125multi_tensor_apply_kernelINS1_18TensorListMetadataILi1EEENS0_13LpNormFunctorIdLNS0_8NormTypeE3EfLi1ELi1ELi0EEEJPfiEEEvT_T0_DpT1_.num_agpr, 0
	.set _ZN2at6native12_GLOBAL__N_125multi_tensor_apply_kernelINS1_18TensorListMetadataILi1EEENS0_13LpNormFunctorIdLNS0_8NormTypeE3EfLi1ELi1ELi0EEEJPfiEEEvT_T0_DpT1_.numbered_sgpr, 17
	.set _ZN2at6native12_GLOBAL__N_125multi_tensor_apply_kernelINS1_18TensorListMetadataILi1EEENS0_13LpNormFunctorIdLNS0_8NormTypeE3EfLi1ELi1ELi0EEEJPfiEEEvT_T0_DpT1_.num_named_barrier, 0
	.set _ZN2at6native12_GLOBAL__N_125multi_tensor_apply_kernelINS1_18TensorListMetadataILi1EEENS0_13LpNormFunctorIdLNS0_8NormTypeE3EfLi1ELi1ELi0EEEJPfiEEEvT_T0_DpT1_.private_seg_size, 0
	.set _ZN2at6native12_GLOBAL__N_125multi_tensor_apply_kernelINS1_18TensorListMetadataILi1EEENS0_13LpNormFunctorIdLNS0_8NormTypeE3EfLi1ELi1ELi0EEEJPfiEEEvT_T0_DpT1_.uses_vcc, 1
	.set _ZN2at6native12_GLOBAL__N_125multi_tensor_apply_kernelINS1_18TensorListMetadataILi1EEENS0_13LpNormFunctorIdLNS0_8NormTypeE3EfLi1ELi1ELi0EEEJPfiEEEvT_T0_DpT1_.uses_flat_scratch, 0
	.set _ZN2at6native12_GLOBAL__N_125multi_tensor_apply_kernelINS1_18TensorListMetadataILi1EEENS0_13LpNormFunctorIdLNS0_8NormTypeE3EfLi1ELi1ELi0EEEJPfiEEEvT_T0_DpT1_.has_dyn_sized_stack, 0
	.set _ZN2at6native12_GLOBAL__N_125multi_tensor_apply_kernelINS1_18TensorListMetadataILi1EEENS0_13LpNormFunctorIdLNS0_8NormTypeE3EfLi1ELi1ELi0EEEJPfiEEEvT_T0_DpT1_.has_recursion, 0
	.set _ZN2at6native12_GLOBAL__N_125multi_tensor_apply_kernelINS1_18TensorListMetadataILi1EEENS0_13LpNormFunctorIdLNS0_8NormTypeE3EfLi1ELi1ELi0EEEJPfiEEEvT_T0_DpT1_.has_indirect_call, 0
	.section	.AMDGPU.csdata,"",@progbits
; Kernel info:
; codeLenInByte = 1828
; TotalNumSgprs: 19
; NumVgprs: 24
; ScratchSize: 0
; MemoryBound: 0
; FloatMode: 240
; IeeeMode: 1
; LDSByteSize: 2048 bytes/workgroup (compile time only)
; SGPRBlocks: 0
; VGPRBlocks: 1
; NumSGPRsForWavesPerEU: 19
; NumVGPRsForWavesPerEU: 24
; NamedBarCnt: 0
; Occupancy: 16
; WaveLimiterHint : 0
; COMPUTE_PGM_RSRC2:SCRATCH_EN: 0
; COMPUTE_PGM_RSRC2:USER_SGPR: 2
; COMPUTE_PGM_RSRC2:TRAP_HANDLER: 0
; COMPUTE_PGM_RSRC2:TGID_X_EN: 1
; COMPUTE_PGM_RSRC2:TGID_Y_EN: 0
; COMPUTE_PGM_RSRC2:TGID_Z_EN: 0
; COMPUTE_PGM_RSRC2:TIDIG_COMP_CNT: 0
	.section	.text._ZN2at6native14lpnorm_cleanupIdLNS0_8NormTypeE0EfLb1EfEEvPKT3_NS0_19TensorListAddressesEi,"axG",@progbits,_ZN2at6native14lpnorm_cleanupIdLNS0_8NormTypeE0EfLb1EfEEvPKT3_NS0_19TensorListAddressesEi,comdat
	.protected	_ZN2at6native14lpnorm_cleanupIdLNS0_8NormTypeE0EfLb1EfEEvPKT3_NS0_19TensorListAddressesEi ; -- Begin function _ZN2at6native14lpnorm_cleanupIdLNS0_8NormTypeE0EfLb1EfEEvPKT3_NS0_19TensorListAddressesEi
	.globl	_ZN2at6native14lpnorm_cleanupIdLNS0_8NormTypeE0EfLb1EfEEvPKT3_NS0_19TensorListAddressesEi
	.p2align	8
	.type	_ZN2at6native14lpnorm_cleanupIdLNS0_8NormTypeE0EfLb1EfEEvPKT3_NS0_19TensorListAddressesEi,@function
_ZN2at6native14lpnorm_cleanupIdLNS0_8NormTypeE0EfLb1EfEEvPKT3_NS0_19TensorListAddressesEi: ; @_ZN2at6native14lpnorm_cleanupIdLNS0_8NormTypeE0EfLb1EfEEvPKT3_NS0_19TensorListAddressesEi
; %bb.0:
	s_load_b32 s2, s[0:1], 0xc88
	s_bfe_u32 s3, ttmp6, 0x4000c
	s_and_b32 s4, ttmp6, 15
	s_add_co_i32 s3, s3, 1
	s_getreg_b32 s5, hwreg(HW_REG_IB_STS2, 6, 4)
	s_mul_i32 s3, ttmp9, s3
	v_mov_b32_e32 v1, 0
	s_add_co_i32 s4, s4, s3
	s_cmp_eq_u32 s5, 0
	s_mov_b32 s5, 0
	s_cselect_b32 s8, ttmp9, s4
	s_mov_b32 s9, exec_lo
	s_wait_kmcnt 0x0
	v_cmpx_gt_u32_e64 s2, v0
	s_cbranch_execz .LBB32_4
; %bb.1:
	s_clause 0x1
	s_load_b64 s[6:7], s[0:1], 0x0
	s_load_b32 s4, s[0:1], 0xc9c
	v_dual_mov_b32 v1, 0 :: v_dual_lshlrev_b32 v2, 2, v0
	s_mul_i32 s10, s2, s8
	s_mov_b32 s11, s5
	s_ashr_i32 s3, s2, 31
	s_delay_alu instid0(VALU_DEP_1)
	v_mov_b32_e32 v3, v1
	s_lshl_b64 s[10:11], s[10:11], 2
	v_mov_b64_e32 v[4:5], v[0:1]
	s_wait_kmcnt 0x0
	s_add_nc_u64 s[6:7], s[6:7], s[10:11]
	s_and_b32 s4, s4, 0xffff
	v_add_nc_u64_e32 v[2:3], s[6:7], v[2:3]
	s_lshl_b32 s6, s4, 2
	s_mov_b32 s7, s5
	s_mov_b32 s10, s5
.LBB32_2:                               ; =>This Inner Loop Header: Depth=1
	global_load_b32 v6, v[2:3], off
	v_add_nc_u64_e32 v[4:5], s[4:5], v[4:5]
	s_wait_xcnt 0x0
	v_add_nc_u64_e32 v[2:3], s[6:7], v[2:3]
	s_delay_alu instid0(VALU_DEP_2)
	v_cmp_le_u64_e32 vcc_lo, s[2:3], v[4:5]
	s_or_b32 s10, vcc_lo, s10
	s_wait_loadcnt 0x0
	v_add_f32_e32 v1, v1, v6
	s_and_not1_b32 exec_lo, exec_lo, s10
	s_cbranch_execnz .LBB32_2
; %bb.3:
	s_or_b32 exec_lo, exec_lo, s10
.LBB32_4:
	s_delay_alu instid0(SALU_CYCLE_1) | instskip(SKIP_4) | instid1(VALU_DEP_1)
	s_or_b32 exec_lo, exec_lo, s9
	v_mbcnt_lo_u32_b32 v5, -1, 0
	s_mov_b32 s2, exec_lo
	s_barrier_signal -1
	s_barrier_wait -1
	v_lshl_or_b32 v2, v5, 2, 64
	v_cmp_gt_u32_e32 vcc_lo, 24, v5
	ds_bpermute_b32 v4, v2, v1
	v_cndmask_b32_e64 v3, 0, 8, vcc_lo
	v_cmp_gt_u32_e32 vcc_lo, 28, v5
	s_delay_alu instid0(VALU_DEP_2)
	v_add_lshl_u32 v3, v3, v5, 2
	s_wait_dscnt 0x0
	v_add_f32_e32 v4, v1, v4
	v_cndmask_b32_e64 v1, 0, 4, vcc_lo
	v_cmp_gt_u32_e32 vcc_lo, 30, v5
	ds_bpermute_b32 v6, v3, v4
	v_add_lshl_u32 v1, v1, v5, 2
	s_wait_dscnt 0x0
	v_add_f32_e32 v6, v4, v6
	v_cndmask_b32_e64 v4, 0, 2, vcc_lo
	v_cmp_ne_u32_e32 vcc_lo, 31, v5
	s_delay_alu instid0(VALU_DEP_2) | instskip(SKIP_1) | instid1(VALU_DEP_1)
	v_add_lshl_u32 v4, v4, v5, 2
	v_add_co_ci_u32_e64 v5, null, 0, v5, vcc_lo
	v_lshlrev_b32_e32 v5, 2, v5
	ds_bpermute_b32 v7, v1, v6
	s_wait_dscnt 0x0
	v_add_f32_e32 v6, v6, v7
	ds_bpermute_b32 v7, v4, v6
	s_wait_dscnt 0x0
	v_dual_add_f32 v7, v6, v7 :: v_dual_bitop2_b32 v6, 31, v0 bitop3:0x40
	ds_bpermute_b32 v8, v5, v7
	v_cmpx_eq_u32_e32 0, v6
	s_cbranch_execz .LBB32_6
; %bb.5:
	s_wait_dscnt 0x0
	v_add_f32_e32 v7, v7, v8
	v_lshrrev_b32_e32 v8, 3, v0
	ds_store_b32 v8, v7
.LBB32_6:
	s_or_b32 exec_lo, exec_lo, s2
	s_wait_dscnt 0x0
	s_barrier_signal -1
	s_barrier_wait -1
	s_load_b32 s2, s[0:1], 0xc9c
	v_mov_b32_e32 v7, 0
	s_wait_kmcnt 0x0
	s_bfe_u32 s2, s2, 0xb0005
	s_delay_alu instid0(SALU_CYCLE_1)
	v_cmp_gt_u32_e32 vcc_lo, s2, v0
	s_and_saveexec_b32 s2, vcc_lo
; %bb.7:
	v_lshlrev_b32_e32 v6, 2, v6
	ds_load_b32 v7, v6
; %bb.8:
	s_or_b32 exec_lo, exec_lo, s2
	s_delay_alu instid0(SALU_CYCLE_1)
	s_mov_b32 s2, exec_lo
	v_cmpx_gt_u32_e32 32, v0
	s_cbranch_execz .LBB32_10
; %bb.9:
	s_wait_dscnt 0x0
	ds_bpermute_b32 v2, v2, v7
	s_wait_dscnt 0x0
	v_add_f32_e32 v2, v7, v2
	ds_bpermute_b32 v3, v3, v2
	s_wait_dscnt 0x0
	v_add_f32_e32 v2, v2, v3
	;; [unrolled: 3-line block ×5, first 2 shown]
.LBB32_10:
	s_or_b32 exec_lo, exec_lo, s2
	s_delay_alu instid0(SALU_CYCLE_1)
	s_mov_b32 s2, exec_lo
	v_cmpx_eq_u32_e32 0, v0
	s_cbranch_execz .LBB32_12
; %bb.11:
	s_load_b64 s[0:1], s[0:1], s8 offset:0x8 scale_offset
	v_mov_b32_e32 v0, 0
	s_wait_dscnt 0x0
	s_wait_kmcnt 0x0
	global_store_b32 v0, v7, s[0:1]
.LBB32_12:
	s_endpgm
	.section	.rodata,"a",@progbits
	.p2align	6, 0x0
	.amdhsa_kernel _ZN2at6native14lpnorm_cleanupIdLNS0_8NormTypeE0EfLb1EfEEvPKT3_NS0_19TensorListAddressesEi
		.amdhsa_group_segment_fixed_size 2048
		.amdhsa_private_segment_fixed_size 0
		.amdhsa_kernarg_size 3472
		.amdhsa_user_sgpr_count 2
		.amdhsa_user_sgpr_dispatch_ptr 0
		.amdhsa_user_sgpr_queue_ptr 0
		.amdhsa_user_sgpr_kernarg_segment_ptr 1
		.amdhsa_user_sgpr_dispatch_id 0
		.amdhsa_user_sgpr_kernarg_preload_length 0
		.amdhsa_user_sgpr_kernarg_preload_offset 0
		.amdhsa_user_sgpr_private_segment_size 0
		.amdhsa_wavefront_size32 1
		.amdhsa_uses_dynamic_stack 0
		.amdhsa_enable_private_segment 0
		.amdhsa_system_sgpr_workgroup_id_x 1
		.amdhsa_system_sgpr_workgroup_id_y 0
		.amdhsa_system_sgpr_workgroup_id_z 0
		.amdhsa_system_sgpr_workgroup_info 0
		.amdhsa_system_vgpr_workitem_id 0
		.amdhsa_next_free_vgpr 9
		.amdhsa_next_free_sgpr 12
		.amdhsa_named_barrier_count 0
		.amdhsa_reserve_vcc 1
		.amdhsa_float_round_mode_32 0
		.amdhsa_float_round_mode_16_64 0
		.amdhsa_float_denorm_mode_32 3
		.amdhsa_float_denorm_mode_16_64 3
		.amdhsa_fp16_overflow 0
		.amdhsa_memory_ordered 1
		.amdhsa_forward_progress 1
		.amdhsa_inst_pref_size 6
		.amdhsa_round_robin_scheduling 0
		.amdhsa_exception_fp_ieee_invalid_op 0
		.amdhsa_exception_fp_denorm_src 0
		.amdhsa_exception_fp_ieee_div_zero 0
		.amdhsa_exception_fp_ieee_overflow 0
		.amdhsa_exception_fp_ieee_underflow 0
		.amdhsa_exception_fp_ieee_inexact 0
		.amdhsa_exception_int_div_zero 0
	.end_amdhsa_kernel
	.section	.text._ZN2at6native14lpnorm_cleanupIdLNS0_8NormTypeE0EfLb1EfEEvPKT3_NS0_19TensorListAddressesEi,"axG",@progbits,_ZN2at6native14lpnorm_cleanupIdLNS0_8NormTypeE0EfLb1EfEEvPKT3_NS0_19TensorListAddressesEi,comdat
.Lfunc_end32:
	.size	_ZN2at6native14lpnorm_cleanupIdLNS0_8NormTypeE0EfLb1EfEEvPKT3_NS0_19TensorListAddressesEi, .Lfunc_end32-_ZN2at6native14lpnorm_cleanupIdLNS0_8NormTypeE0EfLb1EfEEvPKT3_NS0_19TensorListAddressesEi
                                        ; -- End function
	.set _ZN2at6native14lpnorm_cleanupIdLNS0_8NormTypeE0EfLb1EfEEvPKT3_NS0_19TensorListAddressesEi.num_vgpr, 9
	.set _ZN2at6native14lpnorm_cleanupIdLNS0_8NormTypeE0EfLb1EfEEvPKT3_NS0_19TensorListAddressesEi.num_agpr, 0
	.set _ZN2at6native14lpnorm_cleanupIdLNS0_8NormTypeE0EfLb1EfEEvPKT3_NS0_19TensorListAddressesEi.numbered_sgpr, 12
	.set _ZN2at6native14lpnorm_cleanupIdLNS0_8NormTypeE0EfLb1EfEEvPKT3_NS0_19TensorListAddressesEi.num_named_barrier, 0
	.set _ZN2at6native14lpnorm_cleanupIdLNS0_8NormTypeE0EfLb1EfEEvPKT3_NS0_19TensorListAddressesEi.private_seg_size, 0
	.set _ZN2at6native14lpnorm_cleanupIdLNS0_8NormTypeE0EfLb1EfEEvPKT3_NS0_19TensorListAddressesEi.uses_vcc, 1
	.set _ZN2at6native14lpnorm_cleanupIdLNS0_8NormTypeE0EfLb1EfEEvPKT3_NS0_19TensorListAddressesEi.uses_flat_scratch, 0
	.set _ZN2at6native14lpnorm_cleanupIdLNS0_8NormTypeE0EfLb1EfEEvPKT3_NS0_19TensorListAddressesEi.has_dyn_sized_stack, 0
	.set _ZN2at6native14lpnorm_cleanupIdLNS0_8NormTypeE0EfLb1EfEEvPKT3_NS0_19TensorListAddressesEi.has_recursion, 0
	.set _ZN2at6native14lpnorm_cleanupIdLNS0_8NormTypeE0EfLb1EfEEvPKT3_NS0_19TensorListAddressesEi.has_indirect_call, 0
	.section	.AMDGPU.csdata,"",@progbits
; Kernel info:
; codeLenInByte = 668
; TotalNumSgprs: 14
; NumVgprs: 9
; ScratchSize: 0
; MemoryBound: 0
; FloatMode: 240
; IeeeMode: 1
; LDSByteSize: 2048 bytes/workgroup (compile time only)
; SGPRBlocks: 0
; VGPRBlocks: 0
; NumSGPRsForWavesPerEU: 14
; NumVGPRsForWavesPerEU: 9
; NamedBarCnt: 0
; Occupancy: 16
; WaveLimiterHint : 0
; COMPUTE_PGM_RSRC2:SCRATCH_EN: 0
; COMPUTE_PGM_RSRC2:USER_SGPR: 2
; COMPUTE_PGM_RSRC2:TRAP_HANDLER: 0
; COMPUTE_PGM_RSRC2:TGID_X_EN: 1
; COMPUTE_PGM_RSRC2:TGID_Y_EN: 0
; COMPUTE_PGM_RSRC2:TGID_Z_EN: 0
; COMPUTE_PGM_RSRC2:TIDIG_COMP_CNT: 0
	.section	.text._ZN2at6native14lpnorm_cleanupIdLNS0_8NormTypeE1EfLb1EfEEvPKT3_NS0_19TensorListAddressesEi,"axG",@progbits,_ZN2at6native14lpnorm_cleanupIdLNS0_8NormTypeE1EfLb1EfEEvPKT3_NS0_19TensorListAddressesEi,comdat
	.protected	_ZN2at6native14lpnorm_cleanupIdLNS0_8NormTypeE1EfLb1EfEEvPKT3_NS0_19TensorListAddressesEi ; -- Begin function _ZN2at6native14lpnorm_cleanupIdLNS0_8NormTypeE1EfLb1EfEEvPKT3_NS0_19TensorListAddressesEi
	.globl	_ZN2at6native14lpnorm_cleanupIdLNS0_8NormTypeE1EfLb1EfEEvPKT3_NS0_19TensorListAddressesEi
	.p2align	8
	.type	_ZN2at6native14lpnorm_cleanupIdLNS0_8NormTypeE1EfLb1EfEEvPKT3_NS0_19TensorListAddressesEi,@function
_ZN2at6native14lpnorm_cleanupIdLNS0_8NormTypeE1EfLb1EfEEvPKT3_NS0_19TensorListAddressesEi: ; @_ZN2at6native14lpnorm_cleanupIdLNS0_8NormTypeE1EfLb1EfEEvPKT3_NS0_19TensorListAddressesEi
; %bb.0:
	s_load_b32 s2, s[0:1], 0xc88
	s_bfe_u32 s3, ttmp6, 0x4000c
	s_and_b32 s4, ttmp6, 15
	s_add_co_i32 s3, s3, 1
	s_getreg_b32 s5, hwreg(HW_REG_IB_STS2, 6, 4)
	s_mul_i32 s3, ttmp9, s3
	v_mov_b32_e32 v1, 0
	s_add_co_i32 s4, s4, s3
	s_cmp_eq_u32 s5, 0
	s_mov_b32 s5, 0
	s_cselect_b32 s8, ttmp9, s4
	s_mov_b32 s9, exec_lo
	s_wait_kmcnt 0x0
	v_cmpx_gt_u32_e64 s2, v0
	s_cbranch_execz .LBB33_4
; %bb.1:
	s_clause 0x1
	s_load_b64 s[6:7], s[0:1], 0x0
	s_load_b32 s4, s[0:1], 0xc9c
	v_dual_mov_b32 v1, 0 :: v_dual_lshlrev_b32 v2, 2, v0
	s_mul_i32 s10, s2, s8
	s_mov_b32 s11, s5
	s_ashr_i32 s3, s2, 31
	s_delay_alu instid0(VALU_DEP_1)
	v_mov_b32_e32 v3, v1
	s_lshl_b64 s[10:11], s[10:11], 2
	v_mov_b64_e32 v[4:5], v[0:1]
	s_wait_kmcnt 0x0
	s_add_nc_u64 s[6:7], s[6:7], s[10:11]
	s_and_b32 s4, s4, 0xffff
	v_add_nc_u64_e32 v[2:3], s[6:7], v[2:3]
	s_lshl_b32 s6, s4, 2
	s_mov_b32 s7, s5
	s_mov_b32 s10, s5
.LBB33_2:                               ; =>This Inner Loop Header: Depth=1
	global_load_b32 v6, v[2:3], off
	v_add_nc_u64_e32 v[4:5], s[4:5], v[4:5]
	s_wait_xcnt 0x0
	v_add_nc_u64_e32 v[2:3], s[6:7], v[2:3]
	s_delay_alu instid0(VALU_DEP_2)
	v_cmp_le_u64_e32 vcc_lo, s[2:3], v[4:5]
	s_or_b32 s10, vcc_lo, s10
	s_wait_loadcnt 0x0
	v_add_f32_e32 v1, v1, v6
	s_and_not1_b32 exec_lo, exec_lo, s10
	s_cbranch_execnz .LBB33_2
; %bb.3:
	s_or_b32 exec_lo, exec_lo, s10
.LBB33_4:
	s_delay_alu instid0(SALU_CYCLE_1) | instskip(SKIP_4) | instid1(VALU_DEP_1)
	s_or_b32 exec_lo, exec_lo, s9
	v_mbcnt_lo_u32_b32 v5, -1, 0
	s_mov_b32 s2, exec_lo
	s_barrier_signal -1
	s_barrier_wait -1
	v_lshl_or_b32 v2, v5, 2, 64
	v_cmp_gt_u32_e32 vcc_lo, 24, v5
	ds_bpermute_b32 v4, v2, v1
	v_cndmask_b32_e64 v3, 0, 8, vcc_lo
	v_cmp_gt_u32_e32 vcc_lo, 28, v5
	s_delay_alu instid0(VALU_DEP_2)
	v_add_lshl_u32 v3, v3, v5, 2
	s_wait_dscnt 0x0
	v_add_f32_e32 v4, v1, v4
	v_cndmask_b32_e64 v1, 0, 4, vcc_lo
	v_cmp_gt_u32_e32 vcc_lo, 30, v5
	ds_bpermute_b32 v6, v3, v4
	v_add_lshl_u32 v1, v1, v5, 2
	s_wait_dscnt 0x0
	v_add_f32_e32 v6, v4, v6
	v_cndmask_b32_e64 v4, 0, 2, vcc_lo
	v_cmp_ne_u32_e32 vcc_lo, 31, v5
	s_delay_alu instid0(VALU_DEP_2) | instskip(SKIP_1) | instid1(VALU_DEP_1)
	v_add_lshl_u32 v4, v4, v5, 2
	v_add_co_ci_u32_e64 v5, null, 0, v5, vcc_lo
	v_lshlrev_b32_e32 v5, 2, v5
	ds_bpermute_b32 v7, v1, v6
	s_wait_dscnt 0x0
	v_add_f32_e32 v6, v6, v7
	ds_bpermute_b32 v7, v4, v6
	s_wait_dscnt 0x0
	v_dual_add_f32 v7, v6, v7 :: v_dual_bitop2_b32 v6, 31, v0 bitop3:0x40
	ds_bpermute_b32 v8, v5, v7
	v_cmpx_eq_u32_e32 0, v6
	s_cbranch_execz .LBB33_6
; %bb.5:
	s_wait_dscnt 0x0
	v_add_f32_e32 v7, v7, v8
	v_lshrrev_b32_e32 v8, 3, v0
	ds_store_b32 v8, v7
.LBB33_6:
	s_or_b32 exec_lo, exec_lo, s2
	s_wait_dscnt 0x0
	s_barrier_signal -1
	s_barrier_wait -1
	s_load_b32 s2, s[0:1], 0xc9c
	v_mov_b32_e32 v7, 0
	s_wait_kmcnt 0x0
	s_bfe_u32 s2, s2, 0xb0005
	s_delay_alu instid0(SALU_CYCLE_1)
	v_cmp_gt_u32_e32 vcc_lo, s2, v0
	s_and_saveexec_b32 s2, vcc_lo
; %bb.7:
	v_lshlrev_b32_e32 v6, 2, v6
	ds_load_b32 v7, v6
; %bb.8:
	s_or_b32 exec_lo, exec_lo, s2
	s_delay_alu instid0(SALU_CYCLE_1)
	s_mov_b32 s2, exec_lo
	v_cmpx_gt_u32_e32 32, v0
	s_cbranch_execz .LBB33_10
; %bb.9:
	s_wait_dscnt 0x0
	ds_bpermute_b32 v2, v2, v7
	s_wait_dscnt 0x0
	v_add_f32_e32 v2, v7, v2
	ds_bpermute_b32 v3, v3, v2
	s_wait_dscnt 0x0
	v_add_f32_e32 v2, v2, v3
	;; [unrolled: 3-line block ×5, first 2 shown]
.LBB33_10:
	s_or_b32 exec_lo, exec_lo, s2
	s_delay_alu instid0(SALU_CYCLE_1)
	s_mov_b32 s2, exec_lo
	v_cmpx_eq_u32_e32 0, v0
	s_cbranch_execz .LBB33_12
; %bb.11:
	s_load_b64 s[0:1], s[0:1], s8 offset:0x8 scale_offset
	v_mov_b32_e32 v0, 0
	s_wait_dscnt 0x0
	s_wait_kmcnt 0x0
	global_store_b32 v0, v7, s[0:1]
.LBB33_12:
	s_endpgm
	.section	.rodata,"a",@progbits
	.p2align	6, 0x0
	.amdhsa_kernel _ZN2at6native14lpnorm_cleanupIdLNS0_8NormTypeE1EfLb1EfEEvPKT3_NS0_19TensorListAddressesEi
		.amdhsa_group_segment_fixed_size 2048
		.amdhsa_private_segment_fixed_size 0
		.amdhsa_kernarg_size 3472
		.amdhsa_user_sgpr_count 2
		.amdhsa_user_sgpr_dispatch_ptr 0
		.amdhsa_user_sgpr_queue_ptr 0
		.amdhsa_user_sgpr_kernarg_segment_ptr 1
		.amdhsa_user_sgpr_dispatch_id 0
		.amdhsa_user_sgpr_kernarg_preload_length 0
		.amdhsa_user_sgpr_kernarg_preload_offset 0
		.amdhsa_user_sgpr_private_segment_size 0
		.amdhsa_wavefront_size32 1
		.amdhsa_uses_dynamic_stack 0
		.amdhsa_enable_private_segment 0
		.amdhsa_system_sgpr_workgroup_id_x 1
		.amdhsa_system_sgpr_workgroup_id_y 0
		.amdhsa_system_sgpr_workgroup_id_z 0
		.amdhsa_system_sgpr_workgroup_info 0
		.amdhsa_system_vgpr_workitem_id 0
		.amdhsa_next_free_vgpr 9
		.amdhsa_next_free_sgpr 12
		.amdhsa_named_barrier_count 0
		.amdhsa_reserve_vcc 1
		.amdhsa_float_round_mode_32 0
		.amdhsa_float_round_mode_16_64 0
		.amdhsa_float_denorm_mode_32 3
		.amdhsa_float_denorm_mode_16_64 3
		.amdhsa_fp16_overflow 0
		.amdhsa_memory_ordered 1
		.amdhsa_forward_progress 1
		.amdhsa_inst_pref_size 6
		.amdhsa_round_robin_scheduling 0
		.amdhsa_exception_fp_ieee_invalid_op 0
		.amdhsa_exception_fp_denorm_src 0
		.amdhsa_exception_fp_ieee_div_zero 0
		.amdhsa_exception_fp_ieee_overflow 0
		.amdhsa_exception_fp_ieee_underflow 0
		.amdhsa_exception_fp_ieee_inexact 0
		.amdhsa_exception_int_div_zero 0
	.end_amdhsa_kernel
	.section	.text._ZN2at6native14lpnorm_cleanupIdLNS0_8NormTypeE1EfLb1EfEEvPKT3_NS0_19TensorListAddressesEi,"axG",@progbits,_ZN2at6native14lpnorm_cleanupIdLNS0_8NormTypeE1EfLb1EfEEvPKT3_NS0_19TensorListAddressesEi,comdat
.Lfunc_end33:
	.size	_ZN2at6native14lpnorm_cleanupIdLNS0_8NormTypeE1EfLb1EfEEvPKT3_NS0_19TensorListAddressesEi, .Lfunc_end33-_ZN2at6native14lpnorm_cleanupIdLNS0_8NormTypeE1EfLb1EfEEvPKT3_NS0_19TensorListAddressesEi
                                        ; -- End function
	.set _ZN2at6native14lpnorm_cleanupIdLNS0_8NormTypeE1EfLb1EfEEvPKT3_NS0_19TensorListAddressesEi.num_vgpr, 9
	.set _ZN2at6native14lpnorm_cleanupIdLNS0_8NormTypeE1EfLb1EfEEvPKT3_NS0_19TensorListAddressesEi.num_agpr, 0
	.set _ZN2at6native14lpnorm_cleanupIdLNS0_8NormTypeE1EfLb1EfEEvPKT3_NS0_19TensorListAddressesEi.numbered_sgpr, 12
	.set _ZN2at6native14lpnorm_cleanupIdLNS0_8NormTypeE1EfLb1EfEEvPKT3_NS0_19TensorListAddressesEi.num_named_barrier, 0
	.set _ZN2at6native14lpnorm_cleanupIdLNS0_8NormTypeE1EfLb1EfEEvPKT3_NS0_19TensorListAddressesEi.private_seg_size, 0
	.set _ZN2at6native14lpnorm_cleanupIdLNS0_8NormTypeE1EfLb1EfEEvPKT3_NS0_19TensorListAddressesEi.uses_vcc, 1
	.set _ZN2at6native14lpnorm_cleanupIdLNS0_8NormTypeE1EfLb1EfEEvPKT3_NS0_19TensorListAddressesEi.uses_flat_scratch, 0
	.set _ZN2at6native14lpnorm_cleanupIdLNS0_8NormTypeE1EfLb1EfEEvPKT3_NS0_19TensorListAddressesEi.has_dyn_sized_stack, 0
	.set _ZN2at6native14lpnorm_cleanupIdLNS0_8NormTypeE1EfLb1EfEEvPKT3_NS0_19TensorListAddressesEi.has_recursion, 0
	.set _ZN2at6native14lpnorm_cleanupIdLNS0_8NormTypeE1EfLb1EfEEvPKT3_NS0_19TensorListAddressesEi.has_indirect_call, 0
	.section	.AMDGPU.csdata,"",@progbits
; Kernel info:
; codeLenInByte = 668
; TotalNumSgprs: 14
; NumVgprs: 9
; ScratchSize: 0
; MemoryBound: 0
; FloatMode: 240
; IeeeMode: 1
; LDSByteSize: 2048 bytes/workgroup (compile time only)
; SGPRBlocks: 0
; VGPRBlocks: 0
; NumSGPRsForWavesPerEU: 14
; NumVGPRsForWavesPerEU: 9
; NamedBarCnt: 0
; Occupancy: 16
; WaveLimiterHint : 0
; COMPUTE_PGM_RSRC2:SCRATCH_EN: 0
; COMPUTE_PGM_RSRC2:USER_SGPR: 2
; COMPUTE_PGM_RSRC2:TRAP_HANDLER: 0
; COMPUTE_PGM_RSRC2:TGID_X_EN: 1
; COMPUTE_PGM_RSRC2:TGID_Y_EN: 0
; COMPUTE_PGM_RSRC2:TGID_Z_EN: 0
; COMPUTE_PGM_RSRC2:TIDIG_COMP_CNT: 0
	.section	.text._ZN2at6native14lpnorm_cleanupIdLNS0_8NormTypeE2EfLb1EfEEvPKT3_NS0_19TensorListAddressesEi,"axG",@progbits,_ZN2at6native14lpnorm_cleanupIdLNS0_8NormTypeE2EfLb1EfEEvPKT3_NS0_19TensorListAddressesEi,comdat
	.protected	_ZN2at6native14lpnorm_cleanupIdLNS0_8NormTypeE2EfLb1EfEEvPKT3_NS0_19TensorListAddressesEi ; -- Begin function _ZN2at6native14lpnorm_cleanupIdLNS0_8NormTypeE2EfLb1EfEEvPKT3_NS0_19TensorListAddressesEi
	.globl	_ZN2at6native14lpnorm_cleanupIdLNS0_8NormTypeE2EfLb1EfEEvPKT3_NS0_19TensorListAddressesEi
	.p2align	8
	.type	_ZN2at6native14lpnorm_cleanupIdLNS0_8NormTypeE2EfLb1EfEEvPKT3_NS0_19TensorListAddressesEi,@function
_ZN2at6native14lpnorm_cleanupIdLNS0_8NormTypeE2EfLb1EfEEvPKT3_NS0_19TensorListAddressesEi: ; @_ZN2at6native14lpnorm_cleanupIdLNS0_8NormTypeE2EfLb1EfEEvPKT3_NS0_19TensorListAddressesEi
; %bb.0:
	s_load_b32 s2, s[0:1], 0xc88
	s_bfe_u32 s3, ttmp6, 0x4000c
	s_and_b32 s4, ttmp6, 15
	s_add_co_i32 s3, s3, 1
	s_getreg_b32 s5, hwreg(HW_REG_IB_STS2, 6, 4)
	s_mul_i32 s3, ttmp9, s3
	v_mov_b32_e32 v1, 0
	s_add_co_i32 s4, s4, s3
	s_cmp_eq_u32 s5, 0
	s_mov_b32 s5, 0
	s_cselect_b32 s8, ttmp9, s4
	s_mov_b32 s9, exec_lo
	s_wait_kmcnt 0x0
	v_cmpx_gt_u32_e64 s2, v0
	s_cbranch_execz .LBB34_4
; %bb.1:
	s_clause 0x1
	s_load_b64 s[6:7], s[0:1], 0x0
	s_load_b32 s4, s[0:1], 0xc9c
	v_dual_mov_b32 v1, 0 :: v_dual_lshlrev_b32 v2, 2, v0
	s_mul_i32 s10, s2, s8
	s_mov_b32 s11, s5
	s_ashr_i32 s3, s2, 31
	s_delay_alu instid0(VALU_DEP_1)
	v_mov_b32_e32 v3, v1
	s_lshl_b64 s[10:11], s[10:11], 2
	v_mov_b64_e32 v[4:5], v[0:1]
	s_wait_kmcnt 0x0
	s_add_nc_u64 s[6:7], s[6:7], s[10:11]
	s_and_b32 s4, s4, 0xffff
	v_add_nc_u64_e32 v[2:3], s[6:7], v[2:3]
	s_lshl_b32 s6, s4, 2
	s_mov_b32 s7, s5
	s_mov_b32 s10, s5
.LBB34_2:                               ; =>This Inner Loop Header: Depth=1
	global_load_b32 v6, v[2:3], off
	v_add_nc_u64_e32 v[4:5], s[4:5], v[4:5]
	s_wait_xcnt 0x0
	v_add_nc_u64_e32 v[2:3], s[6:7], v[2:3]
	s_delay_alu instid0(VALU_DEP_2)
	v_cmp_le_u64_e32 vcc_lo, s[2:3], v[4:5]
	s_or_b32 s10, vcc_lo, s10
	s_wait_loadcnt 0x0
	v_add_f32_e32 v1, v1, v6
	s_and_not1_b32 exec_lo, exec_lo, s10
	s_cbranch_execnz .LBB34_2
; %bb.3:
	s_or_b32 exec_lo, exec_lo, s10
.LBB34_4:
	s_delay_alu instid0(SALU_CYCLE_1) | instskip(SKIP_4) | instid1(VALU_DEP_1)
	s_or_b32 exec_lo, exec_lo, s9
	v_mbcnt_lo_u32_b32 v5, -1, 0
	s_mov_b32 s2, exec_lo
	s_barrier_signal -1
	s_barrier_wait -1
	v_lshl_or_b32 v2, v5, 2, 64
	v_cmp_gt_u32_e32 vcc_lo, 24, v5
	ds_bpermute_b32 v4, v2, v1
	v_cndmask_b32_e64 v3, 0, 8, vcc_lo
	v_cmp_gt_u32_e32 vcc_lo, 28, v5
	s_delay_alu instid0(VALU_DEP_2)
	v_add_lshl_u32 v3, v3, v5, 2
	s_wait_dscnt 0x0
	v_add_f32_e32 v4, v1, v4
	v_cndmask_b32_e64 v1, 0, 4, vcc_lo
	v_cmp_gt_u32_e32 vcc_lo, 30, v5
	ds_bpermute_b32 v6, v3, v4
	v_add_lshl_u32 v1, v1, v5, 2
	s_wait_dscnt 0x0
	v_add_f32_e32 v6, v4, v6
	v_cndmask_b32_e64 v4, 0, 2, vcc_lo
	v_cmp_ne_u32_e32 vcc_lo, 31, v5
	s_delay_alu instid0(VALU_DEP_2) | instskip(SKIP_1) | instid1(VALU_DEP_1)
	v_add_lshl_u32 v4, v4, v5, 2
	v_add_co_ci_u32_e64 v5, null, 0, v5, vcc_lo
	v_lshlrev_b32_e32 v5, 2, v5
	ds_bpermute_b32 v7, v1, v6
	s_wait_dscnt 0x0
	v_add_f32_e32 v6, v6, v7
	ds_bpermute_b32 v7, v4, v6
	s_wait_dscnt 0x0
	v_dual_add_f32 v7, v6, v7 :: v_dual_bitop2_b32 v6, 31, v0 bitop3:0x40
	ds_bpermute_b32 v8, v5, v7
	v_cmpx_eq_u32_e32 0, v6
	s_cbranch_execz .LBB34_6
; %bb.5:
	s_wait_dscnt 0x0
	v_add_f32_e32 v7, v7, v8
	v_lshrrev_b32_e32 v8, 3, v0
	ds_store_b32 v8, v7
.LBB34_6:
	s_or_b32 exec_lo, exec_lo, s2
	s_wait_dscnt 0x0
	s_barrier_signal -1
	s_barrier_wait -1
	s_load_b32 s2, s[0:1], 0xc9c
	v_mov_b32_e32 v7, 0
	s_wait_kmcnt 0x0
	s_bfe_u32 s2, s2, 0xb0005
	s_delay_alu instid0(SALU_CYCLE_1)
	v_cmp_gt_u32_e32 vcc_lo, s2, v0
	s_and_saveexec_b32 s2, vcc_lo
; %bb.7:
	v_lshlrev_b32_e32 v6, 2, v6
	ds_load_b32 v7, v6
; %bb.8:
	s_or_b32 exec_lo, exec_lo, s2
	s_delay_alu instid0(SALU_CYCLE_1)
	s_mov_b32 s2, exec_lo
	v_cmpx_gt_u32_e32 32, v0
	s_cbranch_execz .LBB34_10
; %bb.9:
	s_wait_dscnt 0x0
	ds_bpermute_b32 v2, v2, v7
	s_wait_dscnt 0x0
	v_add_f32_e32 v2, v7, v2
	ds_bpermute_b32 v3, v3, v2
	s_wait_dscnt 0x0
	v_add_f32_e32 v2, v2, v3
	;; [unrolled: 3-line block ×5, first 2 shown]
.LBB34_10:
	s_or_b32 exec_lo, exec_lo, s2
	s_delay_alu instid0(SALU_CYCLE_1)
	s_mov_b32 s2, exec_lo
	v_cmpx_eq_u32_e32 0, v0
	s_cbranch_execz .LBB34_12
; %bb.11:
	s_wait_dscnt 0x0
	v_mul_f32_e32 v0, 0x4f800000, v7
	v_cmp_gt_f32_e32 vcc_lo, 0xf800000, v7
	s_load_b64 s[0:1], s[0:1], s8 offset:0x8 scale_offset
	s_delay_alu instid0(VALU_DEP_2) | instskip(NEXT) | instid1(VALU_DEP_1)
	v_cndmask_b32_e32 v0, v7, v0, vcc_lo
	v_sqrt_f32_e32 v1, v0
	v_nop
	s_delay_alu instid0(TRANS32_DEP_1) | instskip(NEXT) | instid1(VALU_DEP_1)
	v_dual_add_nc_u32 v2, -1, v1 :: v_dual_add_nc_u32 v3, 1, v1
	v_dual_fma_f32 v4, -v2, v1, v0 :: v_dual_fma_f32 v5, -v3, v1, v0
	s_delay_alu instid0(VALU_DEP_1) | instskip(NEXT) | instid1(VALU_DEP_1)
	v_cmp_ge_f32_e64 s2, 0, v4
	v_cndmask_b32_e64 v1, v1, v2, s2
	s_delay_alu instid0(VALU_DEP_3) | instskip(NEXT) | instid1(VALU_DEP_1)
	v_cmp_lt_f32_e64 s2, 0, v5
	v_cndmask_b32_e64 v1, v1, v3, s2
	s_delay_alu instid0(VALU_DEP_1) | instskip(NEXT) | instid1(VALU_DEP_1)
	v_mul_f32_e32 v2, 0x37800000, v1
	v_cndmask_b32_e32 v1, v1, v2, vcc_lo
	v_cmp_class_f32_e64 vcc_lo, v0, 0x260
	s_delay_alu instid0(VALU_DEP_2)
	v_dual_cndmask_b32 v0, v1, v0 :: v_dual_mov_b32 v1, 0
	s_wait_kmcnt 0x0
	global_store_b32 v1, v0, s[0:1]
.LBB34_12:
	s_endpgm
	.section	.rodata,"a",@progbits
	.p2align	6, 0x0
	.amdhsa_kernel _ZN2at6native14lpnorm_cleanupIdLNS0_8NormTypeE2EfLb1EfEEvPKT3_NS0_19TensorListAddressesEi
		.amdhsa_group_segment_fixed_size 2048
		.amdhsa_private_segment_fixed_size 0
		.amdhsa_kernarg_size 3472
		.amdhsa_user_sgpr_count 2
		.amdhsa_user_sgpr_dispatch_ptr 0
		.amdhsa_user_sgpr_queue_ptr 0
		.amdhsa_user_sgpr_kernarg_segment_ptr 1
		.amdhsa_user_sgpr_dispatch_id 0
		.amdhsa_user_sgpr_kernarg_preload_length 0
		.amdhsa_user_sgpr_kernarg_preload_offset 0
		.amdhsa_user_sgpr_private_segment_size 0
		.amdhsa_wavefront_size32 1
		.amdhsa_uses_dynamic_stack 0
		.amdhsa_enable_private_segment 0
		.amdhsa_system_sgpr_workgroup_id_x 1
		.amdhsa_system_sgpr_workgroup_id_y 0
		.amdhsa_system_sgpr_workgroup_id_z 0
		.amdhsa_system_sgpr_workgroup_info 0
		.amdhsa_system_vgpr_workitem_id 0
		.amdhsa_next_free_vgpr 9
		.amdhsa_next_free_sgpr 12
		.amdhsa_named_barrier_count 0
		.amdhsa_reserve_vcc 1
		.amdhsa_float_round_mode_32 0
		.amdhsa_float_round_mode_16_64 0
		.amdhsa_float_denorm_mode_32 3
		.amdhsa_float_denorm_mode_16_64 3
		.amdhsa_fp16_overflow 0
		.amdhsa_memory_ordered 1
		.amdhsa_forward_progress 1
		.amdhsa_inst_pref_size 7
		.amdhsa_round_robin_scheduling 0
		.amdhsa_exception_fp_ieee_invalid_op 0
		.amdhsa_exception_fp_denorm_src 0
		.amdhsa_exception_fp_ieee_div_zero 0
		.amdhsa_exception_fp_ieee_overflow 0
		.amdhsa_exception_fp_ieee_underflow 0
		.amdhsa_exception_fp_ieee_inexact 0
		.amdhsa_exception_int_div_zero 0
	.end_amdhsa_kernel
	.section	.text._ZN2at6native14lpnorm_cleanupIdLNS0_8NormTypeE2EfLb1EfEEvPKT3_NS0_19TensorListAddressesEi,"axG",@progbits,_ZN2at6native14lpnorm_cleanupIdLNS0_8NormTypeE2EfLb1EfEEvPKT3_NS0_19TensorListAddressesEi,comdat
.Lfunc_end34:
	.size	_ZN2at6native14lpnorm_cleanupIdLNS0_8NormTypeE2EfLb1EfEEvPKT3_NS0_19TensorListAddressesEi, .Lfunc_end34-_ZN2at6native14lpnorm_cleanupIdLNS0_8NormTypeE2EfLb1EfEEvPKT3_NS0_19TensorListAddressesEi
                                        ; -- End function
	.set _ZN2at6native14lpnorm_cleanupIdLNS0_8NormTypeE2EfLb1EfEEvPKT3_NS0_19TensorListAddressesEi.num_vgpr, 9
	.set _ZN2at6native14lpnorm_cleanupIdLNS0_8NormTypeE2EfLb1EfEEvPKT3_NS0_19TensorListAddressesEi.num_agpr, 0
	.set _ZN2at6native14lpnorm_cleanupIdLNS0_8NormTypeE2EfLb1EfEEvPKT3_NS0_19TensorListAddressesEi.numbered_sgpr, 12
	.set _ZN2at6native14lpnorm_cleanupIdLNS0_8NormTypeE2EfLb1EfEEvPKT3_NS0_19TensorListAddressesEi.num_named_barrier, 0
	.set _ZN2at6native14lpnorm_cleanupIdLNS0_8NormTypeE2EfLb1EfEEvPKT3_NS0_19TensorListAddressesEi.private_seg_size, 0
	.set _ZN2at6native14lpnorm_cleanupIdLNS0_8NormTypeE2EfLb1EfEEvPKT3_NS0_19TensorListAddressesEi.uses_vcc, 1
	.set _ZN2at6native14lpnorm_cleanupIdLNS0_8NormTypeE2EfLb1EfEEvPKT3_NS0_19TensorListAddressesEi.uses_flat_scratch, 0
	.set _ZN2at6native14lpnorm_cleanupIdLNS0_8NormTypeE2EfLb1EfEEvPKT3_NS0_19TensorListAddressesEi.has_dyn_sized_stack, 0
	.set _ZN2at6native14lpnorm_cleanupIdLNS0_8NormTypeE2EfLb1EfEEvPKT3_NS0_19TensorListAddressesEi.has_recursion, 0
	.set _ZN2at6native14lpnorm_cleanupIdLNS0_8NormTypeE2EfLb1EfEEvPKT3_NS0_19TensorListAddressesEi.has_indirect_call, 0
	.section	.AMDGPU.csdata,"",@progbits
; Kernel info:
; codeLenInByte = 804
; TotalNumSgprs: 14
; NumVgprs: 9
; ScratchSize: 0
; MemoryBound: 0
; FloatMode: 240
; IeeeMode: 1
; LDSByteSize: 2048 bytes/workgroup (compile time only)
; SGPRBlocks: 0
; VGPRBlocks: 0
; NumSGPRsForWavesPerEU: 14
; NumVGPRsForWavesPerEU: 9
; NamedBarCnt: 0
; Occupancy: 16
; WaveLimiterHint : 0
; COMPUTE_PGM_RSRC2:SCRATCH_EN: 0
; COMPUTE_PGM_RSRC2:USER_SGPR: 2
; COMPUTE_PGM_RSRC2:TRAP_HANDLER: 0
; COMPUTE_PGM_RSRC2:TGID_X_EN: 1
; COMPUTE_PGM_RSRC2:TGID_Y_EN: 0
; COMPUTE_PGM_RSRC2:TGID_Z_EN: 0
; COMPUTE_PGM_RSRC2:TIDIG_COMP_CNT: 0
	.section	.text._ZN2at6native14lpnorm_cleanupIdLNS0_8NormTypeE3EfLb1EfEEvPKT3_NS0_19TensorListAddressesEi,"axG",@progbits,_ZN2at6native14lpnorm_cleanupIdLNS0_8NormTypeE3EfLb1EfEEvPKT3_NS0_19TensorListAddressesEi,comdat
	.protected	_ZN2at6native14lpnorm_cleanupIdLNS0_8NormTypeE3EfLb1EfEEvPKT3_NS0_19TensorListAddressesEi ; -- Begin function _ZN2at6native14lpnorm_cleanupIdLNS0_8NormTypeE3EfLb1EfEEvPKT3_NS0_19TensorListAddressesEi
	.globl	_ZN2at6native14lpnorm_cleanupIdLNS0_8NormTypeE3EfLb1EfEEvPKT3_NS0_19TensorListAddressesEi
	.p2align	8
	.type	_ZN2at6native14lpnorm_cleanupIdLNS0_8NormTypeE3EfLb1EfEEvPKT3_NS0_19TensorListAddressesEi,@function
_ZN2at6native14lpnorm_cleanupIdLNS0_8NormTypeE3EfLb1EfEEvPKT3_NS0_19TensorListAddressesEi: ; @_ZN2at6native14lpnorm_cleanupIdLNS0_8NormTypeE3EfLb1EfEEvPKT3_NS0_19TensorListAddressesEi
; %bb.0:
	s_load_b32 s4, s[0:1], 0xc88
	s_bfe_u32 s2, ttmp6, 0x4000c
	s_and_b32 s3, ttmp6, 15
	s_add_co_i32 s2, s2, 1
	s_getreg_b32 s5, hwreg(HW_REG_IB_STS2, 6, 4)
	s_mul_i32 s2, ttmp9, s2
	v_mov_b32_e32 v1, 0
	s_add_co_i32 s3, s3, s2
	s_cmp_eq_u32 s5, 0
	s_mov_b32 s7, 0
	s_cselect_b32 s10, ttmp9, s3
	s_mov_b32 s11, exec_lo
	s_wait_kmcnt 0x0
	v_cmpx_gt_u32_e64 s4, v0
	s_cbranch_execz .LBB35_4
; %bb.1:
	s_clause 0x1
	s_load_b64 s[2:3], s[0:1], 0x0
	s_load_b32 s6, s[0:1], 0xc9c
	v_dual_mov_b32 v1, 0 :: v_dual_lshlrev_b32 v2, 2, v0
	s_mul_i32 s8, s4, s10
	s_mov_b32 s9, s7
	s_ashr_i32 s5, s4, 31
	s_delay_alu instid0(VALU_DEP_1)
	v_mov_b32_e32 v3, v1
	s_lshl_b64 s[8:9], s[8:9], 2
	v_mov_b64_e32 v[4:5], v[0:1]
	s_mov_b32 s12, s7
	s_wait_kmcnt 0x0
	s_add_nc_u64 s[2:3], s[2:3], s[8:9]
	s_and_b32 s6, s6, 0xffff
	v_add_nc_u64_e32 v[2:3], s[2:3], v[2:3]
	s_lshl_b32 s8, s6, 2
	s_mov_b32 s9, s7
.LBB35_2:                               ; =>This Inner Loop Header: Depth=1
	global_load_b32 v6, v[2:3], off
	v_add_nc_u64_e32 v[4:5], s[6:7], v[4:5]
	s_wait_xcnt 0x0
	v_add_nc_u64_e32 v[2:3], s[8:9], v[2:3]
	s_delay_alu instid0(VALU_DEP_2)
	v_cmp_le_u64_e32 vcc_lo, s[4:5], v[4:5]
	s_wait_loadcnt 0x0
	v_cmp_u_f32_e64 s2, v6, v6
	v_cmp_lt_f32_e64 s3, v1, v6
	s_or_b32 s2, s2, s3
	s_or_b32 s12, vcc_lo, s12
	v_cndmask_b32_e64 v1, v1, v6, s2
	s_and_not1_b32 exec_lo, exec_lo, s12
	s_cbranch_execnz .LBB35_2
; %bb.3:
	s_or_b32 exec_lo, exec_lo, s12
.LBB35_4:
	s_delay_alu instid0(SALU_CYCLE_1) | instskip(SKIP_3) | instid1(VALU_DEP_1)
	s_or_b32 exec_lo, exec_lo, s11
	v_mbcnt_lo_u32_b32 v5, -1, 0
	s_barrier_signal -1
	s_barrier_wait -1
	v_lshl_or_b32 v2, v5, 2, 64
	v_cmp_gt_u32_e32 vcc_lo, 24, v5
	v_cmp_ne_u32_e64 s3, 31, v5
	ds_bpermute_b32 v4, v2, v1
	v_cndmask_b32_e64 v3, 0, 8, vcc_lo
	s_delay_alu instid0(VALU_DEP_1)
	v_add_lshl_u32 v3, v3, v5, 2
	s_wait_dscnt 0x0
	v_cmp_u_f32_e32 vcc_lo, v4, v4
	v_cmp_lt_f32_e64 s2, v1, v4
	s_or_b32 vcc_lo, vcc_lo, s2
	v_cndmask_b32_e32 v4, v1, v4, vcc_lo
	v_cmp_gt_u32_e32 vcc_lo, 28, v5
	ds_bpermute_b32 v6, v3, v4
	v_cndmask_b32_e64 v1, 0, 4, vcc_lo
	s_delay_alu instid0(VALU_DEP_1)
	v_add_lshl_u32 v1, v1, v5, 2
	s_wait_dscnt 0x0
	v_cmp_u_f32_e32 vcc_lo, v6, v6
	v_cmp_lt_f32_e64 s2, v4, v6
	s_or_b32 vcc_lo, vcc_lo, s2
	v_cndmask_b32_e32 v6, v4, v6, vcc_lo
	v_cmp_gt_u32_e32 vcc_lo, 30, v5
	v_cndmask_b32_e64 v4, 0, 2, vcc_lo
	s_delay_alu instid0(VALU_DEP_1)
	v_add_lshl_u32 v4, v4, v5, 2
	v_add_co_ci_u32_e64 v5, null, 0, v5, s3
	s_mov_b32 s3, exec_lo
	v_lshlrev_b32_e32 v5, 2, v5
	ds_bpermute_b32 v7, v1, v6
	s_wait_dscnt 0x0
	v_cmp_u_f32_e32 vcc_lo, v7, v7
	v_cmp_lt_f32_e64 s2, v6, v7
	s_or_b32 vcc_lo, vcc_lo, s2
	v_cndmask_b32_e32 v6, v6, v7, vcc_lo
	ds_bpermute_b32 v7, v4, v6
	s_wait_dscnt 0x0
	v_cmp_u_f32_e32 vcc_lo, v7, v7
	v_cmp_lt_f32_e64 s2, v6, v7
	s_or_b32 vcc_lo, vcc_lo, s2
	s_delay_alu instid0(SALU_CYCLE_1)
	v_dual_cndmask_b32 v7, v6, v7, vcc_lo :: v_dual_bitop2_b32 v6, 31, v0 bitop3:0x40
	ds_bpermute_b32 v8, v5, v7
	v_cmpx_eq_u32_e32 0, v6
	s_cbranch_execz .LBB35_6
; %bb.5:
	s_wait_dscnt 0x0
	v_cmp_u_f32_e32 vcc_lo, v8, v8
	v_cmp_lt_f32_e64 s2, v7, v8
	s_or_b32 vcc_lo, vcc_lo, s2
	v_cndmask_b32_e32 v7, v7, v8, vcc_lo
	v_lshrrev_b32_e32 v8, 3, v0
	ds_store_b32 v8, v7
.LBB35_6:
	s_or_b32 exec_lo, exec_lo, s3
	s_wait_dscnt 0x0
	s_barrier_signal -1
	s_barrier_wait -1
	s_load_b32 s2, s[0:1], 0xc9c
	v_mov_b32_e32 v7, 0xff7fffff
	s_wait_kmcnt 0x0
	s_bfe_u32 s2, s2, 0xb0005
	s_delay_alu instid0(SALU_CYCLE_1)
	v_cmp_gt_u32_e32 vcc_lo, s2, v0
	s_and_saveexec_b32 s2, vcc_lo
; %bb.7:
	v_lshlrev_b32_e32 v6, 2, v6
	ds_load_b32 v7, v6
; %bb.8:
	s_or_b32 exec_lo, exec_lo, s2
	s_delay_alu instid0(SALU_CYCLE_1)
	s_mov_b32 s3, exec_lo
	v_cmpx_gt_u32_e32 32, v0
	s_cbranch_execz .LBB35_10
; %bb.9:
	s_wait_dscnt 0x0
	ds_bpermute_b32 v2, v2, v7
	s_wait_dscnt 0x0
	v_cmp_u_f32_e32 vcc_lo, v2, v2
	v_cmp_lt_f32_e64 s2, v7, v2
	s_or_b32 vcc_lo, vcc_lo, s2
	v_cndmask_b32_e32 v2, v7, v2, vcc_lo
	ds_bpermute_b32 v3, v3, v2
	s_wait_dscnt 0x0
	v_cmp_u_f32_e32 vcc_lo, v3, v3
	v_cmp_lt_f32_e64 s2, v2, v3
	s_or_b32 vcc_lo, vcc_lo, s2
	v_cndmask_b32_e32 v2, v2, v3, vcc_lo
	;; [unrolled: 6-line block ×5, first 2 shown]
.LBB35_10:
	s_or_b32 exec_lo, exec_lo, s3
	s_delay_alu instid0(SALU_CYCLE_1)
	s_mov_b32 s2, exec_lo
	v_cmpx_eq_u32_e32 0, v0
	s_cbranch_execz .LBB35_12
; %bb.11:
	s_load_b64 s[0:1], s[0:1], s10 offset:0x8 scale_offset
	v_mov_b32_e32 v0, 0
	s_wait_dscnt 0x0
	s_wait_kmcnt 0x0
	global_store_b32 v0, v7, s[0:1]
.LBB35_12:
	s_endpgm
	.section	.rodata,"a",@progbits
	.p2align	6, 0x0
	.amdhsa_kernel _ZN2at6native14lpnorm_cleanupIdLNS0_8NormTypeE3EfLb1EfEEvPKT3_NS0_19TensorListAddressesEi
		.amdhsa_group_segment_fixed_size 2048
		.amdhsa_private_segment_fixed_size 0
		.amdhsa_kernarg_size 3472
		.amdhsa_user_sgpr_count 2
		.amdhsa_user_sgpr_dispatch_ptr 0
		.amdhsa_user_sgpr_queue_ptr 0
		.amdhsa_user_sgpr_kernarg_segment_ptr 1
		.amdhsa_user_sgpr_dispatch_id 0
		.amdhsa_user_sgpr_kernarg_preload_length 0
		.amdhsa_user_sgpr_kernarg_preload_offset 0
		.amdhsa_user_sgpr_private_segment_size 0
		.amdhsa_wavefront_size32 1
		.amdhsa_uses_dynamic_stack 0
		.amdhsa_enable_private_segment 0
		.amdhsa_system_sgpr_workgroup_id_x 1
		.amdhsa_system_sgpr_workgroup_id_y 0
		.amdhsa_system_sgpr_workgroup_id_z 0
		.amdhsa_system_sgpr_workgroup_info 0
		.amdhsa_system_vgpr_workitem_id 0
		.amdhsa_next_free_vgpr 9
		.amdhsa_next_free_sgpr 13
		.amdhsa_named_barrier_count 0
		.amdhsa_reserve_vcc 1
		.amdhsa_float_round_mode_32 0
		.amdhsa_float_round_mode_16_64 0
		.amdhsa_float_denorm_mode_32 3
		.amdhsa_float_denorm_mode_16_64 3
		.amdhsa_fp16_overflow 0
		.amdhsa_memory_ordered 1
		.amdhsa_forward_progress 1
		.amdhsa_inst_pref_size 7
		.amdhsa_round_robin_scheduling 0
		.amdhsa_exception_fp_ieee_invalid_op 0
		.amdhsa_exception_fp_denorm_src 0
		.amdhsa_exception_fp_ieee_div_zero 0
		.amdhsa_exception_fp_ieee_overflow 0
		.amdhsa_exception_fp_ieee_underflow 0
		.amdhsa_exception_fp_ieee_inexact 0
		.amdhsa_exception_int_div_zero 0
	.end_amdhsa_kernel
	.section	.text._ZN2at6native14lpnorm_cleanupIdLNS0_8NormTypeE3EfLb1EfEEvPKT3_NS0_19TensorListAddressesEi,"axG",@progbits,_ZN2at6native14lpnorm_cleanupIdLNS0_8NormTypeE3EfLb1EfEEvPKT3_NS0_19TensorListAddressesEi,comdat
.Lfunc_end35:
	.size	_ZN2at6native14lpnorm_cleanupIdLNS0_8NormTypeE3EfLb1EfEEvPKT3_NS0_19TensorListAddressesEi, .Lfunc_end35-_ZN2at6native14lpnorm_cleanupIdLNS0_8NormTypeE3EfLb1EfEEvPKT3_NS0_19TensorListAddressesEi
                                        ; -- End function
	.set _ZN2at6native14lpnorm_cleanupIdLNS0_8NormTypeE3EfLb1EfEEvPKT3_NS0_19TensorListAddressesEi.num_vgpr, 9
	.set _ZN2at6native14lpnorm_cleanupIdLNS0_8NormTypeE3EfLb1EfEEvPKT3_NS0_19TensorListAddressesEi.num_agpr, 0
	.set _ZN2at6native14lpnorm_cleanupIdLNS0_8NormTypeE3EfLb1EfEEvPKT3_NS0_19TensorListAddressesEi.numbered_sgpr, 13
	.set _ZN2at6native14lpnorm_cleanupIdLNS0_8NormTypeE3EfLb1EfEEvPKT3_NS0_19TensorListAddressesEi.num_named_barrier, 0
	.set _ZN2at6native14lpnorm_cleanupIdLNS0_8NormTypeE3EfLb1EfEEvPKT3_NS0_19TensorListAddressesEi.private_seg_size, 0
	.set _ZN2at6native14lpnorm_cleanupIdLNS0_8NormTypeE3EfLb1EfEEvPKT3_NS0_19TensorListAddressesEi.uses_vcc, 1
	.set _ZN2at6native14lpnorm_cleanupIdLNS0_8NormTypeE3EfLb1EfEEvPKT3_NS0_19TensorListAddressesEi.uses_flat_scratch, 0
	.set _ZN2at6native14lpnorm_cleanupIdLNS0_8NormTypeE3EfLb1EfEEvPKT3_NS0_19TensorListAddressesEi.has_dyn_sized_stack, 0
	.set _ZN2at6native14lpnorm_cleanupIdLNS0_8NormTypeE3EfLb1EfEEvPKT3_NS0_19TensorListAddressesEi.has_recursion, 0
	.set _ZN2at6native14lpnorm_cleanupIdLNS0_8NormTypeE3EfLb1EfEEvPKT3_NS0_19TensorListAddressesEi.has_indirect_call, 0
	.section	.AMDGPU.csdata,"",@progbits
; Kernel info:
; codeLenInByte = 868
; TotalNumSgprs: 15
; NumVgprs: 9
; ScratchSize: 0
; MemoryBound: 0
; FloatMode: 240
; IeeeMode: 1
; LDSByteSize: 2048 bytes/workgroup (compile time only)
; SGPRBlocks: 0
; VGPRBlocks: 0
; NumSGPRsForWavesPerEU: 15
; NumVGPRsForWavesPerEU: 9
; NamedBarCnt: 0
; Occupancy: 16
; WaveLimiterHint : 0
; COMPUTE_PGM_RSRC2:SCRATCH_EN: 0
; COMPUTE_PGM_RSRC2:USER_SGPR: 2
; COMPUTE_PGM_RSRC2:TRAP_HANDLER: 0
; COMPUTE_PGM_RSRC2:TGID_X_EN: 1
; COMPUTE_PGM_RSRC2:TGID_Y_EN: 0
; COMPUTE_PGM_RSRC2:TGID_Z_EN: 0
; COMPUTE_PGM_RSRC2:TIDIG_COMP_CNT: 0
	.section	.text._ZN2at6native12_GLOBAL__N_125multi_tensor_apply_kernelINS1_18TensorListMetadataILi1EEENS0_13LpNormFunctorIdLNS0_8NormTypeE0EN3c104HalfELi1ELi1ELi0EEEJPfiEEEvT_T0_DpT1_,"axG",@progbits,_ZN2at6native12_GLOBAL__N_125multi_tensor_apply_kernelINS1_18TensorListMetadataILi1EEENS0_13LpNormFunctorIdLNS0_8NormTypeE0EN3c104HalfELi1ELi1ELi0EEEJPfiEEEvT_T0_DpT1_,comdat
	.globl	_ZN2at6native12_GLOBAL__N_125multi_tensor_apply_kernelINS1_18TensorListMetadataILi1EEENS0_13LpNormFunctorIdLNS0_8NormTypeE0EN3c104HalfELi1ELi1ELi0EEEJPfiEEEvT_T0_DpT1_ ; -- Begin function _ZN2at6native12_GLOBAL__N_125multi_tensor_apply_kernelINS1_18TensorListMetadataILi1EEENS0_13LpNormFunctorIdLNS0_8NormTypeE0EN3c104HalfELi1ELi1ELi0EEEJPfiEEEvT_T0_DpT1_
	.p2align	8
	.type	_ZN2at6native12_GLOBAL__N_125multi_tensor_apply_kernelINS1_18TensorListMetadataILi1EEENS0_13LpNormFunctorIdLNS0_8NormTypeE0EN3c104HalfELi1ELi1ELi0EEEJPfiEEEvT_T0_DpT1_,@function
_ZN2at6native12_GLOBAL__N_125multi_tensor_apply_kernelINS1_18TensorListMetadataILi1EEENS0_13LpNormFunctorIdLNS0_8NormTypeE0EN3c104HalfELi1ELi1ELi0EEEJPfiEEEvT_T0_DpT1_: ; @_ZN2at6native12_GLOBAL__N_125multi_tensor_apply_kernelINS1_18TensorListMetadataILi1EEENS0_13LpNormFunctorIdLNS0_8NormTypeE0EN3c104HalfELi1ELi1ELi0EEEJPfiEEEvT_T0_DpT1_
; %bb.0:
	s_bfe_u32 s2, ttmp6, 0x4000c
	s_and_b32 s3, ttmp6, 15
	s_add_co_i32 s2, s2, 1
	s_getreg_b32 s4, hwreg(HW_REG_IB_STS2, 6, 4)
	s_mul_i32 s2, ttmp9, s2
	s_delay_alu instid0(SALU_CYCLE_1)
	s_add_co_i32 s3, s3, s2
	s_cmp_eq_u32 s4, 0
	s_cselect_b32 s2, ttmp9, s3
	s_mov_b32 s3, 0
	v_mov_b32_e32 v1, s2
	s_add_nc_u64 s[4:5], s[0:1], s[2:3]
	s_mul_u64 s[6:7], s[2:3], 3
	s_delay_alu instid0(SALU_CYCLE_1) | instskip(SKIP_4) | instid1(SALU_CYCLE_1)
	s_add_nc_u64 s[4:5], s[4:5], s[6:7]
	global_load_u8 v15, v1, s[0:1] offset:1760
	s_load_b32 s4, s[4:5], 0x820
	s_wait_kmcnt 0x0
	s_ashr_i32 s5, s4, 31
	s_lshl_b64 s[10:11], s[4:5], 19
	s_lshl_b64 s[12:13], s[4:5], 16
	s_wait_loadcnt 0x0
	v_readfirstlane_b32 s2, v15
	s_and_b32 s2, s2, 0xff
	s_clause 0x1
	s_load_b64 s[6:7], s[0:1], s2 offset:0x0 scale_offset
	s_load_b64 s[8:9], s[0:1], s2 offset:0x370 scale_offset
	s_wait_kmcnt 0x0
	s_add_nc_u64 s[6:7], s[6:7], s[10:11]
	s_and_b32 s2, s8, 3
	s_and_b64 s[10:11], s[6:7], 31
	s_sub_nc_u64 s[8:9], s[8:9], s[12:13]
	s_or_b64 s[10:11], s[2:3], s[10:11]
	s_delay_alu instid0(SALU_CYCLE_1)
	s_cmp_eq_u64 s[10:11], 0
	s_cbranch_scc1 .LBB36_12
; %bb.1:
	v_cmp_lt_i64_e64 s2, s[8:9], 1
	s_and_b32 vcc_lo, exec_lo, s2
	s_cbranch_vccnz .LBB36_28
; %bb.2:
	s_load_b32 s2, s[0:1], 0xd4c
	v_min_i64 v[10:11], 0x10000, s[8:9]
	s_mov_b32 s11, 0
	s_mov_b64 s[12:13], 0
	s_wait_kmcnt 0x0
	s_and_b32 s2, s2, 0xffff
	s_delay_alu instid0(SALU_CYCLE_1) | instskip(SKIP_3) | instid1(VALU_DEP_3)
	v_dual_mov_b32 v7, 0 :: v_dual_add_nc_u32 v16, s2, v0
	v_mad_u32 v12, s2, 3, v0
	v_lshl_add_u32 v14, s2, 1, v0
	s_lshl_b32 s10, s2, 2
	v_dual_mov_b32 v6, v7 :: v_dual_mov_b32 v8, v7
	v_mov_b32_e32 v9, v7
	s_delay_alu instid0(VALU_DEP_2) | instskip(NEXT) | instid1(VALU_DEP_2)
	v_mov_b64_e32 v[2:3], v[6:7]
	v_mov_b64_e32 v[4:5], v[8:9]
	s_branch .LBB36_4
.LBB36_3:                               ;   in Loop: Header=BB36_4 Depth=1
	s_or_b32 exec_lo, exec_lo, s2
	s_add_nc_u64 s[12:13], s[12:13], s[10:11]
	s_delay_alu instid0(SALU_CYCLE_1)
	v_cmp_lt_i64_e32 vcc_lo, s[12:13], v[10:11]
	s_cbranch_vccz .LBB36_13
.LBB36_4:                               ; =>This Inner Loop Header: Depth=1
	v_add_nc_u32_e32 v6, s12, v0
	s_delay_alu instid0(VALU_DEP_1) | instskip(SKIP_2) | instid1(SALU_CYCLE_1)
	v_cmp_gt_i64_e32 vcc_lo, s[8:9], v[6:7]
	v_cmp_gt_u32_e64 s2, 0x10000, v6
	s_and_b32 s5, s2, vcc_lo
	s_and_saveexec_b32 s2, s5
	s_cbranch_execz .LBB36_6
; %bb.5:                                ;   in Loop: Header=BB36_4 Depth=1
	v_lshl_add_u64 v[8:9], v[6:7], 3, s[6:7]
	global_load_b64 v[8:9], v[8:9], off
	s_wait_loadcnt 0x0
	v_cvt_f32_f64_e32 v1, v[8:9]
	s_delay_alu instid0(VALU_DEP_1) | instskip(SKIP_1) | instid1(VALU_DEP_1)
	v_cmp_neq_f32_e32 vcc_lo, 0, v1
	v_cndmask_b32_e64 v1, 0, 1.0, vcc_lo
	v_add_f32_e32 v2, v2, v1
.LBB36_6:                               ;   in Loop: Header=BB36_4 Depth=1
	s_or_b32 exec_lo, exec_lo, s2
	v_add_nc_u32_e32 v6, s12, v16
	s_delay_alu instid0(VALU_DEP_1) | instskip(SKIP_2) | instid1(SALU_CYCLE_1)
	v_cmp_gt_i64_e32 vcc_lo, s[8:9], v[6:7]
	v_cmp_gt_u32_e64 s2, 0x10000, v6
	s_and_b32 s5, s2, vcc_lo
	s_and_saveexec_b32 s2, s5
	s_cbranch_execz .LBB36_8
; %bb.7:                                ;   in Loop: Header=BB36_4 Depth=1
	v_lshl_add_u64 v[8:9], v[6:7], 3, s[6:7]
	global_load_b64 v[8:9], v[8:9], off
	s_wait_loadcnt 0x0
	v_cvt_f32_f64_e32 v1, v[8:9]
	s_delay_alu instid0(VALU_DEP_1) | instskip(SKIP_1) | instid1(VALU_DEP_1)
	v_cmp_neq_f32_e32 vcc_lo, 0, v1
	v_cndmask_b32_e64 v1, 0, 1.0, vcc_lo
	v_add_f32_e32 v3, v3, v1
.LBB36_8:                               ;   in Loop: Header=BB36_4 Depth=1
	s_or_b32 exec_lo, exec_lo, s2
	v_add_nc_u32_e32 v6, s12, v14
	s_delay_alu instid0(VALU_DEP_1) | instskip(SKIP_2) | instid1(SALU_CYCLE_1)
	v_cmp_gt_i64_e32 vcc_lo, s[8:9], v[6:7]
	v_cmp_gt_u32_e64 s2, 0x10000, v6
	s_and_b32 s5, s2, vcc_lo
	s_and_saveexec_b32 s2, s5
	s_cbranch_execz .LBB36_10
; %bb.9:                                ;   in Loop: Header=BB36_4 Depth=1
	v_lshl_add_u64 v[8:9], v[6:7], 3, s[6:7]
	global_load_b64 v[8:9], v[8:9], off
	s_wait_loadcnt 0x0
	v_cvt_f32_f64_e32 v1, v[8:9]
	s_delay_alu instid0(VALU_DEP_1) | instskip(SKIP_1) | instid1(VALU_DEP_1)
	v_cmp_neq_f32_e32 vcc_lo, 0, v1
	v_cndmask_b32_e64 v1, 0, 1.0, vcc_lo
	v_add_f32_e32 v4, v4, v1
.LBB36_10:                              ;   in Loop: Header=BB36_4 Depth=1
	s_or_b32 exec_lo, exec_lo, s2
	v_add_nc_u32_e32 v6, s12, v12
	s_delay_alu instid0(VALU_DEP_1) | instskip(SKIP_2) | instid1(SALU_CYCLE_1)
	v_cmp_gt_i64_e32 vcc_lo, s[8:9], v[6:7]
	v_cmp_gt_u32_e64 s2, 0x10000, v6
	s_and_b32 s5, s2, vcc_lo
	s_and_saveexec_b32 s2, s5
	s_cbranch_execz .LBB36_3
; %bb.11:                               ;   in Loop: Header=BB36_4 Depth=1
	v_lshl_add_u64 v[8:9], v[6:7], 3, s[6:7]
	global_load_b64 v[8:9], v[8:9], off
	s_wait_loadcnt 0x0
	v_cvt_f32_f64_e32 v1, v[8:9]
	s_delay_alu instid0(VALU_DEP_1) | instskip(SKIP_1) | instid1(VALU_DEP_1)
	v_cmp_neq_f32_e32 vcc_lo, 0, v1
	v_cndmask_b32_e64 v1, 0, 1.0, vcc_lo
	v_add_f32_e32 v5, v5, v1
	s_branch .LBB36_3
.LBB36_12:
	s_mov_b32 s3, -1
                                        ; implicit-def: $vgpr2_vgpr3_vgpr4_vgpr5
.LBB36_13:
	s_delay_alu instid0(SALU_CYCLE_1)
	s_and_not1_b32 vcc_lo, exec_lo, s3
	s_cbranch_vccnz .LBB36_19
.LBB36_14:
	v_min_i64 v[8:9], 0x10000, s[8:9]
	v_dual_mov_b32 v3, 0 :: v_dual_lshlrev_b32 v2, 2, v0
	s_mov_b32 s9, 0
	s_delay_alu instid0(VALU_DEP_1) | instskip(NEXT) | instid1(VALU_DEP_2)
	v_dual_mov_b32 v5, v3 :: v_dual_mov_b32 v4, v3
	v_cmp_lt_i64_e32 vcc_lo, v[2:3], v[8:9]
	v_mov_b32_e32 v2, v3
	s_and_saveexec_b32 s3, vcc_lo
	s_cbranch_execz .LBB36_18
; %bb.15:
	s_load_b32 s2, s[0:1], 0xd4c
	v_dual_mov_b32 v1, v3 :: v_dual_lshlrev_b32 v2, 5, v0
	v_dual_mov_b32 v5, 0 :: v_dual_mov_b32 v6, 0
	v_mov_b32_e32 v7, 0
	s_delay_alu instid0(VALU_DEP_3) | instskip(NEXT) | instid1(VALU_DEP_4)
	v_add_nc_u64_e32 v[10:11], s[6:7], v[2:3]
	v_mov_b64_e32 v[12:13], v[0:1]
	s_mov_b32 s7, s9
	s_mov_b32 s5, s9
	s_delay_alu instid0(VALU_DEP_2) | instskip(SKIP_2) | instid1(SALU_CYCLE_1)
	v_add_nc_u64_e32 v[10:11], 16, v[10:11]
	s_wait_kmcnt 0x0
	s_and_b32 s8, s2, 0xffff
	s_lshl_b32 s6, s8, 5
.LBB36_16:                              ; =>This Inner Loop Header: Depth=1
	s_clause 0x1
	global_load_b128 v[16:19], v[10:11], off offset:-16
	global_load_b128 v[20:23], v[10:11], off
	v_add_nc_u64_e32 v[12:13], s[8:9], v[12:13]
	s_wait_xcnt 0x0
	v_add_nc_u64_e32 v[10:11], s[6:7], v[10:11]
	s_wait_loadcnt 0x1
	v_cvt_f32_f64_e32 v1, v[16:17]
	v_cvt_f32_f64_e32 v2, v[18:19]
	s_wait_loadcnt 0x0
	v_cvt_f32_f64_e32 v4, v[20:21]
	v_cvt_f32_f64_e32 v14, v[22:23]
	v_lshlrev_b64_e32 v[16:17], 2, v[12:13]
	s_delay_alu instid0(VALU_DEP_1) | instskip(SKIP_2) | instid1(VALU_DEP_1)
	v_cmp_ge_i64_e32 vcc_lo, v[16:17], v[8:9]
	s_or_b32 s5, vcc_lo, s5
	v_cmp_neq_f32_e64 s2, 0, v1
	v_cndmask_b32_e64 v1, 0, 1.0, s2
	v_cmp_neq_f32_e64 s2, 0, v2
	s_delay_alu instid0(VALU_DEP_1) | instskip(SKIP_1) | instid1(VALU_DEP_2)
	v_cndmask_b32_e64 v2, 0, 1.0, s2
	v_cmp_neq_f32_e64 s2, 0, v4
	v_dual_add_f32 v3, v3, v1 :: v_dual_add_f32 v5, v5, v2
	s_delay_alu instid0(VALU_DEP_2) | instskip(SKIP_1) | instid1(VALU_DEP_1)
	v_cndmask_b32_e64 v4, 0, 1.0, s2
	v_cmp_neq_f32_e64 s2, 0, v14
	v_cndmask_b32_e64 v14, 0, 1.0, s2
	s_delay_alu instid0(VALU_DEP_1)
	v_dual_add_f32 v6, v6, v4 :: v_dual_add_f32 v7, v7, v14
	s_and_not1_b32 exec_lo, exec_lo, s5
	s_cbranch_execnz .LBB36_16
; %bb.17:
	s_or_b32 exec_lo, exec_lo, s5
	v_mov_b32_e32 v4, v3
	s_delay_alu instid0(VALU_DEP_1)
	v_mov_b64_e32 v[2:3], v[4:5]
	v_mov_b64_e32 v[4:5], v[6:7]
.LBB36_18:
	s_or_b32 exec_lo, exec_lo, s3
.LBB36_19:
	s_delay_alu instid0(VALU_DEP_1) | instskip(SKIP_3) | instid1(VALU_DEP_2)
	v_add_f32_e32 v1, 0, v2
	v_mbcnt_lo_u32_b32 v6, -1, 0
	s_mov_b32 s2, exec_lo
	s_barrier_signal -1
	v_add_f32_e32 v1, v3, v1
	s_delay_alu instid0(VALU_DEP_2) | instskip(SKIP_1) | instid1(VALU_DEP_2)
	v_cmp_gt_u32_e32 vcc_lo, 24, v6
	s_barrier_wait -1
	v_add_f32_e32 v2, v4, v1
	v_lshl_or_b32 v1, v6, 2, 64
	s_delay_alu instid0(VALU_DEP_2)
	v_add_f32_e32 v3, v5, v2
	v_cndmask_b32_e64 v2, 0, 8, vcc_lo
	v_cmp_gt_u32_e32 vcc_lo, 28, v6
	ds_bpermute_b32 v4, v1, v3
	v_add_lshl_u32 v2, v2, v6, 2
	s_wait_dscnt 0x0
	v_add_f32_e32 v4, v3, v4
	v_cndmask_b32_e64 v3, 0, 4, vcc_lo
	v_cmp_gt_u32_e32 vcc_lo, 30, v6
	ds_bpermute_b32 v5, v2, v4
	v_add_lshl_u32 v3, v3, v6, 2
	s_wait_dscnt 0x0
	v_add_f32_e32 v5, v4, v5
	v_cndmask_b32_e64 v4, 0, 2, vcc_lo
	v_cmp_ne_u32_e32 vcc_lo, 31, v6
	ds_bpermute_b32 v7, v3, v5
	v_add_lshl_u32 v4, v4, v6, 2
	v_add_co_ci_u32_e64 v8, null, 0, v6, vcc_lo
	s_wait_dscnt 0x0
	v_add_f32_e32 v5, v5, v7
	ds_bpermute_b32 v7, v4, v5
	s_wait_dscnt 0x0
	v_dual_add_f32 v6, v5, v7 :: v_dual_lshlrev_b32 v5, 2, v8
	v_and_b32_e32 v7, 31, v0
	ds_bpermute_b32 v8, v5, v6
	v_cmpx_eq_u32_e32 0, v7
	s_cbranch_execz .LBB36_21
; %bb.20:
	v_lshrrev_b32_e32 v9, 3, v0
	s_wait_dscnt 0x0
	v_add_f32_e32 v6, v6, v8
	ds_store_b32 v9, v6
.LBB36_21:
	s_or_b32 exec_lo, exec_lo, s2
	s_wait_dscnt 0x0
	s_barrier_signal -1
	s_barrier_wait -1
	s_load_b32 s2, s[0:1], 0xd4c
	v_mov_b32_e32 v6, 0
	s_wait_kmcnt 0x0
	s_bfe_u32 s2, s2, 0xb0005
	s_delay_alu instid0(SALU_CYCLE_1)
	v_cmp_gt_u32_e32 vcc_lo, s2, v0
	s_and_saveexec_b32 s2, vcc_lo
; %bb.22:
	v_lshlrev_b32_e32 v6, 2, v7
	ds_load_b32 v6, v6
; %bb.23:
	s_or_b32 exec_lo, exec_lo, s2
	s_delay_alu instid0(SALU_CYCLE_1)
	s_mov_b32 s2, exec_lo
	v_cmpx_gt_u32_e32 32, v0
	s_cbranch_execz .LBB36_25
; %bb.24:
	s_wait_dscnt 0x0
	ds_bpermute_b32 v1, v1, v6
	s_wait_dscnt 0x0
	v_add_f32_e32 v1, v6, v1
	ds_bpermute_b32 v2, v2, v1
	s_wait_dscnt 0x0
	v_add_f32_e32 v1, v1, v2
	;; [unrolled: 3-line block ×5, first 2 shown]
.LBB36_25:
	s_or_b32 exec_lo, exec_lo, s2
	s_delay_alu instid0(SALU_CYCLE_1)
	s_mov_b32 s2, exec_lo
	v_cmpx_eq_u32_e32 0, v0
	s_cbranch_execz .LBB36_27
; %bb.26:
	s_clause 0x1
	s_load_b32 s2, s[0:1], 0xd20
	s_load_b96 s[8:10], s[0:1], 0xd30
	v_and_b32_e32 v0, 0xff, v15
	s_wait_kmcnt 0x0
	s_delay_alu instid0(VALU_DEP_1) | instskip(NEXT) | instid1(VALU_DEP_1)
	v_add_nc_u32_e32 v0, s2, v0
	v_mul_lo_u32 v0, v0, s10
	s_delay_alu instid0(VALU_DEP_1)
	v_add_nc_u32_e32 v0, s4, v0
	s_wait_dscnt 0x0
	global_store_b32 v0, v6, s[8:9] scale_offset
.LBB36_27:
	s_endpgm
.LBB36_28:
	v_mov_b32_e32 v2, 0
	s_delay_alu instid0(VALU_DEP_1)
	v_dual_mov_b32 v3, v2 :: v_dual_mov_b32 v4, v2
	v_mov_b32_e32 v5, v2
	s_and_not1_b32 vcc_lo, exec_lo, s3
	s_cbranch_vccz .LBB36_14
	s_branch .LBB36_19
	.section	.rodata,"a",@progbits
	.p2align	6, 0x0
	.amdhsa_kernel _ZN2at6native12_GLOBAL__N_125multi_tensor_apply_kernelINS1_18TensorListMetadataILi1EEENS0_13LpNormFunctorIdLNS0_8NormTypeE0EN3c104HalfELi1ELi1ELi0EEEJPfiEEEvT_T0_DpT1_
		.amdhsa_group_segment_fixed_size 2048
		.amdhsa_private_segment_fixed_size 0
		.amdhsa_kernarg_size 3648
		.amdhsa_user_sgpr_count 2
		.amdhsa_user_sgpr_dispatch_ptr 0
		.amdhsa_user_sgpr_queue_ptr 0
		.amdhsa_user_sgpr_kernarg_segment_ptr 1
		.amdhsa_user_sgpr_dispatch_id 0
		.amdhsa_user_sgpr_kernarg_preload_length 0
		.amdhsa_user_sgpr_kernarg_preload_offset 0
		.amdhsa_user_sgpr_private_segment_size 0
		.amdhsa_wavefront_size32 1
		.amdhsa_uses_dynamic_stack 0
		.amdhsa_enable_private_segment 0
		.amdhsa_system_sgpr_workgroup_id_x 1
		.amdhsa_system_sgpr_workgroup_id_y 0
		.amdhsa_system_sgpr_workgroup_id_z 0
		.amdhsa_system_sgpr_workgroup_info 0
		.amdhsa_system_vgpr_workitem_id 0
		.amdhsa_next_free_vgpr 24
		.amdhsa_next_free_sgpr 14
		.amdhsa_named_barrier_count 0
		.amdhsa_reserve_vcc 1
		.amdhsa_float_round_mode_32 0
		.amdhsa_float_round_mode_16_64 0
		.amdhsa_float_denorm_mode_32 3
		.amdhsa_float_denorm_mode_16_64 3
		.amdhsa_fp16_overflow 0
		.amdhsa_memory_ordered 1
		.amdhsa_forward_progress 1
		.amdhsa_inst_pref_size 13
		.amdhsa_round_robin_scheduling 0
		.amdhsa_exception_fp_ieee_invalid_op 0
		.amdhsa_exception_fp_denorm_src 0
		.amdhsa_exception_fp_ieee_div_zero 0
		.amdhsa_exception_fp_ieee_overflow 0
		.amdhsa_exception_fp_ieee_underflow 0
		.amdhsa_exception_fp_ieee_inexact 0
		.amdhsa_exception_int_div_zero 0
	.end_amdhsa_kernel
	.section	.text._ZN2at6native12_GLOBAL__N_125multi_tensor_apply_kernelINS1_18TensorListMetadataILi1EEENS0_13LpNormFunctorIdLNS0_8NormTypeE0EN3c104HalfELi1ELi1ELi0EEEJPfiEEEvT_T0_DpT1_,"axG",@progbits,_ZN2at6native12_GLOBAL__N_125multi_tensor_apply_kernelINS1_18TensorListMetadataILi1EEENS0_13LpNormFunctorIdLNS0_8NormTypeE0EN3c104HalfELi1ELi1ELi0EEEJPfiEEEvT_T0_DpT1_,comdat
.Lfunc_end36:
	.size	_ZN2at6native12_GLOBAL__N_125multi_tensor_apply_kernelINS1_18TensorListMetadataILi1EEENS0_13LpNormFunctorIdLNS0_8NormTypeE0EN3c104HalfELi1ELi1ELi0EEEJPfiEEEvT_T0_DpT1_, .Lfunc_end36-_ZN2at6native12_GLOBAL__N_125multi_tensor_apply_kernelINS1_18TensorListMetadataILi1EEENS0_13LpNormFunctorIdLNS0_8NormTypeE0EN3c104HalfELi1ELi1ELi0EEEJPfiEEEvT_T0_DpT1_
                                        ; -- End function
	.set _ZN2at6native12_GLOBAL__N_125multi_tensor_apply_kernelINS1_18TensorListMetadataILi1EEENS0_13LpNormFunctorIdLNS0_8NormTypeE0EN3c104HalfELi1ELi1ELi0EEEJPfiEEEvT_T0_DpT1_.num_vgpr, 24
	.set _ZN2at6native12_GLOBAL__N_125multi_tensor_apply_kernelINS1_18TensorListMetadataILi1EEENS0_13LpNormFunctorIdLNS0_8NormTypeE0EN3c104HalfELi1ELi1ELi0EEEJPfiEEEvT_T0_DpT1_.num_agpr, 0
	.set _ZN2at6native12_GLOBAL__N_125multi_tensor_apply_kernelINS1_18TensorListMetadataILi1EEENS0_13LpNormFunctorIdLNS0_8NormTypeE0EN3c104HalfELi1ELi1ELi0EEEJPfiEEEvT_T0_DpT1_.numbered_sgpr, 14
	.set _ZN2at6native12_GLOBAL__N_125multi_tensor_apply_kernelINS1_18TensorListMetadataILi1EEENS0_13LpNormFunctorIdLNS0_8NormTypeE0EN3c104HalfELi1ELi1ELi0EEEJPfiEEEvT_T0_DpT1_.num_named_barrier, 0
	.set _ZN2at6native12_GLOBAL__N_125multi_tensor_apply_kernelINS1_18TensorListMetadataILi1EEENS0_13LpNormFunctorIdLNS0_8NormTypeE0EN3c104HalfELi1ELi1ELi0EEEJPfiEEEvT_T0_DpT1_.private_seg_size, 0
	.set _ZN2at6native12_GLOBAL__N_125multi_tensor_apply_kernelINS1_18TensorListMetadataILi1EEENS0_13LpNormFunctorIdLNS0_8NormTypeE0EN3c104HalfELi1ELi1ELi0EEEJPfiEEEvT_T0_DpT1_.uses_vcc, 1
	.set _ZN2at6native12_GLOBAL__N_125multi_tensor_apply_kernelINS1_18TensorListMetadataILi1EEENS0_13LpNormFunctorIdLNS0_8NormTypeE0EN3c104HalfELi1ELi1ELi0EEEJPfiEEEvT_T0_DpT1_.uses_flat_scratch, 0
	.set _ZN2at6native12_GLOBAL__N_125multi_tensor_apply_kernelINS1_18TensorListMetadataILi1EEENS0_13LpNormFunctorIdLNS0_8NormTypeE0EN3c104HalfELi1ELi1ELi0EEEJPfiEEEvT_T0_DpT1_.has_dyn_sized_stack, 0
	.set _ZN2at6native12_GLOBAL__N_125multi_tensor_apply_kernelINS1_18TensorListMetadataILi1EEENS0_13LpNormFunctorIdLNS0_8NormTypeE0EN3c104HalfELi1ELi1ELi0EEEJPfiEEEvT_T0_DpT1_.has_recursion, 0
	.set _ZN2at6native12_GLOBAL__N_125multi_tensor_apply_kernelINS1_18TensorListMetadataILi1EEENS0_13LpNormFunctorIdLNS0_8NormTypeE0EN3c104HalfELi1ELi1ELi0EEEJPfiEEEvT_T0_DpT1_.has_indirect_call, 0
	.section	.AMDGPU.csdata,"",@progbits
; Kernel info:
; codeLenInByte = 1544
; TotalNumSgprs: 16
; NumVgprs: 24
; ScratchSize: 0
; MemoryBound: 0
; FloatMode: 240
; IeeeMode: 1
; LDSByteSize: 2048 bytes/workgroup (compile time only)
; SGPRBlocks: 0
; VGPRBlocks: 1
; NumSGPRsForWavesPerEU: 16
; NumVGPRsForWavesPerEU: 24
; NamedBarCnt: 0
; Occupancy: 16
; WaveLimiterHint : 0
; COMPUTE_PGM_RSRC2:SCRATCH_EN: 0
; COMPUTE_PGM_RSRC2:USER_SGPR: 2
; COMPUTE_PGM_RSRC2:TRAP_HANDLER: 0
; COMPUTE_PGM_RSRC2:TGID_X_EN: 1
; COMPUTE_PGM_RSRC2:TGID_Y_EN: 0
; COMPUTE_PGM_RSRC2:TGID_Z_EN: 0
; COMPUTE_PGM_RSRC2:TIDIG_COMP_CNT: 0
	.section	.text._ZN2at6native12_GLOBAL__N_125multi_tensor_apply_kernelINS1_18TensorListMetadataILi1EEENS0_13LpNormFunctorIdLNS0_8NormTypeE1EN3c104HalfELi1ELi1ELi0EEEJPfiEEEvT_T0_DpT1_,"axG",@progbits,_ZN2at6native12_GLOBAL__N_125multi_tensor_apply_kernelINS1_18TensorListMetadataILi1EEENS0_13LpNormFunctorIdLNS0_8NormTypeE1EN3c104HalfELi1ELi1ELi0EEEJPfiEEEvT_T0_DpT1_,comdat
	.globl	_ZN2at6native12_GLOBAL__N_125multi_tensor_apply_kernelINS1_18TensorListMetadataILi1EEENS0_13LpNormFunctorIdLNS0_8NormTypeE1EN3c104HalfELi1ELi1ELi0EEEJPfiEEEvT_T0_DpT1_ ; -- Begin function _ZN2at6native12_GLOBAL__N_125multi_tensor_apply_kernelINS1_18TensorListMetadataILi1EEENS0_13LpNormFunctorIdLNS0_8NormTypeE1EN3c104HalfELi1ELi1ELi0EEEJPfiEEEvT_T0_DpT1_
	.p2align	8
	.type	_ZN2at6native12_GLOBAL__N_125multi_tensor_apply_kernelINS1_18TensorListMetadataILi1EEENS0_13LpNormFunctorIdLNS0_8NormTypeE1EN3c104HalfELi1ELi1ELi0EEEJPfiEEEvT_T0_DpT1_,@function
_ZN2at6native12_GLOBAL__N_125multi_tensor_apply_kernelINS1_18TensorListMetadataILi1EEENS0_13LpNormFunctorIdLNS0_8NormTypeE1EN3c104HalfELi1ELi1ELi0EEEJPfiEEEvT_T0_DpT1_: ; @_ZN2at6native12_GLOBAL__N_125multi_tensor_apply_kernelINS1_18TensorListMetadataILi1EEENS0_13LpNormFunctorIdLNS0_8NormTypeE1EN3c104HalfELi1ELi1ELi0EEEJPfiEEEvT_T0_DpT1_
; %bb.0:
	s_bfe_u32 s2, ttmp6, 0x4000c
	s_and_b32 s3, ttmp6, 15
	s_add_co_i32 s2, s2, 1
	s_getreg_b32 s4, hwreg(HW_REG_IB_STS2, 6, 4)
	s_mul_i32 s2, ttmp9, s2
	s_delay_alu instid0(SALU_CYCLE_1)
	s_add_co_i32 s3, s3, s2
	s_cmp_eq_u32 s4, 0
	s_cselect_b32 s2, ttmp9, s3
	s_mov_b32 s3, 0
	v_mov_b32_e32 v1, s2
	s_add_nc_u64 s[4:5], s[0:1], s[2:3]
	s_mul_u64 s[6:7], s[2:3], 3
	s_delay_alu instid0(SALU_CYCLE_1) | instskip(SKIP_4) | instid1(SALU_CYCLE_1)
	s_add_nc_u64 s[4:5], s[4:5], s[6:7]
	global_load_u8 v13, v1, s[0:1] offset:1760
	s_load_b32 s4, s[4:5], 0x820
	s_wait_kmcnt 0x0
	s_ashr_i32 s5, s4, 31
	s_lshl_b64 s[10:11], s[4:5], 19
	s_lshl_b64 s[12:13], s[4:5], 16
	s_wait_loadcnt 0x0
	v_readfirstlane_b32 s2, v13
	s_and_b32 s2, s2, 0xff
	s_clause 0x1
	s_load_b64 s[6:7], s[0:1], s2 offset:0x0 scale_offset
	s_load_b64 s[8:9], s[0:1], s2 offset:0x370 scale_offset
	s_wait_kmcnt 0x0
	s_add_nc_u64 s[6:7], s[6:7], s[10:11]
	s_and_b32 s2, s8, 3
	s_and_b64 s[10:11], s[6:7], 31
	s_sub_nc_u64 s[8:9], s[8:9], s[12:13]
	s_or_b64 s[10:11], s[2:3], s[10:11]
	s_delay_alu instid0(SALU_CYCLE_1)
	s_cmp_eq_u64 s[10:11], 0
	s_cbranch_scc1 .LBB37_12
; %bb.1:
	v_cmp_lt_i64_e64 s2, s[8:9], 1
	s_and_b32 vcc_lo, exec_lo, s2
	s_cbranch_vccnz .LBB37_28
; %bb.2:
	s_load_b32 s2, s[0:1], 0xd4c
	v_min_i64 v[10:11], 0x10000, s[8:9]
	s_mov_b32 s11, 0
	s_mov_b64 s[12:13], 0
	s_wait_kmcnt 0x0
	s_and_b32 s2, s2, 0xffff
	s_delay_alu instid0(SALU_CYCLE_1) | instskip(SKIP_3) | instid1(VALU_DEP_3)
	v_dual_mov_b32 v7, 0 :: v_dual_add_nc_u32 v16, s2, v0
	v_mad_u32 v12, s2, 3, v0
	v_lshl_add_u32 v14, s2, 1, v0
	s_lshl_b32 s10, s2, 2
	v_dual_mov_b32 v6, v7 :: v_dual_mov_b32 v8, v7
	v_mov_b32_e32 v9, v7
	s_delay_alu instid0(VALU_DEP_2) | instskip(NEXT) | instid1(VALU_DEP_2)
	v_mov_b64_e32 v[2:3], v[6:7]
	v_mov_b64_e32 v[4:5], v[8:9]
	s_branch .LBB37_4
.LBB37_3:                               ;   in Loop: Header=BB37_4 Depth=1
	s_or_b32 exec_lo, exec_lo, s2
	s_add_nc_u64 s[12:13], s[12:13], s[10:11]
	s_delay_alu instid0(SALU_CYCLE_1)
	v_cmp_lt_i64_e32 vcc_lo, s[12:13], v[10:11]
	s_cbranch_vccz .LBB37_13
.LBB37_4:                               ; =>This Inner Loop Header: Depth=1
	v_add_nc_u32_e32 v6, s12, v0
	s_delay_alu instid0(VALU_DEP_1) | instskip(SKIP_2) | instid1(SALU_CYCLE_1)
	v_cmp_gt_i64_e32 vcc_lo, s[8:9], v[6:7]
	v_cmp_gt_u32_e64 s2, 0x10000, v6
	s_and_b32 s5, s2, vcc_lo
	s_and_saveexec_b32 s2, s5
	s_cbranch_execz .LBB37_6
; %bb.5:                                ;   in Loop: Header=BB37_4 Depth=1
	v_lshl_add_u64 v[8:9], v[6:7], 3, s[6:7]
	global_load_b64 v[8:9], v[8:9], off
	s_wait_loadcnt 0x0
	v_cvt_f32_f64_e32 v1, v[8:9]
	s_delay_alu instid0(VALU_DEP_1)
	v_add_f32_e64 v2, v2, |v1|
.LBB37_6:                               ;   in Loop: Header=BB37_4 Depth=1
	s_or_b32 exec_lo, exec_lo, s2
	v_add_nc_u32_e32 v6, s12, v16
	s_delay_alu instid0(VALU_DEP_1) | instskip(SKIP_2) | instid1(SALU_CYCLE_1)
	v_cmp_gt_i64_e32 vcc_lo, s[8:9], v[6:7]
	v_cmp_gt_u32_e64 s2, 0x10000, v6
	s_and_b32 s5, s2, vcc_lo
	s_and_saveexec_b32 s2, s5
	s_cbranch_execz .LBB37_8
; %bb.7:                                ;   in Loop: Header=BB37_4 Depth=1
	v_lshl_add_u64 v[8:9], v[6:7], 3, s[6:7]
	global_load_b64 v[8:9], v[8:9], off
	s_wait_loadcnt 0x0
	v_cvt_f32_f64_e32 v1, v[8:9]
	s_delay_alu instid0(VALU_DEP_1)
	v_add_f32_e64 v3, v3, |v1|
.LBB37_8:                               ;   in Loop: Header=BB37_4 Depth=1
	s_or_b32 exec_lo, exec_lo, s2
	v_add_nc_u32_e32 v6, s12, v14
	s_delay_alu instid0(VALU_DEP_1) | instskip(SKIP_2) | instid1(SALU_CYCLE_1)
	v_cmp_gt_i64_e32 vcc_lo, s[8:9], v[6:7]
	v_cmp_gt_u32_e64 s2, 0x10000, v6
	s_and_b32 s5, s2, vcc_lo
	s_and_saveexec_b32 s2, s5
	s_cbranch_execz .LBB37_10
; %bb.9:                                ;   in Loop: Header=BB37_4 Depth=1
	v_lshl_add_u64 v[8:9], v[6:7], 3, s[6:7]
	global_load_b64 v[8:9], v[8:9], off
	s_wait_loadcnt 0x0
	v_cvt_f32_f64_e32 v1, v[8:9]
	s_delay_alu instid0(VALU_DEP_1)
	v_add_f32_e64 v4, v4, |v1|
.LBB37_10:                              ;   in Loop: Header=BB37_4 Depth=1
	s_or_b32 exec_lo, exec_lo, s2
	v_add_nc_u32_e32 v6, s12, v12
	s_delay_alu instid0(VALU_DEP_1) | instskip(SKIP_2) | instid1(SALU_CYCLE_1)
	v_cmp_gt_i64_e32 vcc_lo, s[8:9], v[6:7]
	v_cmp_gt_u32_e64 s2, 0x10000, v6
	s_and_b32 s5, s2, vcc_lo
	s_and_saveexec_b32 s2, s5
	s_cbranch_execz .LBB37_3
; %bb.11:                               ;   in Loop: Header=BB37_4 Depth=1
	v_lshl_add_u64 v[8:9], v[6:7], 3, s[6:7]
	global_load_b64 v[8:9], v[8:9], off
	s_wait_loadcnt 0x0
	v_cvt_f32_f64_e32 v1, v[8:9]
	s_delay_alu instid0(VALU_DEP_1)
	v_add_f32_e64 v5, v5, |v1|
	s_branch .LBB37_3
.LBB37_12:
	s_mov_b32 s3, -1
                                        ; implicit-def: $vgpr2_vgpr3_vgpr4_vgpr5
.LBB37_13:
	s_delay_alu instid0(SALU_CYCLE_1)
	s_and_not1_b32 vcc_lo, exec_lo, s3
	s_cbranch_vccnz .LBB37_19
.LBB37_14:
	v_min_i64 v[6:7], 0x10000, s[8:9]
	v_dual_mov_b32 v2, 0 :: v_dual_lshlrev_b32 v4, 2, v0
	s_mov_b32 s3, 0
	s_delay_alu instid0(VALU_DEP_1) | instskip(NEXT) | instid1(VALU_DEP_1)
	v_dual_mov_b32 v5, v2 :: v_dual_mov_b32 v3, v2
	v_cmp_lt_i64_e32 vcc_lo, v[4:5], v[6:7]
	v_mov_b32_e32 v4, v2
	s_and_saveexec_b32 s5, vcc_lo
	s_cbranch_execz .LBB37_18
; %bb.15:
	s_load_b32 s2, s[0:1], 0xd4c
	v_dual_mov_b32 v5, v2 :: v_dual_lshlrev_b32 v4, 5, v0
	v_dual_mov_b32 v1, v2 :: v_dual_mov_b32 v3, v2
	s_mov_b32 s8, s3
	s_delay_alu instid0(VALU_DEP_2) | instskip(NEXT) | instid1(VALU_DEP_2)
	v_add_nc_u64_e32 v[8:9], s[6:7], v[4:5]
	v_mov_b64_e32 v[10:11], v[0:1]
	v_mov_b32_e32 v4, v2
	s_mov_b32 s7, s3
	s_delay_alu instid0(VALU_DEP_3) | instskip(SKIP_2) | instid1(SALU_CYCLE_1)
	v_add_nc_u64_e32 v[8:9], 16, v[8:9]
	s_wait_kmcnt 0x0
	s_and_b32 s2, s2, 0xffff
	s_lshl_b32 s6, s2, 5
.LBB37_16:                              ; =>This Inner Loop Header: Depth=1
	s_clause 0x1
	global_load_b128 v[14:17], v[8:9], off offset:-16
	global_load_b128 v[18:21], v[8:9], off
	v_add_nc_u64_e32 v[10:11], s[2:3], v[10:11]
	s_wait_xcnt 0x0
	v_add_nc_u64_e32 v[8:9], s[6:7], v[8:9]
	s_wait_loadcnt 0x1
	v_cvt_f32_f64_e32 v1, v[16:17]
	s_wait_loadcnt 0x0
	v_cvt_f32_f64_e32 v12, v[20:21]
	v_cvt_f32_f64_e32 v16, v[18:19]
	;; [unrolled: 1-line block ×3, first 2 shown]
	v_lshlrev_b64_e32 v[14:15], 2, v[10:11]
	s_delay_alu instid0(VALU_DEP_1)
	v_cmp_ge_i64_e32 vcc_lo, v[14:15], v[6:7]
	s_or_b32 s8, vcc_lo, s8
	v_and_b32_e32 v15, 0x7fffffff, v1
	v_and_b32_e32 v17, 0x7fffffff, v12
	;; [unrolled: 1-line block ×4, first 2 shown]
	s_delay_alu instid0(VALU_DEP_2) | instskip(NEXT) | instid1(VALU_DEP_2)
	v_pk_add_f32 v[4:5], v[4:5], v[16:17]
	v_pk_add_f32 v[2:3], v[2:3], v[14:15]
	s_and_not1_b32 exec_lo, exec_lo, s8
	s_cbranch_execnz .LBB37_16
; %bb.17:
	s_or_b32 exec_lo, exec_lo, s8
.LBB37_18:
	s_delay_alu instid0(SALU_CYCLE_1)
	s_or_b32 exec_lo, exec_lo, s5
.LBB37_19:
	v_add_f32_e32 v1, 0, v2
	v_mbcnt_lo_u32_b32 v6, -1, 0
	s_mov_b32 s2, exec_lo
	s_barrier_signal -1
	s_delay_alu instid0(VALU_DEP_2) | instskip(NEXT) | instid1(VALU_DEP_2)
	v_add_f32_e32 v1, v3, v1
	v_cmp_gt_u32_e32 vcc_lo, 24, v6
	s_barrier_wait -1
	s_delay_alu instid0(VALU_DEP_2) | instskip(SKIP_1) | instid1(VALU_DEP_2)
	v_add_f32_e32 v2, v4, v1
	v_lshl_or_b32 v1, v6, 2, 64
	v_add_f32_e32 v3, v5, v2
	v_cndmask_b32_e64 v2, 0, 8, vcc_lo
	v_cmp_gt_u32_e32 vcc_lo, 28, v6
	ds_bpermute_b32 v4, v1, v3
	v_add_lshl_u32 v2, v2, v6, 2
	s_wait_dscnt 0x0
	v_add_f32_e32 v4, v3, v4
	v_cndmask_b32_e64 v3, 0, 4, vcc_lo
	v_cmp_gt_u32_e32 vcc_lo, 30, v6
	ds_bpermute_b32 v5, v2, v4
	v_add_lshl_u32 v3, v3, v6, 2
	s_wait_dscnt 0x0
	v_add_f32_e32 v5, v4, v5
	v_cndmask_b32_e64 v4, 0, 2, vcc_lo
	v_cmp_ne_u32_e32 vcc_lo, 31, v6
	ds_bpermute_b32 v7, v3, v5
	v_add_lshl_u32 v4, v4, v6, 2
	v_add_co_ci_u32_e64 v8, null, 0, v6, vcc_lo
	s_wait_dscnt 0x0
	v_add_f32_e32 v5, v5, v7
	ds_bpermute_b32 v7, v4, v5
	s_wait_dscnt 0x0
	v_dual_add_f32 v6, v5, v7 :: v_dual_lshlrev_b32 v5, 2, v8
	v_and_b32_e32 v7, 31, v0
	ds_bpermute_b32 v8, v5, v6
	v_cmpx_eq_u32_e32 0, v7
	s_cbranch_execz .LBB37_21
; %bb.20:
	v_lshrrev_b32_e32 v9, 3, v0
	s_wait_dscnt 0x0
	v_add_f32_e32 v6, v6, v8
	ds_store_b32 v9, v6
.LBB37_21:
	s_or_b32 exec_lo, exec_lo, s2
	s_wait_dscnt 0x0
	s_barrier_signal -1
	s_barrier_wait -1
	s_load_b32 s2, s[0:1], 0xd4c
	v_mov_b32_e32 v6, 0
	s_wait_kmcnt 0x0
	s_bfe_u32 s2, s2, 0xb0005
	s_delay_alu instid0(SALU_CYCLE_1)
	v_cmp_gt_u32_e32 vcc_lo, s2, v0
	s_and_saveexec_b32 s2, vcc_lo
; %bb.22:
	v_lshlrev_b32_e32 v6, 2, v7
	ds_load_b32 v6, v6
; %bb.23:
	s_or_b32 exec_lo, exec_lo, s2
	s_delay_alu instid0(SALU_CYCLE_1)
	s_mov_b32 s2, exec_lo
	v_cmpx_gt_u32_e32 32, v0
	s_cbranch_execz .LBB37_25
; %bb.24:
	s_wait_dscnt 0x0
	ds_bpermute_b32 v1, v1, v6
	s_wait_dscnt 0x0
	v_add_f32_e32 v1, v6, v1
	ds_bpermute_b32 v2, v2, v1
	s_wait_dscnt 0x0
	v_add_f32_e32 v1, v1, v2
	;; [unrolled: 3-line block ×5, first 2 shown]
.LBB37_25:
	s_or_b32 exec_lo, exec_lo, s2
	s_delay_alu instid0(SALU_CYCLE_1)
	s_mov_b32 s2, exec_lo
	v_cmpx_eq_u32_e32 0, v0
	s_cbranch_execz .LBB37_27
; %bb.26:
	s_clause 0x1
	s_load_b32 s2, s[0:1], 0xd20
	s_load_b96 s[8:10], s[0:1], 0xd30
	v_and_b32_e32 v0, 0xff, v13
	s_wait_kmcnt 0x0
	s_delay_alu instid0(VALU_DEP_1) | instskip(NEXT) | instid1(VALU_DEP_1)
	v_add_nc_u32_e32 v0, s2, v0
	v_mul_lo_u32 v0, v0, s10
	s_delay_alu instid0(VALU_DEP_1)
	v_add_nc_u32_e32 v0, s4, v0
	s_wait_dscnt 0x0
	global_store_b32 v0, v6, s[8:9] scale_offset
.LBB37_27:
	s_endpgm
.LBB37_28:
	v_mov_b32_e32 v2, 0
	s_delay_alu instid0(VALU_DEP_1)
	v_dual_mov_b32 v3, v2 :: v_dual_mov_b32 v4, v2
	v_mov_b32_e32 v5, v2
	s_and_not1_b32 vcc_lo, exec_lo, s3
	s_cbranch_vccz .LBB37_14
	s_branch .LBB37_19
	.section	.rodata,"a",@progbits
	.p2align	6, 0x0
	.amdhsa_kernel _ZN2at6native12_GLOBAL__N_125multi_tensor_apply_kernelINS1_18TensorListMetadataILi1EEENS0_13LpNormFunctorIdLNS0_8NormTypeE1EN3c104HalfELi1ELi1ELi0EEEJPfiEEEvT_T0_DpT1_
		.amdhsa_group_segment_fixed_size 2048
		.amdhsa_private_segment_fixed_size 0
		.amdhsa_kernarg_size 3648
		.amdhsa_user_sgpr_count 2
		.amdhsa_user_sgpr_dispatch_ptr 0
		.amdhsa_user_sgpr_queue_ptr 0
		.amdhsa_user_sgpr_kernarg_segment_ptr 1
		.amdhsa_user_sgpr_dispatch_id 0
		.amdhsa_user_sgpr_kernarg_preload_length 0
		.amdhsa_user_sgpr_kernarg_preload_offset 0
		.amdhsa_user_sgpr_private_segment_size 0
		.amdhsa_wavefront_size32 1
		.amdhsa_uses_dynamic_stack 0
		.amdhsa_enable_private_segment 0
		.amdhsa_system_sgpr_workgroup_id_x 1
		.amdhsa_system_sgpr_workgroup_id_y 0
		.amdhsa_system_sgpr_workgroup_id_z 0
		.amdhsa_system_sgpr_workgroup_info 0
		.amdhsa_system_vgpr_workitem_id 0
		.amdhsa_next_free_vgpr 22
		.amdhsa_next_free_sgpr 14
		.amdhsa_named_barrier_count 0
		.amdhsa_reserve_vcc 1
		.amdhsa_float_round_mode_32 0
		.amdhsa_float_round_mode_16_64 0
		.amdhsa_float_denorm_mode_32 3
		.amdhsa_float_denorm_mode_16_64 3
		.amdhsa_fp16_overflow 0
		.amdhsa_memory_ordered 1
		.amdhsa_forward_progress 1
		.amdhsa_inst_pref_size 12
		.amdhsa_round_robin_scheduling 0
		.amdhsa_exception_fp_ieee_invalid_op 0
		.amdhsa_exception_fp_denorm_src 0
		.amdhsa_exception_fp_ieee_div_zero 0
		.amdhsa_exception_fp_ieee_overflow 0
		.amdhsa_exception_fp_ieee_underflow 0
		.amdhsa_exception_fp_ieee_inexact 0
		.amdhsa_exception_int_div_zero 0
	.end_amdhsa_kernel
	.section	.text._ZN2at6native12_GLOBAL__N_125multi_tensor_apply_kernelINS1_18TensorListMetadataILi1EEENS0_13LpNormFunctorIdLNS0_8NormTypeE1EN3c104HalfELi1ELi1ELi0EEEJPfiEEEvT_T0_DpT1_,"axG",@progbits,_ZN2at6native12_GLOBAL__N_125multi_tensor_apply_kernelINS1_18TensorListMetadataILi1EEENS0_13LpNormFunctorIdLNS0_8NormTypeE1EN3c104HalfELi1ELi1ELi0EEEJPfiEEEvT_T0_DpT1_,comdat
.Lfunc_end37:
	.size	_ZN2at6native12_GLOBAL__N_125multi_tensor_apply_kernelINS1_18TensorListMetadataILi1EEENS0_13LpNormFunctorIdLNS0_8NormTypeE1EN3c104HalfELi1ELi1ELi0EEEJPfiEEEvT_T0_DpT1_, .Lfunc_end37-_ZN2at6native12_GLOBAL__N_125multi_tensor_apply_kernelINS1_18TensorListMetadataILi1EEENS0_13LpNormFunctorIdLNS0_8NormTypeE1EN3c104HalfELi1ELi1ELi0EEEJPfiEEEvT_T0_DpT1_
                                        ; -- End function
	.set _ZN2at6native12_GLOBAL__N_125multi_tensor_apply_kernelINS1_18TensorListMetadataILi1EEENS0_13LpNormFunctorIdLNS0_8NormTypeE1EN3c104HalfELi1ELi1ELi0EEEJPfiEEEvT_T0_DpT1_.num_vgpr, 22
	.set _ZN2at6native12_GLOBAL__N_125multi_tensor_apply_kernelINS1_18TensorListMetadataILi1EEENS0_13LpNormFunctorIdLNS0_8NormTypeE1EN3c104HalfELi1ELi1ELi0EEEJPfiEEEvT_T0_DpT1_.num_agpr, 0
	.set _ZN2at6native12_GLOBAL__N_125multi_tensor_apply_kernelINS1_18TensorListMetadataILi1EEENS0_13LpNormFunctorIdLNS0_8NormTypeE1EN3c104HalfELi1ELi1ELi0EEEJPfiEEEvT_T0_DpT1_.numbered_sgpr, 14
	.set _ZN2at6native12_GLOBAL__N_125multi_tensor_apply_kernelINS1_18TensorListMetadataILi1EEENS0_13LpNormFunctorIdLNS0_8NormTypeE1EN3c104HalfELi1ELi1ELi0EEEJPfiEEEvT_T0_DpT1_.num_named_barrier, 0
	.set _ZN2at6native12_GLOBAL__N_125multi_tensor_apply_kernelINS1_18TensorListMetadataILi1EEENS0_13LpNormFunctorIdLNS0_8NormTypeE1EN3c104HalfELi1ELi1ELi0EEEJPfiEEEvT_T0_DpT1_.private_seg_size, 0
	.set _ZN2at6native12_GLOBAL__N_125multi_tensor_apply_kernelINS1_18TensorListMetadataILi1EEENS0_13LpNormFunctorIdLNS0_8NormTypeE1EN3c104HalfELi1ELi1ELi0EEEJPfiEEEvT_T0_DpT1_.uses_vcc, 1
	.set _ZN2at6native12_GLOBAL__N_125multi_tensor_apply_kernelINS1_18TensorListMetadataILi1EEENS0_13LpNormFunctorIdLNS0_8NormTypeE1EN3c104HalfELi1ELi1ELi0EEEJPfiEEEvT_T0_DpT1_.uses_flat_scratch, 0
	.set _ZN2at6native12_GLOBAL__N_125multi_tensor_apply_kernelINS1_18TensorListMetadataILi1EEENS0_13LpNormFunctorIdLNS0_8NormTypeE1EN3c104HalfELi1ELi1ELi0EEEJPfiEEEvT_T0_DpT1_.has_dyn_sized_stack, 0
	.set _ZN2at6native12_GLOBAL__N_125multi_tensor_apply_kernelINS1_18TensorListMetadataILi1EEENS0_13LpNormFunctorIdLNS0_8NormTypeE1EN3c104HalfELi1ELi1ELi0EEEJPfiEEEvT_T0_DpT1_.has_recursion, 0
	.set _ZN2at6native12_GLOBAL__N_125multi_tensor_apply_kernelINS1_18TensorListMetadataILi1EEENS0_13LpNormFunctorIdLNS0_8NormTypeE1EN3c104HalfELi1ELi1ELi0EEEJPfiEEEvT_T0_DpT1_.has_indirect_call, 0
	.section	.AMDGPU.csdata,"",@progbits
; Kernel info:
; codeLenInByte = 1464
; TotalNumSgprs: 16
; NumVgprs: 22
; ScratchSize: 0
; MemoryBound: 0
; FloatMode: 240
; IeeeMode: 1
; LDSByteSize: 2048 bytes/workgroup (compile time only)
; SGPRBlocks: 0
; VGPRBlocks: 1
; NumSGPRsForWavesPerEU: 16
; NumVGPRsForWavesPerEU: 22
; NamedBarCnt: 0
; Occupancy: 16
; WaveLimiterHint : 0
; COMPUTE_PGM_RSRC2:SCRATCH_EN: 0
; COMPUTE_PGM_RSRC2:USER_SGPR: 2
; COMPUTE_PGM_RSRC2:TRAP_HANDLER: 0
; COMPUTE_PGM_RSRC2:TGID_X_EN: 1
; COMPUTE_PGM_RSRC2:TGID_Y_EN: 0
; COMPUTE_PGM_RSRC2:TGID_Z_EN: 0
; COMPUTE_PGM_RSRC2:TIDIG_COMP_CNT: 0
	.section	.text._ZN2at6native12_GLOBAL__N_125multi_tensor_apply_kernelINS1_18TensorListMetadataILi1EEENS0_13LpNormFunctorIdLNS0_8NormTypeE2EN3c104HalfELi1ELi1ELi0EEEJPfiEEEvT_T0_DpT1_,"axG",@progbits,_ZN2at6native12_GLOBAL__N_125multi_tensor_apply_kernelINS1_18TensorListMetadataILi1EEENS0_13LpNormFunctorIdLNS0_8NormTypeE2EN3c104HalfELi1ELi1ELi0EEEJPfiEEEvT_T0_DpT1_,comdat
	.globl	_ZN2at6native12_GLOBAL__N_125multi_tensor_apply_kernelINS1_18TensorListMetadataILi1EEENS0_13LpNormFunctorIdLNS0_8NormTypeE2EN3c104HalfELi1ELi1ELi0EEEJPfiEEEvT_T0_DpT1_ ; -- Begin function _ZN2at6native12_GLOBAL__N_125multi_tensor_apply_kernelINS1_18TensorListMetadataILi1EEENS0_13LpNormFunctorIdLNS0_8NormTypeE2EN3c104HalfELi1ELi1ELi0EEEJPfiEEEvT_T0_DpT1_
	.p2align	8
	.type	_ZN2at6native12_GLOBAL__N_125multi_tensor_apply_kernelINS1_18TensorListMetadataILi1EEENS0_13LpNormFunctorIdLNS0_8NormTypeE2EN3c104HalfELi1ELi1ELi0EEEJPfiEEEvT_T0_DpT1_,@function
_ZN2at6native12_GLOBAL__N_125multi_tensor_apply_kernelINS1_18TensorListMetadataILi1EEENS0_13LpNormFunctorIdLNS0_8NormTypeE2EN3c104HalfELi1ELi1ELi0EEEJPfiEEEvT_T0_DpT1_: ; @_ZN2at6native12_GLOBAL__N_125multi_tensor_apply_kernelINS1_18TensorListMetadataILi1EEENS0_13LpNormFunctorIdLNS0_8NormTypeE2EN3c104HalfELi1ELi1ELi0EEEJPfiEEEvT_T0_DpT1_
; %bb.0:
	s_bfe_u32 s2, ttmp6, 0x4000c
	s_and_b32 s3, ttmp6, 15
	s_add_co_i32 s2, s2, 1
	s_getreg_b32 s4, hwreg(HW_REG_IB_STS2, 6, 4)
	s_mul_i32 s2, ttmp9, s2
	s_delay_alu instid0(SALU_CYCLE_1)
	s_add_co_i32 s3, s3, s2
	s_cmp_eq_u32 s4, 0
	s_cselect_b32 s2, ttmp9, s3
	s_mov_b32 s3, 0
	v_mov_b32_e32 v1, s2
	s_add_nc_u64 s[4:5], s[0:1], s[2:3]
	s_mul_u64 s[6:7], s[2:3], 3
	s_delay_alu instid0(SALU_CYCLE_1) | instskip(SKIP_4) | instid1(SALU_CYCLE_1)
	s_add_nc_u64 s[4:5], s[4:5], s[6:7]
	global_load_u8 v15, v1, s[0:1] offset:1760
	s_load_b32 s4, s[4:5], 0x820
	s_wait_kmcnt 0x0
	s_ashr_i32 s5, s4, 31
	s_lshl_b64 s[10:11], s[4:5], 19
	s_lshl_b64 s[12:13], s[4:5], 16
	s_wait_loadcnt 0x0
	v_readfirstlane_b32 s2, v15
	s_and_b32 s2, s2, 0xff
	s_clause 0x1
	s_load_b64 s[6:7], s[0:1], s2 offset:0x0 scale_offset
	s_load_b64 s[8:9], s[0:1], s2 offset:0x370 scale_offset
	s_wait_kmcnt 0x0
	s_add_nc_u64 s[6:7], s[6:7], s[10:11]
	s_and_b32 s2, s8, 3
	s_and_b64 s[10:11], s[6:7], 31
	s_sub_nc_u64 s[8:9], s[8:9], s[12:13]
	s_or_b64 s[10:11], s[2:3], s[10:11]
	s_delay_alu instid0(SALU_CYCLE_1)
	s_cmp_eq_u64 s[10:11], 0
	s_cbranch_scc1 .LBB38_12
; %bb.1:
	v_cmp_lt_i64_e64 s2, s[8:9], 1
	s_and_b32 vcc_lo, exec_lo, s2
	s_cbranch_vccnz .LBB38_28
; %bb.2:
	s_load_b32 s2, s[0:1], 0xd4c
	v_min_i64 v[10:11], 0x10000, s[8:9]
	s_mov_b32 s11, 0
	s_mov_b64 s[12:13], 0
	s_wait_kmcnt 0x0
	s_and_b32 s2, s2, 0xffff
	s_delay_alu instid0(SALU_CYCLE_1) | instskip(SKIP_3) | instid1(VALU_DEP_3)
	v_dual_mov_b32 v7, 0 :: v_dual_add_nc_u32 v16, s2, v0
	v_mad_u32 v12, s2, 3, v0
	v_lshl_add_u32 v14, s2, 1, v0
	s_lshl_b32 s10, s2, 2
	v_dual_mov_b32 v6, v7 :: v_dual_mov_b32 v8, v7
	v_mov_b32_e32 v9, v7
	s_delay_alu instid0(VALU_DEP_2) | instskip(NEXT) | instid1(VALU_DEP_2)
	v_mov_b64_e32 v[2:3], v[6:7]
	v_mov_b64_e32 v[4:5], v[8:9]
	s_branch .LBB38_4
.LBB38_3:                               ;   in Loop: Header=BB38_4 Depth=1
	s_or_b32 exec_lo, exec_lo, s2
	s_add_nc_u64 s[12:13], s[12:13], s[10:11]
	s_delay_alu instid0(SALU_CYCLE_1)
	v_cmp_lt_i64_e32 vcc_lo, s[12:13], v[10:11]
	s_cbranch_vccz .LBB38_13
.LBB38_4:                               ; =>This Inner Loop Header: Depth=1
	v_add_nc_u32_e32 v6, s12, v0
	s_delay_alu instid0(VALU_DEP_1) | instskip(SKIP_2) | instid1(SALU_CYCLE_1)
	v_cmp_gt_i64_e32 vcc_lo, s[8:9], v[6:7]
	v_cmp_gt_u32_e64 s2, 0x10000, v6
	s_and_b32 s5, s2, vcc_lo
	s_and_saveexec_b32 s2, s5
	s_cbranch_execz .LBB38_6
; %bb.5:                                ;   in Loop: Header=BB38_4 Depth=1
	v_lshl_add_u64 v[8:9], v[6:7], 3, s[6:7]
	global_load_b64 v[8:9], v[8:9], off
	s_wait_loadcnt 0x0
	v_cvt_f32_f64_e32 v1, v[8:9]
	s_delay_alu instid0(VALU_DEP_1)
	v_fma_f32 v2, v1, v1, v2
.LBB38_6:                               ;   in Loop: Header=BB38_4 Depth=1
	s_or_b32 exec_lo, exec_lo, s2
	v_add_nc_u32_e32 v6, s12, v16
	s_delay_alu instid0(VALU_DEP_1) | instskip(SKIP_2) | instid1(SALU_CYCLE_1)
	v_cmp_gt_i64_e32 vcc_lo, s[8:9], v[6:7]
	v_cmp_gt_u32_e64 s2, 0x10000, v6
	s_and_b32 s5, s2, vcc_lo
	s_and_saveexec_b32 s2, s5
	s_cbranch_execz .LBB38_8
; %bb.7:                                ;   in Loop: Header=BB38_4 Depth=1
	v_lshl_add_u64 v[8:9], v[6:7], 3, s[6:7]
	global_load_b64 v[8:9], v[8:9], off
	s_wait_loadcnt 0x0
	v_cvt_f32_f64_e32 v1, v[8:9]
	s_delay_alu instid0(VALU_DEP_1)
	v_fma_f32 v3, v1, v1, v3
.LBB38_8:                               ;   in Loop: Header=BB38_4 Depth=1
	s_or_b32 exec_lo, exec_lo, s2
	v_add_nc_u32_e32 v6, s12, v14
	s_delay_alu instid0(VALU_DEP_1) | instskip(SKIP_2) | instid1(SALU_CYCLE_1)
	v_cmp_gt_i64_e32 vcc_lo, s[8:9], v[6:7]
	v_cmp_gt_u32_e64 s2, 0x10000, v6
	s_and_b32 s5, s2, vcc_lo
	s_and_saveexec_b32 s2, s5
	s_cbranch_execz .LBB38_10
; %bb.9:                                ;   in Loop: Header=BB38_4 Depth=1
	v_lshl_add_u64 v[8:9], v[6:7], 3, s[6:7]
	global_load_b64 v[8:9], v[8:9], off
	s_wait_loadcnt 0x0
	v_cvt_f32_f64_e32 v1, v[8:9]
	s_delay_alu instid0(VALU_DEP_1)
	v_fma_f32 v4, v1, v1, v4
.LBB38_10:                              ;   in Loop: Header=BB38_4 Depth=1
	s_or_b32 exec_lo, exec_lo, s2
	v_add_nc_u32_e32 v6, s12, v12
	s_delay_alu instid0(VALU_DEP_1) | instskip(SKIP_2) | instid1(SALU_CYCLE_1)
	v_cmp_gt_i64_e32 vcc_lo, s[8:9], v[6:7]
	v_cmp_gt_u32_e64 s2, 0x10000, v6
	s_and_b32 s5, s2, vcc_lo
	s_and_saveexec_b32 s2, s5
	s_cbranch_execz .LBB38_3
; %bb.11:                               ;   in Loop: Header=BB38_4 Depth=1
	v_lshl_add_u64 v[8:9], v[6:7], 3, s[6:7]
	global_load_b64 v[8:9], v[8:9], off
	s_wait_loadcnt 0x0
	v_cvt_f32_f64_e32 v1, v[8:9]
	s_delay_alu instid0(VALU_DEP_1)
	v_fma_f32 v5, v1, v1, v5
	s_branch .LBB38_3
.LBB38_12:
	s_mov_b32 s3, -1
                                        ; implicit-def: $vgpr2_vgpr3_vgpr4_vgpr5
.LBB38_13:
	s_delay_alu instid0(SALU_CYCLE_1)
	s_and_not1_b32 vcc_lo, exec_lo, s3
	s_cbranch_vccnz .LBB38_19
.LBB38_14:
	v_min_i64 v[8:9], 0x10000, s[8:9]
	v_dual_mov_b32 v3, 0 :: v_dual_lshlrev_b32 v2, 2, v0
	s_mov_b32 s3, 0
	s_delay_alu instid0(VALU_DEP_1) | instskip(NEXT) | instid1(VALU_DEP_2)
	v_dual_mov_b32 v5, v3 :: v_dual_mov_b32 v4, v3
	v_cmp_lt_i64_e32 vcc_lo, v[2:3], v[8:9]
	v_mov_b32_e32 v2, v3
	s_and_saveexec_b32 s5, vcc_lo
	s_cbranch_execz .LBB38_18
; %bb.15:
	s_load_b32 s2, s[0:1], 0xd4c
	v_dual_mov_b32 v1, v3 :: v_dual_lshlrev_b32 v2, 5, v0
	v_dual_mov_b32 v5, 0 :: v_dual_mov_b32 v6, 0
	v_mov_b32_e32 v7, 0
	s_delay_alu instid0(VALU_DEP_3) | instskip(NEXT) | instid1(VALU_DEP_4)
	v_add_nc_u64_e32 v[10:11], s[6:7], v[2:3]
	v_mov_b64_e32 v[12:13], v[0:1]
	s_mov_b32 s7, s3
	s_mov_b32 s8, s3
	s_delay_alu instid0(VALU_DEP_2) | instskip(SKIP_2) | instid1(SALU_CYCLE_1)
	v_add_nc_u64_e32 v[10:11], 16, v[10:11]
	s_wait_kmcnt 0x0
	s_and_b32 s2, s2, 0xffff
	s_lshl_b32 s6, s2, 5
.LBB38_16:                              ; =>This Inner Loop Header: Depth=1
	s_clause 0x1
	global_load_b128 v[16:19], v[10:11], off offset:-16
	global_load_b128 v[20:23], v[10:11], off
	v_add_nc_u64_e32 v[12:13], s[2:3], v[12:13]
	s_wait_xcnt 0x0
	v_add_nc_u64_e32 v[10:11], s[6:7], v[10:11]
	s_wait_loadcnt 0x1
	v_cvt_f32_f64_e32 v1, v[16:17]
	v_cvt_f32_f64_e32 v2, v[18:19]
	s_wait_loadcnt 0x0
	v_cvt_f32_f64_e32 v4, v[20:21]
	v_cvt_f32_f64_e32 v14, v[22:23]
	v_lshlrev_b64_e32 v[16:17], 2, v[12:13]
	s_delay_alu instid0(VALU_DEP_1) | instskip(SKIP_2) | instid1(VALU_DEP_4)
	v_cmp_ge_i64_e32 vcc_lo, v[16:17], v[8:9]
	s_or_b32 s8, vcc_lo, s8
	v_dual_fmac_f32 v3, v1, v1 :: v_dual_fmac_f32 v5, v2, v2
	v_dual_fmac_f32 v6, v4, v4 :: v_dual_fmac_f32 v7, v14, v14
	s_and_not1_b32 exec_lo, exec_lo, s8
	s_cbranch_execnz .LBB38_16
; %bb.17:
	s_or_b32 exec_lo, exec_lo, s8
	v_mov_b32_e32 v4, v3
	s_delay_alu instid0(VALU_DEP_1)
	v_mov_b64_e32 v[2:3], v[4:5]
	v_mov_b64_e32 v[4:5], v[6:7]
.LBB38_18:
	s_or_b32 exec_lo, exec_lo, s5
.LBB38_19:
	s_delay_alu instid0(VALU_DEP_1) | instskip(SKIP_3) | instid1(VALU_DEP_2)
	v_add_f32_e32 v1, 0, v2
	v_mbcnt_lo_u32_b32 v6, -1, 0
	s_mov_b32 s2, exec_lo
	s_barrier_signal -1
	v_add_f32_e32 v1, v3, v1
	s_delay_alu instid0(VALU_DEP_2) | instskip(SKIP_1) | instid1(VALU_DEP_2)
	v_cmp_gt_u32_e32 vcc_lo, 24, v6
	s_barrier_wait -1
	v_add_f32_e32 v2, v4, v1
	v_lshl_or_b32 v1, v6, 2, 64
	s_delay_alu instid0(VALU_DEP_2)
	v_add_f32_e32 v3, v5, v2
	v_cndmask_b32_e64 v2, 0, 8, vcc_lo
	v_cmp_gt_u32_e32 vcc_lo, 28, v6
	ds_bpermute_b32 v4, v1, v3
	v_add_lshl_u32 v2, v2, v6, 2
	s_wait_dscnt 0x0
	v_add_f32_e32 v4, v3, v4
	v_cndmask_b32_e64 v3, 0, 4, vcc_lo
	v_cmp_gt_u32_e32 vcc_lo, 30, v6
	ds_bpermute_b32 v5, v2, v4
	v_add_lshl_u32 v3, v3, v6, 2
	s_wait_dscnt 0x0
	v_add_f32_e32 v5, v4, v5
	v_cndmask_b32_e64 v4, 0, 2, vcc_lo
	v_cmp_ne_u32_e32 vcc_lo, 31, v6
	ds_bpermute_b32 v7, v3, v5
	v_add_lshl_u32 v4, v4, v6, 2
	v_add_co_ci_u32_e64 v8, null, 0, v6, vcc_lo
	s_wait_dscnt 0x0
	v_add_f32_e32 v5, v5, v7
	ds_bpermute_b32 v7, v4, v5
	s_wait_dscnt 0x0
	v_dual_add_f32 v6, v5, v7 :: v_dual_lshlrev_b32 v5, 2, v8
	v_and_b32_e32 v7, 31, v0
	ds_bpermute_b32 v8, v5, v6
	v_cmpx_eq_u32_e32 0, v7
	s_cbranch_execz .LBB38_21
; %bb.20:
	v_lshrrev_b32_e32 v9, 3, v0
	s_wait_dscnt 0x0
	v_add_f32_e32 v6, v6, v8
	ds_store_b32 v9, v6
.LBB38_21:
	s_or_b32 exec_lo, exec_lo, s2
	s_wait_dscnt 0x0
	s_barrier_signal -1
	s_barrier_wait -1
	s_load_b32 s2, s[0:1], 0xd4c
	v_mov_b32_e32 v6, 0
	s_wait_kmcnt 0x0
	s_bfe_u32 s2, s2, 0xb0005
	s_delay_alu instid0(SALU_CYCLE_1)
	v_cmp_gt_u32_e32 vcc_lo, s2, v0
	s_and_saveexec_b32 s2, vcc_lo
; %bb.22:
	v_lshlrev_b32_e32 v6, 2, v7
	ds_load_b32 v6, v6
; %bb.23:
	s_or_b32 exec_lo, exec_lo, s2
	s_delay_alu instid0(SALU_CYCLE_1)
	s_mov_b32 s2, exec_lo
	v_cmpx_gt_u32_e32 32, v0
	s_cbranch_execz .LBB38_25
; %bb.24:
	s_wait_dscnt 0x0
	ds_bpermute_b32 v1, v1, v6
	s_wait_dscnt 0x0
	v_add_f32_e32 v1, v6, v1
	ds_bpermute_b32 v2, v2, v1
	s_wait_dscnt 0x0
	v_add_f32_e32 v1, v1, v2
	;; [unrolled: 3-line block ×5, first 2 shown]
.LBB38_25:
	s_or_b32 exec_lo, exec_lo, s2
	s_delay_alu instid0(SALU_CYCLE_1)
	s_mov_b32 s2, exec_lo
	v_cmpx_eq_u32_e32 0, v0
	s_cbranch_execz .LBB38_27
; %bb.26:
	s_clause 0x1
	s_load_b32 s2, s[0:1], 0xd20
	s_load_b96 s[8:10], s[0:1], 0xd30
	v_and_b32_e32 v0, 0xff, v15
	s_wait_kmcnt 0x0
	s_delay_alu instid0(VALU_DEP_1) | instskip(NEXT) | instid1(VALU_DEP_1)
	v_add_nc_u32_e32 v0, s2, v0
	v_mul_lo_u32 v0, v0, s10
	s_delay_alu instid0(VALU_DEP_1)
	v_add_nc_u32_e32 v0, s4, v0
	s_wait_dscnt 0x0
	global_store_b32 v0, v6, s[8:9] scale_offset
.LBB38_27:
	s_endpgm
.LBB38_28:
	v_mov_b32_e32 v2, 0
	s_delay_alu instid0(VALU_DEP_1)
	v_dual_mov_b32 v3, v2 :: v_dual_mov_b32 v4, v2
	v_mov_b32_e32 v5, v2
	s_and_not1_b32 vcc_lo, exec_lo, s3
	s_cbranch_vccz .LBB38_14
	s_branch .LBB38_19
	.section	.rodata,"a",@progbits
	.p2align	6, 0x0
	.amdhsa_kernel _ZN2at6native12_GLOBAL__N_125multi_tensor_apply_kernelINS1_18TensorListMetadataILi1EEENS0_13LpNormFunctorIdLNS0_8NormTypeE2EN3c104HalfELi1ELi1ELi0EEEJPfiEEEvT_T0_DpT1_
		.amdhsa_group_segment_fixed_size 2048
		.amdhsa_private_segment_fixed_size 0
		.amdhsa_kernarg_size 3648
		.amdhsa_user_sgpr_count 2
		.amdhsa_user_sgpr_dispatch_ptr 0
		.amdhsa_user_sgpr_queue_ptr 0
		.amdhsa_user_sgpr_kernarg_segment_ptr 1
		.amdhsa_user_sgpr_dispatch_id 0
		.amdhsa_user_sgpr_kernarg_preload_length 0
		.amdhsa_user_sgpr_kernarg_preload_offset 0
		.amdhsa_user_sgpr_private_segment_size 0
		.amdhsa_wavefront_size32 1
		.amdhsa_uses_dynamic_stack 0
		.amdhsa_enable_private_segment 0
		.amdhsa_system_sgpr_workgroup_id_x 1
		.amdhsa_system_sgpr_workgroup_id_y 0
		.amdhsa_system_sgpr_workgroup_id_z 0
		.amdhsa_system_sgpr_workgroup_info 0
		.amdhsa_system_vgpr_workitem_id 0
		.amdhsa_next_free_vgpr 24
		.amdhsa_next_free_sgpr 14
		.amdhsa_named_barrier_count 0
		.amdhsa_reserve_vcc 1
		.amdhsa_float_round_mode_32 0
		.amdhsa_float_round_mode_16_64 0
		.amdhsa_float_denorm_mode_32 3
		.amdhsa_float_denorm_mode_16_64 3
		.amdhsa_fp16_overflow 0
		.amdhsa_memory_ordered 1
		.amdhsa_forward_progress 1
		.amdhsa_inst_pref_size 12
		.amdhsa_round_robin_scheduling 0
		.amdhsa_exception_fp_ieee_invalid_op 0
		.amdhsa_exception_fp_denorm_src 0
		.amdhsa_exception_fp_ieee_div_zero 0
		.amdhsa_exception_fp_ieee_overflow 0
		.amdhsa_exception_fp_ieee_underflow 0
		.amdhsa_exception_fp_ieee_inexact 0
		.amdhsa_exception_int_div_zero 0
	.end_amdhsa_kernel
	.section	.text._ZN2at6native12_GLOBAL__N_125multi_tensor_apply_kernelINS1_18TensorListMetadataILi1EEENS0_13LpNormFunctorIdLNS0_8NormTypeE2EN3c104HalfELi1ELi1ELi0EEEJPfiEEEvT_T0_DpT1_,"axG",@progbits,_ZN2at6native12_GLOBAL__N_125multi_tensor_apply_kernelINS1_18TensorListMetadataILi1EEENS0_13LpNormFunctorIdLNS0_8NormTypeE2EN3c104HalfELi1ELi1ELi0EEEJPfiEEEvT_T0_DpT1_,comdat
.Lfunc_end38:
	.size	_ZN2at6native12_GLOBAL__N_125multi_tensor_apply_kernelINS1_18TensorListMetadataILi1EEENS0_13LpNormFunctorIdLNS0_8NormTypeE2EN3c104HalfELi1ELi1ELi0EEEJPfiEEEvT_T0_DpT1_, .Lfunc_end38-_ZN2at6native12_GLOBAL__N_125multi_tensor_apply_kernelINS1_18TensorListMetadataILi1EEENS0_13LpNormFunctorIdLNS0_8NormTypeE2EN3c104HalfELi1ELi1ELi0EEEJPfiEEEvT_T0_DpT1_
                                        ; -- End function
	.set _ZN2at6native12_GLOBAL__N_125multi_tensor_apply_kernelINS1_18TensorListMetadataILi1EEENS0_13LpNormFunctorIdLNS0_8NormTypeE2EN3c104HalfELi1ELi1ELi0EEEJPfiEEEvT_T0_DpT1_.num_vgpr, 24
	.set _ZN2at6native12_GLOBAL__N_125multi_tensor_apply_kernelINS1_18TensorListMetadataILi1EEENS0_13LpNormFunctorIdLNS0_8NormTypeE2EN3c104HalfELi1ELi1ELi0EEEJPfiEEEvT_T0_DpT1_.num_agpr, 0
	.set _ZN2at6native12_GLOBAL__N_125multi_tensor_apply_kernelINS1_18TensorListMetadataILi1EEENS0_13LpNormFunctorIdLNS0_8NormTypeE2EN3c104HalfELi1ELi1ELi0EEEJPfiEEEvT_T0_DpT1_.numbered_sgpr, 14
	.set _ZN2at6native12_GLOBAL__N_125multi_tensor_apply_kernelINS1_18TensorListMetadataILi1EEENS0_13LpNormFunctorIdLNS0_8NormTypeE2EN3c104HalfELi1ELi1ELi0EEEJPfiEEEvT_T0_DpT1_.num_named_barrier, 0
	.set _ZN2at6native12_GLOBAL__N_125multi_tensor_apply_kernelINS1_18TensorListMetadataILi1EEENS0_13LpNormFunctorIdLNS0_8NormTypeE2EN3c104HalfELi1ELi1ELi0EEEJPfiEEEvT_T0_DpT1_.private_seg_size, 0
	.set _ZN2at6native12_GLOBAL__N_125multi_tensor_apply_kernelINS1_18TensorListMetadataILi1EEENS0_13LpNormFunctorIdLNS0_8NormTypeE2EN3c104HalfELi1ELi1ELi0EEEJPfiEEEvT_T0_DpT1_.uses_vcc, 1
	.set _ZN2at6native12_GLOBAL__N_125multi_tensor_apply_kernelINS1_18TensorListMetadataILi1EEENS0_13LpNormFunctorIdLNS0_8NormTypeE2EN3c104HalfELi1ELi1ELi0EEEJPfiEEEvT_T0_DpT1_.uses_flat_scratch, 0
	.set _ZN2at6native12_GLOBAL__N_125multi_tensor_apply_kernelINS1_18TensorListMetadataILi1EEENS0_13LpNormFunctorIdLNS0_8NormTypeE2EN3c104HalfELi1ELi1ELi0EEEJPfiEEEvT_T0_DpT1_.has_dyn_sized_stack, 0
	.set _ZN2at6native12_GLOBAL__N_125multi_tensor_apply_kernelINS1_18TensorListMetadataILi1EEENS0_13LpNormFunctorIdLNS0_8NormTypeE2EN3c104HalfELi1ELi1ELi0EEEJPfiEEEvT_T0_DpT1_.has_recursion, 0
	.set _ZN2at6native12_GLOBAL__N_125multi_tensor_apply_kernelINS1_18TensorListMetadataILi1EEENS0_13LpNormFunctorIdLNS0_8NormTypeE2EN3c104HalfELi1ELi1ELi0EEEJPfiEEEvT_T0_DpT1_.has_indirect_call, 0
	.section	.AMDGPU.csdata,"",@progbits
; Kernel info:
; codeLenInByte = 1436
; TotalNumSgprs: 16
; NumVgprs: 24
; ScratchSize: 0
; MemoryBound: 0
; FloatMode: 240
; IeeeMode: 1
; LDSByteSize: 2048 bytes/workgroup (compile time only)
; SGPRBlocks: 0
; VGPRBlocks: 1
; NumSGPRsForWavesPerEU: 16
; NumVGPRsForWavesPerEU: 24
; NamedBarCnt: 0
; Occupancy: 16
; WaveLimiterHint : 0
; COMPUTE_PGM_RSRC2:SCRATCH_EN: 0
; COMPUTE_PGM_RSRC2:USER_SGPR: 2
; COMPUTE_PGM_RSRC2:TRAP_HANDLER: 0
; COMPUTE_PGM_RSRC2:TGID_X_EN: 1
; COMPUTE_PGM_RSRC2:TGID_Y_EN: 0
; COMPUTE_PGM_RSRC2:TGID_Z_EN: 0
; COMPUTE_PGM_RSRC2:TIDIG_COMP_CNT: 0
	.section	.text._ZN2at6native12_GLOBAL__N_125multi_tensor_apply_kernelINS1_18TensorListMetadataILi1EEENS0_13LpNormFunctorIdLNS0_8NormTypeE3EN3c104HalfELi1ELi1ELi0EEEJPfiEEEvT_T0_DpT1_,"axG",@progbits,_ZN2at6native12_GLOBAL__N_125multi_tensor_apply_kernelINS1_18TensorListMetadataILi1EEENS0_13LpNormFunctorIdLNS0_8NormTypeE3EN3c104HalfELi1ELi1ELi0EEEJPfiEEEvT_T0_DpT1_,comdat
	.globl	_ZN2at6native12_GLOBAL__N_125multi_tensor_apply_kernelINS1_18TensorListMetadataILi1EEENS0_13LpNormFunctorIdLNS0_8NormTypeE3EN3c104HalfELi1ELi1ELi0EEEJPfiEEEvT_T0_DpT1_ ; -- Begin function _ZN2at6native12_GLOBAL__N_125multi_tensor_apply_kernelINS1_18TensorListMetadataILi1EEENS0_13LpNormFunctorIdLNS0_8NormTypeE3EN3c104HalfELi1ELi1ELi0EEEJPfiEEEvT_T0_DpT1_
	.p2align	8
	.type	_ZN2at6native12_GLOBAL__N_125multi_tensor_apply_kernelINS1_18TensorListMetadataILi1EEENS0_13LpNormFunctorIdLNS0_8NormTypeE3EN3c104HalfELi1ELi1ELi0EEEJPfiEEEvT_T0_DpT1_,@function
_ZN2at6native12_GLOBAL__N_125multi_tensor_apply_kernelINS1_18TensorListMetadataILi1EEENS0_13LpNormFunctorIdLNS0_8NormTypeE3EN3c104HalfELi1ELi1ELi0EEEJPfiEEEvT_T0_DpT1_: ; @_ZN2at6native12_GLOBAL__N_125multi_tensor_apply_kernelINS1_18TensorListMetadataILi1EEENS0_13LpNormFunctorIdLNS0_8NormTypeE3EN3c104HalfELi1ELi1ELi0EEEJPfiEEEvT_T0_DpT1_
; %bb.0:
	s_bfe_u32 s2, ttmp6, 0x4000c
	s_and_b32 s3, ttmp6, 15
	s_add_co_i32 s2, s2, 1
	s_getreg_b32 s4, hwreg(HW_REG_IB_STS2, 6, 4)
	s_mul_i32 s2, ttmp9, s2
	s_delay_alu instid0(SALU_CYCLE_1)
	s_add_co_i32 s3, s3, s2
	s_cmp_eq_u32 s4, 0
	s_cselect_b32 s2, ttmp9, s3
	s_mov_b32 s3, 0
	v_mov_b32_e32 v1, s2
	s_add_nc_u64 s[4:5], s[0:1], s[2:3]
	s_mul_u64 s[6:7], s[2:3], 3
	s_delay_alu instid0(SALU_CYCLE_1) | instskip(SKIP_4) | instid1(SALU_CYCLE_1)
	s_add_nc_u64 s[4:5], s[4:5], s[6:7]
	global_load_u8 v15, v1, s[0:1] offset:1760
	s_load_b32 s6, s[4:5], 0x820
	s_wait_kmcnt 0x0
	s_ashr_i32 s7, s6, 31
	s_lshl_b64 s[10:11], s[6:7], 19
	s_lshl_b64 s[12:13], s[6:7], 16
	s_wait_loadcnt 0x0
	v_readfirstlane_b32 s2, v15
	s_and_b32 s2, s2, 0xff
	s_clause 0x1
	s_load_b64 s[4:5], s[0:1], s2 offset:0x0 scale_offset
	s_load_b64 s[8:9], s[0:1], s2 offset:0x370 scale_offset
	s_wait_kmcnt 0x0
	s_add_nc_u64 s[4:5], s[4:5], s[10:11]
	s_and_b32 s2, s8, 3
	s_and_b64 s[10:11], s[4:5], 31
	s_sub_nc_u64 s[8:9], s[8:9], s[12:13]
	s_or_b64 s[10:11], s[2:3], s[10:11]
	s_delay_alu instid0(SALU_CYCLE_1)
	s_cmp_eq_u64 s[10:11], 0
	s_cbranch_scc1 .LBB39_12
; %bb.1:
	v_cmp_lt_i64_e64 s2, s[8:9], 1
	s_and_b32 vcc_lo, exec_lo, s2
	s_cbranch_vccnz .LBB39_28
; %bb.2:
	s_load_b32 s2, s[0:1], 0xd4c
	v_min_i64 v[10:11], 0x10000, s[8:9]
	s_mov_b32 s11, 0
	s_mov_b64 s[12:13], 0
	s_wait_kmcnt 0x0
	s_and_b32 s2, s2, 0xffff
	s_delay_alu instid0(SALU_CYCLE_1) | instskip(SKIP_3) | instid1(VALU_DEP_3)
	v_dual_mov_b32 v7, 0 :: v_dual_add_nc_u32 v16, s2, v0
	v_mad_u32 v12, s2, 3, v0
	v_lshl_add_u32 v14, s2, 1, v0
	s_lshl_b32 s10, s2, 2
	v_dual_mov_b32 v6, v7 :: v_dual_mov_b32 v8, v7
	v_mov_b32_e32 v9, v7
	s_delay_alu instid0(VALU_DEP_2) | instskip(NEXT) | instid1(VALU_DEP_2)
	v_mov_b64_e32 v[2:3], v[6:7]
	v_mov_b64_e32 v[4:5], v[8:9]
	s_branch .LBB39_4
.LBB39_3:                               ;   in Loop: Header=BB39_4 Depth=1
	s_or_b32 exec_lo, exec_lo, s2
	s_add_nc_u64 s[12:13], s[12:13], s[10:11]
	s_delay_alu instid0(SALU_CYCLE_1)
	v_cmp_lt_i64_e32 vcc_lo, s[12:13], v[10:11]
	s_cbranch_vccz .LBB39_13
.LBB39_4:                               ; =>This Inner Loop Header: Depth=1
	v_add_nc_u32_e32 v6, s12, v0
	s_delay_alu instid0(VALU_DEP_1) | instskip(SKIP_2) | instid1(SALU_CYCLE_1)
	v_cmp_gt_i64_e32 vcc_lo, s[8:9], v[6:7]
	v_cmp_gt_u32_e64 s2, 0x10000, v6
	s_and_b32 s7, s2, vcc_lo
	s_and_saveexec_b32 s2, s7
	s_cbranch_execz .LBB39_6
; %bb.5:                                ;   in Loop: Header=BB39_4 Depth=1
	v_lshl_add_u64 v[8:9], v[6:7], 3, s[4:5]
	global_load_b64 v[8:9], v[8:9], off
	s_wait_loadcnt 0x0
	v_cvt_f32_f64_e32 v1, v[8:9]
	s_delay_alu instid0(VALU_DEP_1) | instskip(SKIP_2) | instid1(SALU_CYCLE_1)
	v_cmp_u_f32_e32 vcc_lo, v1, v1
	v_cmp_lt_f32_e64 s7, v2, |v1|
	s_or_b32 s7, vcc_lo, s7
	v_cndmask_b32_e64 v2, v2, |v1|, s7
.LBB39_6:                               ;   in Loop: Header=BB39_4 Depth=1
	s_or_b32 exec_lo, exec_lo, s2
	v_add_nc_u32_e32 v6, s12, v16
	s_delay_alu instid0(VALU_DEP_1) | instskip(SKIP_2) | instid1(SALU_CYCLE_1)
	v_cmp_gt_i64_e32 vcc_lo, s[8:9], v[6:7]
	v_cmp_gt_u32_e64 s2, 0x10000, v6
	s_and_b32 s7, s2, vcc_lo
	s_and_saveexec_b32 s2, s7
	s_cbranch_execz .LBB39_8
; %bb.7:                                ;   in Loop: Header=BB39_4 Depth=1
	v_lshl_add_u64 v[8:9], v[6:7], 3, s[4:5]
	global_load_b64 v[8:9], v[8:9], off
	s_wait_loadcnt 0x0
	v_cvt_f32_f64_e32 v1, v[8:9]
	s_delay_alu instid0(VALU_DEP_1) | instskip(SKIP_2) | instid1(SALU_CYCLE_1)
	v_cmp_u_f32_e32 vcc_lo, v1, v1
	v_cmp_lt_f32_e64 s7, v3, |v1|
	s_or_b32 s7, vcc_lo, s7
	v_cndmask_b32_e64 v3, v3, |v1|, s7
.LBB39_8:                               ;   in Loop: Header=BB39_4 Depth=1
	s_or_b32 exec_lo, exec_lo, s2
	v_add_nc_u32_e32 v6, s12, v14
	s_delay_alu instid0(VALU_DEP_1) | instskip(SKIP_2) | instid1(SALU_CYCLE_1)
	v_cmp_gt_i64_e32 vcc_lo, s[8:9], v[6:7]
	v_cmp_gt_u32_e64 s2, 0x10000, v6
	s_and_b32 s7, s2, vcc_lo
	s_and_saveexec_b32 s2, s7
	s_cbranch_execz .LBB39_10
; %bb.9:                                ;   in Loop: Header=BB39_4 Depth=1
	v_lshl_add_u64 v[8:9], v[6:7], 3, s[4:5]
	global_load_b64 v[8:9], v[8:9], off
	s_wait_loadcnt 0x0
	v_cvt_f32_f64_e32 v1, v[8:9]
	s_delay_alu instid0(VALU_DEP_1) | instskip(SKIP_2) | instid1(SALU_CYCLE_1)
	v_cmp_u_f32_e32 vcc_lo, v1, v1
	v_cmp_lt_f32_e64 s7, v4, |v1|
	s_or_b32 s7, vcc_lo, s7
	v_cndmask_b32_e64 v4, v4, |v1|, s7
.LBB39_10:                              ;   in Loop: Header=BB39_4 Depth=1
	s_or_b32 exec_lo, exec_lo, s2
	v_add_nc_u32_e32 v6, s12, v12
	s_delay_alu instid0(VALU_DEP_1) | instskip(SKIP_2) | instid1(SALU_CYCLE_1)
	v_cmp_gt_i64_e32 vcc_lo, s[8:9], v[6:7]
	v_cmp_gt_u32_e64 s2, 0x10000, v6
	s_and_b32 s7, s2, vcc_lo
	s_and_saveexec_b32 s2, s7
	s_cbranch_execz .LBB39_3
; %bb.11:                               ;   in Loop: Header=BB39_4 Depth=1
	v_lshl_add_u64 v[8:9], v[6:7], 3, s[4:5]
	global_load_b64 v[8:9], v[8:9], off
	s_wait_loadcnt 0x0
	v_cvt_f32_f64_e32 v1, v[8:9]
	s_delay_alu instid0(VALU_DEP_1) | instskip(SKIP_2) | instid1(SALU_CYCLE_1)
	v_cmp_u_f32_e32 vcc_lo, v1, v1
	v_cmp_lt_f32_e64 s7, v5, |v1|
	s_or_b32 s7, vcc_lo, s7
	v_cndmask_b32_e64 v5, v5, |v1|, s7
	s_branch .LBB39_3
.LBB39_12:
	s_mov_b32 s3, -1
                                        ; implicit-def: $vgpr2_vgpr3_vgpr4_vgpr5
.LBB39_13:
	s_delay_alu instid0(SALU_CYCLE_1)
	s_and_not1_b32 vcc_lo, exec_lo, s3
	s_cbranch_vccnz .LBB39_19
.LBB39_14:
	v_min_i64 v[8:9], 0x10000, s[8:9]
	v_dual_mov_b32 v3, 0 :: v_dual_lshlrev_b32 v2, 2, v0
	s_mov_b32 s9, 0
	s_delay_alu instid0(VALU_DEP_1) | instskip(NEXT) | instid1(VALU_DEP_2)
	v_dual_mov_b32 v5, v3 :: v_dual_mov_b32 v4, v3
	v_cmp_lt_i64_e32 vcc_lo, v[2:3], v[8:9]
	v_mov_b32_e32 v2, v3
	s_and_saveexec_b32 s7, vcc_lo
	s_cbranch_execz .LBB39_18
; %bb.15:
	s_load_b32 s2, s[0:1], 0xd4c
	v_dual_mov_b32 v1, v3 :: v_dual_lshlrev_b32 v2, 5, v0
	v_dual_mov_b32 v5, 0 :: v_dual_mov_b32 v6, 0
	v_mov_b32_e32 v7, 0
	s_delay_alu instid0(VALU_DEP_3) | instskip(NEXT) | instid1(VALU_DEP_4)
	v_add_nc_u64_e32 v[10:11], s[4:5], v[2:3]
	v_mov_b64_e32 v[12:13], v[0:1]
	s_mov_b32 s11, s9
	s_mov_b32 s12, s9
	s_delay_alu instid0(VALU_DEP_2) | instskip(SKIP_2) | instid1(SALU_CYCLE_1)
	v_add_nc_u64_e32 v[10:11], 16, v[10:11]
	s_wait_kmcnt 0x0
	s_and_b32 s8, s2, 0xffff
	s_lshl_b32 s10, s8, 5
.LBB39_16:                              ; =>This Inner Loop Header: Depth=1
	s_clause 0x1
	global_load_b128 v[16:19], v[10:11], off
	global_load_b128 v[20:23], v[10:11], off offset:-16
	v_add_nc_u64_e32 v[12:13], s[8:9], v[12:13]
	s_wait_xcnt 0x0
	v_add_nc_u64_e32 v[10:11], s[10:11], v[10:11]
	s_wait_loadcnt 0x1
	v_cvt_f32_f64_e32 v1, v[18:19]
	v_cvt_f32_f64_e32 v2, v[16:17]
	s_wait_loadcnt 0x0
	v_cvt_f32_f64_e32 v4, v[22:23]
	v_cvt_f32_f64_e32 v14, v[20:21]
	v_lshlrev_b64_e32 v[16:17], 2, v[12:13]
	s_delay_alu instid0(VALU_DEP_1)
	v_cmp_ge_i64_e32 vcc_lo, v[16:17], v[8:9]
	v_cmp_u_f32_e64 s2, v1, v1
	v_cmp_lt_f32_e64 s13, v7, |v1|
	v_cmp_u_f32_e64 s3, v2, v2
	v_cmp_lt_f32_e64 s14, v6, |v2|
	;; [unrolled: 2-line block ×3, first 2 shown]
	s_or_b32 s2, s2, s13
	v_cmp_u_f32_e64 s5, v14, v14
	v_cmp_lt_f32_e64 s16, v3, |v14|
	v_cndmask_b32_e64 v7, v7, |v1|, s2
	s_or_b32 s2, s3, s14
	s_delay_alu instid0(SALU_CYCLE_1) | instskip(SKIP_1) | instid1(SALU_CYCLE_1)
	v_cndmask_b32_e64 v6, v6, |v2|, s2
	s_or_b32 s2, s4, s15
	v_cndmask_b32_e64 v5, v5, |v4|, s2
	s_or_b32 s2, s5, s16
	s_or_b32 s12, vcc_lo, s12
	v_cndmask_b32_e64 v3, v3, |v14|, s2
	s_and_not1_b32 exec_lo, exec_lo, s12
	s_cbranch_execnz .LBB39_16
; %bb.17:
	s_or_b32 exec_lo, exec_lo, s12
	s_delay_alu instid0(VALU_DEP_1) | instskip(NEXT) | instid1(VALU_DEP_1)
	v_mov_b32_e32 v4, v3
	v_mov_b64_e32 v[2:3], v[4:5]
	v_mov_b64_e32 v[4:5], v[6:7]
.LBB39_18:
	s_or_b32 exec_lo, exec_lo, s7
.LBB39_19:
	s_delay_alu instid0(VALU_DEP_1)
	v_cmp_nge_f32_e32 vcc_lo, 0, v2
	v_mbcnt_lo_u32_b32 v6, -1, 0
	s_barrier_signal -1
	s_barrier_wait -1
	v_cndmask_b32_e32 v1, 0, v2, vcc_lo
	v_cmp_u_f32_e32 vcc_lo, v3, v3
	v_cmp_ne_u32_e64 s3, 31, v6
	s_delay_alu instid0(VALU_DEP_3) | instskip(NEXT) | instid1(VALU_DEP_2)
	v_cmp_lt_f32_e64 s2, v1, v3
	v_add_co_ci_u32_e64 v8, null, 0, v6, s3
	s_mov_b32 s3, exec_lo
	s_or_b32 vcc_lo, vcc_lo, s2
	v_cndmask_b32_e32 v1, v1, v3, vcc_lo
	v_cmp_u_f32_e32 vcc_lo, v4, v4
	s_delay_alu instid0(VALU_DEP_2) | instskip(SKIP_4) | instid1(VALU_DEP_3)
	v_cmp_lt_f32_e64 s2, v1, v4
	s_or_b32 vcc_lo, vcc_lo, s2
	v_cndmask_b32_e32 v2, v1, v4, vcc_lo
	v_cmp_u_f32_e32 vcc_lo, v5, v5
	v_lshl_or_b32 v1, v6, 2, 64
	v_cmp_lt_f32_e64 s2, v2, v5
	s_or_b32 vcc_lo, vcc_lo, s2
	v_cndmask_b32_e32 v3, v2, v5, vcc_lo
	v_cmp_gt_u32_e32 vcc_lo, 24, v6
	ds_bpermute_b32 v4, v1, v3
	v_cndmask_b32_e64 v2, 0, 8, vcc_lo
	s_delay_alu instid0(VALU_DEP_1)
	v_add_lshl_u32 v2, v2, v6, 2
	s_wait_dscnt 0x0
	v_cmp_u_f32_e32 vcc_lo, v4, v4
	v_cmp_lt_f32_e64 s2, v3, v4
	s_or_b32 vcc_lo, vcc_lo, s2
	v_cndmask_b32_e32 v4, v3, v4, vcc_lo
	v_cmp_gt_u32_e32 vcc_lo, 28, v6
	ds_bpermute_b32 v5, v2, v4
	v_cndmask_b32_e64 v3, 0, 4, vcc_lo
	s_delay_alu instid0(VALU_DEP_1)
	v_add_lshl_u32 v3, v3, v6, 2
	s_wait_dscnt 0x0
	v_cmp_u_f32_e32 vcc_lo, v5, v5
	;; [unrolled: 10-line block ×3, first 2 shown]
	v_cmp_lt_f32_e64 s2, v5, v7
	s_or_b32 vcc_lo, vcc_lo, s2
	v_cndmask_b32_e32 v5, v5, v7, vcc_lo
	ds_bpermute_b32 v7, v4, v5
	s_wait_dscnt 0x0
	v_cmp_u_f32_e32 vcc_lo, v7, v7
	v_cmp_lt_f32_e64 s2, v5, v7
	s_or_b32 vcc_lo, vcc_lo, s2
	v_dual_cndmask_b32 v6, v5, v7 :: v_dual_lshlrev_b32 v5, 2, v8
	v_and_b32_e32 v7, 31, v0
	ds_bpermute_b32 v8, v5, v6
	v_cmpx_eq_u32_e32 0, v7
	s_cbranch_execz .LBB39_21
; %bb.20:
	s_wait_dscnt 0x0
	v_cmp_u_f32_e32 vcc_lo, v8, v8
	v_cmp_lt_f32_e64 s2, v6, v8
	v_lshrrev_b32_e32 v9, 3, v0
	s_or_b32 vcc_lo, vcc_lo, s2
	v_cndmask_b32_e32 v6, v6, v8, vcc_lo
	ds_store_b32 v9, v6
.LBB39_21:
	s_or_b32 exec_lo, exec_lo, s3
	s_wait_dscnt 0x0
	s_barrier_signal -1
	s_barrier_wait -1
	s_load_b32 s2, s[0:1], 0xd4c
	v_mov_b32_e32 v6, 0xff7fffff
	s_wait_kmcnt 0x0
	s_bfe_u32 s2, s2, 0xb0005
	s_delay_alu instid0(SALU_CYCLE_1)
	v_cmp_gt_u32_e32 vcc_lo, s2, v0
	s_and_saveexec_b32 s2, vcc_lo
; %bb.22:
	v_lshlrev_b32_e32 v6, 2, v7
	ds_load_b32 v6, v6
; %bb.23:
	s_or_b32 exec_lo, exec_lo, s2
	s_delay_alu instid0(SALU_CYCLE_1)
	s_mov_b32 s3, exec_lo
	v_cmpx_gt_u32_e32 32, v0
	s_cbranch_execz .LBB39_25
; %bb.24:
	s_wait_dscnt 0x0
	ds_bpermute_b32 v1, v1, v6
	s_wait_dscnt 0x0
	v_cmp_u_f32_e32 vcc_lo, v1, v1
	v_cmp_lt_f32_e64 s2, v6, v1
	s_or_b32 vcc_lo, vcc_lo, s2
	v_cndmask_b32_e32 v1, v6, v1, vcc_lo
	ds_bpermute_b32 v2, v2, v1
	s_wait_dscnt 0x0
	v_cmp_u_f32_e32 vcc_lo, v2, v2
	v_cmp_lt_f32_e64 s2, v1, v2
	s_or_b32 vcc_lo, vcc_lo, s2
	v_cndmask_b32_e32 v1, v1, v2, vcc_lo
	;; [unrolled: 6-line block ×5, first 2 shown]
.LBB39_25:
	s_or_b32 exec_lo, exec_lo, s3
	s_delay_alu instid0(SALU_CYCLE_1)
	s_mov_b32 s2, exec_lo
	v_cmpx_eq_u32_e32 0, v0
	s_cbranch_execz .LBB39_27
; %bb.26:
	s_clause 0x1
	s_load_b32 s2, s[0:1], 0xd20
	s_load_b96 s[8:10], s[0:1], 0xd30
	v_and_b32_e32 v0, 0xff, v15
	s_wait_kmcnt 0x0
	s_delay_alu instid0(VALU_DEP_1) | instskip(NEXT) | instid1(VALU_DEP_1)
	v_add_nc_u32_e32 v0, s2, v0
	v_mul_lo_u32 v0, v0, s10
	s_delay_alu instid0(VALU_DEP_1)
	v_add_nc_u32_e32 v0, s6, v0
	s_wait_dscnt 0x0
	global_store_b32 v0, v6, s[8:9] scale_offset
.LBB39_27:
	s_endpgm
.LBB39_28:
	v_mov_b32_e32 v2, 0
	s_delay_alu instid0(VALU_DEP_1)
	v_dual_mov_b32 v3, v2 :: v_dual_mov_b32 v4, v2
	v_mov_b32_e32 v5, v2
	s_and_not1_b32 vcc_lo, exec_lo, s3
	s_cbranch_vccz .LBB39_14
	s_branch .LBB39_19
	.section	.rodata,"a",@progbits
	.p2align	6, 0x0
	.amdhsa_kernel _ZN2at6native12_GLOBAL__N_125multi_tensor_apply_kernelINS1_18TensorListMetadataILi1EEENS0_13LpNormFunctorIdLNS0_8NormTypeE3EN3c104HalfELi1ELi1ELi0EEEJPfiEEEvT_T0_DpT1_
		.amdhsa_group_segment_fixed_size 2048
		.amdhsa_private_segment_fixed_size 0
		.amdhsa_kernarg_size 3648
		.amdhsa_user_sgpr_count 2
		.amdhsa_user_sgpr_dispatch_ptr 0
		.amdhsa_user_sgpr_queue_ptr 0
		.amdhsa_user_sgpr_kernarg_segment_ptr 1
		.amdhsa_user_sgpr_dispatch_id 0
		.amdhsa_user_sgpr_kernarg_preload_length 0
		.amdhsa_user_sgpr_kernarg_preload_offset 0
		.amdhsa_user_sgpr_private_segment_size 0
		.amdhsa_wavefront_size32 1
		.amdhsa_uses_dynamic_stack 0
		.amdhsa_enable_private_segment 0
		.amdhsa_system_sgpr_workgroup_id_x 1
		.amdhsa_system_sgpr_workgroup_id_y 0
		.amdhsa_system_sgpr_workgroup_id_z 0
		.amdhsa_system_sgpr_workgroup_info 0
		.amdhsa_system_vgpr_workitem_id 0
		.amdhsa_next_free_vgpr 24
		.amdhsa_next_free_sgpr 17
		.amdhsa_named_barrier_count 0
		.amdhsa_reserve_vcc 1
		.amdhsa_float_round_mode_32 0
		.amdhsa_float_round_mode_16_64 0
		.amdhsa_float_denorm_mode_32 3
		.amdhsa_float_denorm_mode_16_64 3
		.amdhsa_fp16_overflow 0
		.amdhsa_memory_ordered 1
		.amdhsa_forward_progress 1
		.amdhsa_inst_pref_size 15
		.amdhsa_round_robin_scheduling 0
		.amdhsa_exception_fp_ieee_invalid_op 0
		.amdhsa_exception_fp_denorm_src 0
		.amdhsa_exception_fp_ieee_div_zero 0
		.amdhsa_exception_fp_ieee_overflow 0
		.amdhsa_exception_fp_ieee_underflow 0
		.amdhsa_exception_fp_ieee_inexact 0
		.amdhsa_exception_int_div_zero 0
	.end_amdhsa_kernel
	.section	.text._ZN2at6native12_GLOBAL__N_125multi_tensor_apply_kernelINS1_18TensorListMetadataILi1EEENS0_13LpNormFunctorIdLNS0_8NormTypeE3EN3c104HalfELi1ELi1ELi0EEEJPfiEEEvT_T0_DpT1_,"axG",@progbits,_ZN2at6native12_GLOBAL__N_125multi_tensor_apply_kernelINS1_18TensorListMetadataILi1EEENS0_13LpNormFunctorIdLNS0_8NormTypeE3EN3c104HalfELi1ELi1ELi0EEEJPfiEEEvT_T0_DpT1_,comdat
.Lfunc_end39:
	.size	_ZN2at6native12_GLOBAL__N_125multi_tensor_apply_kernelINS1_18TensorListMetadataILi1EEENS0_13LpNormFunctorIdLNS0_8NormTypeE3EN3c104HalfELi1ELi1ELi0EEEJPfiEEEvT_T0_DpT1_, .Lfunc_end39-_ZN2at6native12_GLOBAL__N_125multi_tensor_apply_kernelINS1_18TensorListMetadataILi1EEENS0_13LpNormFunctorIdLNS0_8NormTypeE3EN3c104HalfELi1ELi1ELi0EEEJPfiEEEvT_T0_DpT1_
                                        ; -- End function
	.set _ZN2at6native12_GLOBAL__N_125multi_tensor_apply_kernelINS1_18TensorListMetadataILi1EEENS0_13LpNormFunctorIdLNS0_8NormTypeE3EN3c104HalfELi1ELi1ELi0EEEJPfiEEEvT_T0_DpT1_.num_vgpr, 24
	.set _ZN2at6native12_GLOBAL__N_125multi_tensor_apply_kernelINS1_18TensorListMetadataILi1EEENS0_13LpNormFunctorIdLNS0_8NormTypeE3EN3c104HalfELi1ELi1ELi0EEEJPfiEEEvT_T0_DpT1_.num_agpr, 0
	.set _ZN2at6native12_GLOBAL__N_125multi_tensor_apply_kernelINS1_18TensorListMetadataILi1EEENS0_13LpNormFunctorIdLNS0_8NormTypeE3EN3c104HalfELi1ELi1ELi0EEEJPfiEEEvT_T0_DpT1_.numbered_sgpr, 17
	.set _ZN2at6native12_GLOBAL__N_125multi_tensor_apply_kernelINS1_18TensorListMetadataILi1EEENS0_13LpNormFunctorIdLNS0_8NormTypeE3EN3c104HalfELi1ELi1ELi0EEEJPfiEEEvT_T0_DpT1_.num_named_barrier, 0
	.set _ZN2at6native12_GLOBAL__N_125multi_tensor_apply_kernelINS1_18TensorListMetadataILi1EEENS0_13LpNormFunctorIdLNS0_8NormTypeE3EN3c104HalfELi1ELi1ELi0EEEJPfiEEEvT_T0_DpT1_.private_seg_size, 0
	.set _ZN2at6native12_GLOBAL__N_125multi_tensor_apply_kernelINS1_18TensorListMetadataILi1EEENS0_13LpNormFunctorIdLNS0_8NormTypeE3EN3c104HalfELi1ELi1ELi0EEEJPfiEEEvT_T0_DpT1_.uses_vcc, 1
	.set _ZN2at6native12_GLOBAL__N_125multi_tensor_apply_kernelINS1_18TensorListMetadataILi1EEENS0_13LpNormFunctorIdLNS0_8NormTypeE3EN3c104HalfELi1ELi1ELi0EEEJPfiEEEvT_T0_DpT1_.uses_flat_scratch, 0
	.set _ZN2at6native12_GLOBAL__N_125multi_tensor_apply_kernelINS1_18TensorListMetadataILi1EEENS0_13LpNormFunctorIdLNS0_8NormTypeE3EN3c104HalfELi1ELi1ELi0EEEJPfiEEEvT_T0_DpT1_.has_dyn_sized_stack, 0
	.set _ZN2at6native12_GLOBAL__N_125multi_tensor_apply_kernelINS1_18TensorListMetadataILi1EEENS0_13LpNormFunctorIdLNS0_8NormTypeE3EN3c104HalfELi1ELi1ELi0EEEJPfiEEEvT_T0_DpT1_.has_recursion, 0
	.set _ZN2at6native12_GLOBAL__N_125multi_tensor_apply_kernelINS1_18TensorListMetadataILi1EEENS0_13LpNormFunctorIdLNS0_8NormTypeE3EN3c104HalfELi1ELi1ELi0EEEJPfiEEEvT_T0_DpT1_.has_indirect_call, 0
	.section	.AMDGPU.csdata,"",@progbits
; Kernel info:
; codeLenInByte = 1828
; TotalNumSgprs: 19
; NumVgprs: 24
; ScratchSize: 0
; MemoryBound: 0
; FloatMode: 240
; IeeeMode: 1
; LDSByteSize: 2048 bytes/workgroup (compile time only)
; SGPRBlocks: 0
; VGPRBlocks: 1
; NumSGPRsForWavesPerEU: 19
; NumVGPRsForWavesPerEU: 24
; NamedBarCnt: 0
; Occupancy: 16
; WaveLimiterHint : 0
; COMPUTE_PGM_RSRC2:SCRATCH_EN: 0
; COMPUTE_PGM_RSRC2:USER_SGPR: 2
; COMPUTE_PGM_RSRC2:TRAP_HANDLER: 0
; COMPUTE_PGM_RSRC2:TGID_X_EN: 1
; COMPUTE_PGM_RSRC2:TGID_Y_EN: 0
; COMPUTE_PGM_RSRC2:TGID_Z_EN: 0
; COMPUTE_PGM_RSRC2:TIDIG_COMP_CNT: 0
	.section	.text._ZN2at6native14lpnorm_cleanupIdLNS0_8NormTypeE0EN3c104HalfELb1EfEEvPKT3_NS0_19TensorListAddressesEi,"axG",@progbits,_ZN2at6native14lpnorm_cleanupIdLNS0_8NormTypeE0EN3c104HalfELb1EfEEvPKT3_NS0_19TensorListAddressesEi,comdat
	.protected	_ZN2at6native14lpnorm_cleanupIdLNS0_8NormTypeE0EN3c104HalfELb1EfEEvPKT3_NS0_19TensorListAddressesEi ; -- Begin function _ZN2at6native14lpnorm_cleanupIdLNS0_8NormTypeE0EN3c104HalfELb1EfEEvPKT3_NS0_19TensorListAddressesEi
	.globl	_ZN2at6native14lpnorm_cleanupIdLNS0_8NormTypeE0EN3c104HalfELb1EfEEvPKT3_NS0_19TensorListAddressesEi
	.p2align	8
	.type	_ZN2at6native14lpnorm_cleanupIdLNS0_8NormTypeE0EN3c104HalfELb1EfEEvPKT3_NS0_19TensorListAddressesEi,@function
_ZN2at6native14lpnorm_cleanupIdLNS0_8NormTypeE0EN3c104HalfELb1EfEEvPKT3_NS0_19TensorListAddressesEi: ; @_ZN2at6native14lpnorm_cleanupIdLNS0_8NormTypeE0EN3c104HalfELb1EfEEvPKT3_NS0_19TensorListAddressesEi
; %bb.0:
	s_load_b32 s2, s[0:1], 0xc88
	s_bfe_u32 s3, ttmp6, 0x4000c
	s_and_b32 s4, ttmp6, 15
	s_add_co_i32 s3, s3, 1
	s_getreg_b32 s5, hwreg(HW_REG_IB_STS2, 6, 4)
	s_mul_i32 s3, ttmp9, s3
	v_mov_b32_e32 v1, 0
	s_add_co_i32 s4, s4, s3
	s_cmp_eq_u32 s5, 0
	s_mov_b32 s5, 0
	s_cselect_b32 s8, ttmp9, s4
	s_mov_b32 s9, exec_lo
	s_wait_kmcnt 0x0
	v_cmpx_gt_u32_e64 s2, v0
	s_cbranch_execz .LBB40_4
; %bb.1:
	s_clause 0x1
	s_load_b64 s[6:7], s[0:1], 0x0
	s_load_b32 s4, s[0:1], 0xc9c
	v_dual_mov_b32 v1, 0 :: v_dual_lshlrev_b32 v2, 2, v0
	s_mul_i32 s10, s2, s8
	s_mov_b32 s11, s5
	s_ashr_i32 s3, s2, 31
	s_delay_alu instid0(VALU_DEP_1)
	v_mov_b32_e32 v3, v1
	s_lshl_b64 s[10:11], s[10:11], 2
	v_mov_b64_e32 v[4:5], v[0:1]
	s_wait_kmcnt 0x0
	s_add_nc_u64 s[6:7], s[6:7], s[10:11]
	s_and_b32 s4, s4, 0xffff
	v_add_nc_u64_e32 v[2:3], s[6:7], v[2:3]
	s_lshl_b32 s6, s4, 2
	s_mov_b32 s7, s5
	s_mov_b32 s10, s5
.LBB40_2:                               ; =>This Inner Loop Header: Depth=1
	global_load_b32 v6, v[2:3], off
	v_add_nc_u64_e32 v[4:5], s[4:5], v[4:5]
	s_wait_xcnt 0x0
	v_add_nc_u64_e32 v[2:3], s[6:7], v[2:3]
	s_delay_alu instid0(VALU_DEP_2)
	v_cmp_le_u64_e32 vcc_lo, s[2:3], v[4:5]
	s_or_b32 s10, vcc_lo, s10
	s_wait_loadcnt 0x0
	v_add_f32_e32 v1, v1, v6
	s_and_not1_b32 exec_lo, exec_lo, s10
	s_cbranch_execnz .LBB40_2
; %bb.3:
	s_or_b32 exec_lo, exec_lo, s10
.LBB40_4:
	s_delay_alu instid0(SALU_CYCLE_1) | instskip(SKIP_4) | instid1(VALU_DEP_1)
	s_or_b32 exec_lo, exec_lo, s9
	v_mbcnt_lo_u32_b32 v5, -1, 0
	s_mov_b32 s2, exec_lo
	s_barrier_signal -1
	s_barrier_wait -1
	v_lshl_or_b32 v2, v5, 2, 64
	v_cmp_gt_u32_e32 vcc_lo, 24, v5
	ds_bpermute_b32 v4, v2, v1
	v_cndmask_b32_e64 v3, 0, 8, vcc_lo
	v_cmp_gt_u32_e32 vcc_lo, 28, v5
	s_delay_alu instid0(VALU_DEP_2)
	v_add_lshl_u32 v3, v3, v5, 2
	s_wait_dscnt 0x0
	v_add_f32_e32 v4, v1, v4
	v_cndmask_b32_e64 v1, 0, 4, vcc_lo
	v_cmp_gt_u32_e32 vcc_lo, 30, v5
	ds_bpermute_b32 v6, v3, v4
	v_add_lshl_u32 v1, v1, v5, 2
	s_wait_dscnt 0x0
	v_add_f32_e32 v6, v4, v6
	v_cndmask_b32_e64 v4, 0, 2, vcc_lo
	v_cmp_ne_u32_e32 vcc_lo, 31, v5
	s_delay_alu instid0(VALU_DEP_2) | instskip(SKIP_1) | instid1(VALU_DEP_1)
	v_add_lshl_u32 v4, v4, v5, 2
	v_add_co_ci_u32_e64 v5, null, 0, v5, vcc_lo
	v_lshlrev_b32_e32 v5, 2, v5
	ds_bpermute_b32 v7, v1, v6
	s_wait_dscnt 0x0
	v_add_f32_e32 v6, v6, v7
	ds_bpermute_b32 v7, v4, v6
	s_wait_dscnt 0x0
	v_dual_add_f32 v7, v6, v7 :: v_dual_bitop2_b32 v6, 31, v0 bitop3:0x40
	ds_bpermute_b32 v8, v5, v7
	v_cmpx_eq_u32_e32 0, v6
	s_cbranch_execz .LBB40_6
; %bb.5:
	s_wait_dscnt 0x0
	v_add_f32_e32 v7, v7, v8
	v_lshrrev_b32_e32 v8, 3, v0
	ds_store_b32 v8, v7
.LBB40_6:
	s_or_b32 exec_lo, exec_lo, s2
	s_wait_dscnt 0x0
	s_barrier_signal -1
	s_barrier_wait -1
	s_load_b32 s2, s[0:1], 0xc9c
	v_mov_b32_e32 v7, 0
	s_wait_kmcnt 0x0
	s_bfe_u32 s2, s2, 0xb0005
	s_delay_alu instid0(SALU_CYCLE_1)
	v_cmp_gt_u32_e32 vcc_lo, s2, v0
	s_and_saveexec_b32 s2, vcc_lo
; %bb.7:
	v_lshlrev_b32_e32 v6, 2, v6
	ds_load_b32 v7, v6
; %bb.8:
	s_or_b32 exec_lo, exec_lo, s2
	s_delay_alu instid0(SALU_CYCLE_1)
	s_mov_b32 s2, exec_lo
	v_cmpx_gt_u32_e32 32, v0
	s_cbranch_execz .LBB40_10
; %bb.9:
	s_wait_dscnt 0x0
	ds_bpermute_b32 v2, v2, v7
	s_wait_dscnt 0x0
	v_add_f32_e32 v2, v7, v2
	ds_bpermute_b32 v3, v3, v2
	s_wait_dscnt 0x0
	v_add_f32_e32 v2, v2, v3
	ds_bpermute_b32 v1, v1, v2
	s_wait_dscnt 0x0
	v_add_f32_e32 v1, v2, v1
	ds_bpermute_b32 v2, v4, v1
	s_wait_dscnt 0x0
	v_add_f32_e32 v1, v1, v2
	ds_bpermute_b32 v2, v5, v1
	s_wait_dscnt 0x0
	v_add_f32_e32 v7, v1, v2
.LBB40_10:
	s_or_b32 exec_lo, exec_lo, s2
	s_delay_alu instid0(SALU_CYCLE_1)
	s_mov_b32 s2, exec_lo
	v_cmpx_eq_u32_e32 0, v0
	s_cbranch_execz .LBB40_12
; %bb.11:
	s_load_b64 s[0:1], s[0:1], s8 offset:0x8 scale_offset
	s_wait_dscnt 0x0
	v_cvt_f16_f32_e32 v0, v7
	v_mov_b32_e32 v1, 0
	s_wait_kmcnt 0x0
	global_store_b16 v1, v0, s[0:1]
.LBB40_12:
	s_endpgm
	.section	.rodata,"a",@progbits
	.p2align	6, 0x0
	.amdhsa_kernel _ZN2at6native14lpnorm_cleanupIdLNS0_8NormTypeE0EN3c104HalfELb1EfEEvPKT3_NS0_19TensorListAddressesEi
		.amdhsa_group_segment_fixed_size 2048
		.amdhsa_private_segment_fixed_size 0
		.amdhsa_kernarg_size 3472
		.amdhsa_user_sgpr_count 2
		.amdhsa_user_sgpr_dispatch_ptr 0
		.amdhsa_user_sgpr_queue_ptr 0
		.amdhsa_user_sgpr_kernarg_segment_ptr 1
		.amdhsa_user_sgpr_dispatch_id 0
		.amdhsa_user_sgpr_kernarg_preload_length 0
		.amdhsa_user_sgpr_kernarg_preload_offset 0
		.amdhsa_user_sgpr_private_segment_size 0
		.amdhsa_wavefront_size32 1
		.amdhsa_uses_dynamic_stack 0
		.amdhsa_enable_private_segment 0
		.amdhsa_system_sgpr_workgroup_id_x 1
		.amdhsa_system_sgpr_workgroup_id_y 0
		.amdhsa_system_sgpr_workgroup_id_z 0
		.amdhsa_system_sgpr_workgroup_info 0
		.amdhsa_system_vgpr_workitem_id 0
		.amdhsa_next_free_vgpr 9
		.amdhsa_next_free_sgpr 12
		.amdhsa_named_barrier_count 0
		.amdhsa_reserve_vcc 1
		.amdhsa_float_round_mode_32 0
		.amdhsa_float_round_mode_16_64 0
		.amdhsa_float_denorm_mode_32 3
		.amdhsa_float_denorm_mode_16_64 3
		.amdhsa_fp16_overflow 0
		.amdhsa_memory_ordered 1
		.amdhsa_forward_progress 1
		.amdhsa_inst_pref_size 6
		.amdhsa_round_robin_scheduling 0
		.amdhsa_exception_fp_ieee_invalid_op 0
		.amdhsa_exception_fp_denorm_src 0
		.amdhsa_exception_fp_ieee_div_zero 0
		.amdhsa_exception_fp_ieee_overflow 0
		.amdhsa_exception_fp_ieee_underflow 0
		.amdhsa_exception_fp_ieee_inexact 0
		.amdhsa_exception_int_div_zero 0
	.end_amdhsa_kernel
	.section	.text._ZN2at6native14lpnorm_cleanupIdLNS0_8NormTypeE0EN3c104HalfELb1EfEEvPKT3_NS0_19TensorListAddressesEi,"axG",@progbits,_ZN2at6native14lpnorm_cleanupIdLNS0_8NormTypeE0EN3c104HalfELb1EfEEvPKT3_NS0_19TensorListAddressesEi,comdat
.Lfunc_end40:
	.size	_ZN2at6native14lpnorm_cleanupIdLNS0_8NormTypeE0EN3c104HalfELb1EfEEvPKT3_NS0_19TensorListAddressesEi, .Lfunc_end40-_ZN2at6native14lpnorm_cleanupIdLNS0_8NormTypeE0EN3c104HalfELb1EfEEvPKT3_NS0_19TensorListAddressesEi
                                        ; -- End function
	.set _ZN2at6native14lpnorm_cleanupIdLNS0_8NormTypeE0EN3c104HalfELb1EfEEvPKT3_NS0_19TensorListAddressesEi.num_vgpr, 9
	.set _ZN2at6native14lpnorm_cleanupIdLNS0_8NormTypeE0EN3c104HalfELb1EfEEvPKT3_NS0_19TensorListAddressesEi.num_agpr, 0
	.set _ZN2at6native14lpnorm_cleanupIdLNS0_8NormTypeE0EN3c104HalfELb1EfEEvPKT3_NS0_19TensorListAddressesEi.numbered_sgpr, 12
	.set _ZN2at6native14lpnorm_cleanupIdLNS0_8NormTypeE0EN3c104HalfELb1EfEEvPKT3_NS0_19TensorListAddressesEi.num_named_barrier, 0
	.set _ZN2at6native14lpnorm_cleanupIdLNS0_8NormTypeE0EN3c104HalfELb1EfEEvPKT3_NS0_19TensorListAddressesEi.private_seg_size, 0
	.set _ZN2at6native14lpnorm_cleanupIdLNS0_8NormTypeE0EN3c104HalfELb1EfEEvPKT3_NS0_19TensorListAddressesEi.uses_vcc, 1
	.set _ZN2at6native14lpnorm_cleanupIdLNS0_8NormTypeE0EN3c104HalfELb1EfEEvPKT3_NS0_19TensorListAddressesEi.uses_flat_scratch, 0
	.set _ZN2at6native14lpnorm_cleanupIdLNS0_8NormTypeE0EN3c104HalfELb1EfEEvPKT3_NS0_19TensorListAddressesEi.has_dyn_sized_stack, 0
	.set _ZN2at6native14lpnorm_cleanupIdLNS0_8NormTypeE0EN3c104HalfELb1EfEEvPKT3_NS0_19TensorListAddressesEi.has_recursion, 0
	.set _ZN2at6native14lpnorm_cleanupIdLNS0_8NormTypeE0EN3c104HalfELb1EfEEvPKT3_NS0_19TensorListAddressesEi.has_indirect_call, 0
	.section	.AMDGPU.csdata,"",@progbits
; Kernel info:
; codeLenInByte = 672
; TotalNumSgprs: 14
; NumVgprs: 9
; ScratchSize: 0
; MemoryBound: 0
; FloatMode: 240
; IeeeMode: 1
; LDSByteSize: 2048 bytes/workgroup (compile time only)
; SGPRBlocks: 0
; VGPRBlocks: 0
; NumSGPRsForWavesPerEU: 14
; NumVGPRsForWavesPerEU: 9
; NamedBarCnt: 0
; Occupancy: 16
; WaveLimiterHint : 0
; COMPUTE_PGM_RSRC2:SCRATCH_EN: 0
; COMPUTE_PGM_RSRC2:USER_SGPR: 2
; COMPUTE_PGM_RSRC2:TRAP_HANDLER: 0
; COMPUTE_PGM_RSRC2:TGID_X_EN: 1
; COMPUTE_PGM_RSRC2:TGID_Y_EN: 0
; COMPUTE_PGM_RSRC2:TGID_Z_EN: 0
; COMPUTE_PGM_RSRC2:TIDIG_COMP_CNT: 0
	.section	.text._ZN2at6native14lpnorm_cleanupIdLNS0_8NormTypeE1EN3c104HalfELb1EfEEvPKT3_NS0_19TensorListAddressesEi,"axG",@progbits,_ZN2at6native14lpnorm_cleanupIdLNS0_8NormTypeE1EN3c104HalfELb1EfEEvPKT3_NS0_19TensorListAddressesEi,comdat
	.protected	_ZN2at6native14lpnorm_cleanupIdLNS0_8NormTypeE1EN3c104HalfELb1EfEEvPKT3_NS0_19TensorListAddressesEi ; -- Begin function _ZN2at6native14lpnorm_cleanupIdLNS0_8NormTypeE1EN3c104HalfELb1EfEEvPKT3_NS0_19TensorListAddressesEi
	.globl	_ZN2at6native14lpnorm_cleanupIdLNS0_8NormTypeE1EN3c104HalfELb1EfEEvPKT3_NS0_19TensorListAddressesEi
	.p2align	8
	.type	_ZN2at6native14lpnorm_cleanupIdLNS0_8NormTypeE1EN3c104HalfELb1EfEEvPKT3_NS0_19TensorListAddressesEi,@function
_ZN2at6native14lpnorm_cleanupIdLNS0_8NormTypeE1EN3c104HalfELb1EfEEvPKT3_NS0_19TensorListAddressesEi: ; @_ZN2at6native14lpnorm_cleanupIdLNS0_8NormTypeE1EN3c104HalfELb1EfEEvPKT3_NS0_19TensorListAddressesEi
; %bb.0:
	s_load_b32 s2, s[0:1], 0xc88
	s_bfe_u32 s3, ttmp6, 0x4000c
	s_and_b32 s4, ttmp6, 15
	s_add_co_i32 s3, s3, 1
	s_getreg_b32 s5, hwreg(HW_REG_IB_STS2, 6, 4)
	s_mul_i32 s3, ttmp9, s3
	v_mov_b32_e32 v1, 0
	s_add_co_i32 s4, s4, s3
	s_cmp_eq_u32 s5, 0
	s_mov_b32 s5, 0
	s_cselect_b32 s8, ttmp9, s4
	s_mov_b32 s9, exec_lo
	s_wait_kmcnt 0x0
	v_cmpx_gt_u32_e64 s2, v0
	s_cbranch_execz .LBB41_4
; %bb.1:
	s_clause 0x1
	s_load_b64 s[6:7], s[0:1], 0x0
	s_load_b32 s4, s[0:1], 0xc9c
	v_dual_mov_b32 v1, 0 :: v_dual_lshlrev_b32 v2, 2, v0
	s_mul_i32 s10, s2, s8
	s_mov_b32 s11, s5
	s_ashr_i32 s3, s2, 31
	s_delay_alu instid0(VALU_DEP_1)
	v_mov_b32_e32 v3, v1
	s_lshl_b64 s[10:11], s[10:11], 2
	v_mov_b64_e32 v[4:5], v[0:1]
	s_wait_kmcnt 0x0
	s_add_nc_u64 s[6:7], s[6:7], s[10:11]
	s_and_b32 s4, s4, 0xffff
	v_add_nc_u64_e32 v[2:3], s[6:7], v[2:3]
	s_lshl_b32 s6, s4, 2
	s_mov_b32 s7, s5
	s_mov_b32 s10, s5
.LBB41_2:                               ; =>This Inner Loop Header: Depth=1
	global_load_b32 v6, v[2:3], off
	v_add_nc_u64_e32 v[4:5], s[4:5], v[4:5]
	s_wait_xcnt 0x0
	v_add_nc_u64_e32 v[2:3], s[6:7], v[2:3]
	s_delay_alu instid0(VALU_DEP_2)
	v_cmp_le_u64_e32 vcc_lo, s[2:3], v[4:5]
	s_or_b32 s10, vcc_lo, s10
	s_wait_loadcnt 0x0
	v_add_f32_e32 v1, v1, v6
	s_and_not1_b32 exec_lo, exec_lo, s10
	s_cbranch_execnz .LBB41_2
; %bb.3:
	s_or_b32 exec_lo, exec_lo, s10
.LBB41_4:
	s_delay_alu instid0(SALU_CYCLE_1) | instskip(SKIP_4) | instid1(VALU_DEP_1)
	s_or_b32 exec_lo, exec_lo, s9
	v_mbcnt_lo_u32_b32 v5, -1, 0
	s_mov_b32 s2, exec_lo
	s_barrier_signal -1
	s_barrier_wait -1
	v_lshl_or_b32 v2, v5, 2, 64
	v_cmp_gt_u32_e32 vcc_lo, 24, v5
	ds_bpermute_b32 v4, v2, v1
	v_cndmask_b32_e64 v3, 0, 8, vcc_lo
	v_cmp_gt_u32_e32 vcc_lo, 28, v5
	s_delay_alu instid0(VALU_DEP_2)
	v_add_lshl_u32 v3, v3, v5, 2
	s_wait_dscnt 0x0
	v_add_f32_e32 v4, v1, v4
	v_cndmask_b32_e64 v1, 0, 4, vcc_lo
	v_cmp_gt_u32_e32 vcc_lo, 30, v5
	ds_bpermute_b32 v6, v3, v4
	v_add_lshl_u32 v1, v1, v5, 2
	s_wait_dscnt 0x0
	v_add_f32_e32 v6, v4, v6
	v_cndmask_b32_e64 v4, 0, 2, vcc_lo
	v_cmp_ne_u32_e32 vcc_lo, 31, v5
	s_delay_alu instid0(VALU_DEP_2) | instskip(SKIP_1) | instid1(VALU_DEP_1)
	v_add_lshl_u32 v4, v4, v5, 2
	v_add_co_ci_u32_e64 v5, null, 0, v5, vcc_lo
	v_lshlrev_b32_e32 v5, 2, v5
	ds_bpermute_b32 v7, v1, v6
	s_wait_dscnt 0x0
	v_add_f32_e32 v6, v6, v7
	ds_bpermute_b32 v7, v4, v6
	s_wait_dscnt 0x0
	v_dual_add_f32 v7, v6, v7 :: v_dual_bitop2_b32 v6, 31, v0 bitop3:0x40
	ds_bpermute_b32 v8, v5, v7
	v_cmpx_eq_u32_e32 0, v6
	s_cbranch_execz .LBB41_6
; %bb.5:
	s_wait_dscnt 0x0
	v_add_f32_e32 v7, v7, v8
	v_lshrrev_b32_e32 v8, 3, v0
	ds_store_b32 v8, v7
.LBB41_6:
	s_or_b32 exec_lo, exec_lo, s2
	s_wait_dscnt 0x0
	s_barrier_signal -1
	s_barrier_wait -1
	s_load_b32 s2, s[0:1], 0xc9c
	v_mov_b32_e32 v7, 0
	s_wait_kmcnt 0x0
	s_bfe_u32 s2, s2, 0xb0005
	s_delay_alu instid0(SALU_CYCLE_1)
	v_cmp_gt_u32_e32 vcc_lo, s2, v0
	s_and_saveexec_b32 s2, vcc_lo
; %bb.7:
	v_lshlrev_b32_e32 v6, 2, v6
	ds_load_b32 v7, v6
; %bb.8:
	s_or_b32 exec_lo, exec_lo, s2
	s_delay_alu instid0(SALU_CYCLE_1)
	s_mov_b32 s2, exec_lo
	v_cmpx_gt_u32_e32 32, v0
	s_cbranch_execz .LBB41_10
; %bb.9:
	s_wait_dscnt 0x0
	ds_bpermute_b32 v2, v2, v7
	s_wait_dscnt 0x0
	v_add_f32_e32 v2, v7, v2
	ds_bpermute_b32 v3, v3, v2
	s_wait_dscnt 0x0
	v_add_f32_e32 v2, v2, v3
	;; [unrolled: 3-line block ×5, first 2 shown]
.LBB41_10:
	s_or_b32 exec_lo, exec_lo, s2
	s_delay_alu instid0(SALU_CYCLE_1)
	s_mov_b32 s2, exec_lo
	v_cmpx_eq_u32_e32 0, v0
	s_cbranch_execz .LBB41_12
; %bb.11:
	s_load_b64 s[0:1], s[0:1], s8 offset:0x8 scale_offset
	s_wait_dscnt 0x0
	v_cvt_f16_f32_e32 v0, v7
	v_mov_b32_e32 v1, 0
	s_wait_kmcnt 0x0
	global_store_b16 v1, v0, s[0:1]
.LBB41_12:
	s_endpgm
	.section	.rodata,"a",@progbits
	.p2align	6, 0x0
	.amdhsa_kernel _ZN2at6native14lpnorm_cleanupIdLNS0_8NormTypeE1EN3c104HalfELb1EfEEvPKT3_NS0_19TensorListAddressesEi
		.amdhsa_group_segment_fixed_size 2048
		.amdhsa_private_segment_fixed_size 0
		.amdhsa_kernarg_size 3472
		.amdhsa_user_sgpr_count 2
		.amdhsa_user_sgpr_dispatch_ptr 0
		.amdhsa_user_sgpr_queue_ptr 0
		.amdhsa_user_sgpr_kernarg_segment_ptr 1
		.amdhsa_user_sgpr_dispatch_id 0
		.amdhsa_user_sgpr_kernarg_preload_length 0
		.amdhsa_user_sgpr_kernarg_preload_offset 0
		.amdhsa_user_sgpr_private_segment_size 0
		.amdhsa_wavefront_size32 1
		.amdhsa_uses_dynamic_stack 0
		.amdhsa_enable_private_segment 0
		.amdhsa_system_sgpr_workgroup_id_x 1
		.amdhsa_system_sgpr_workgroup_id_y 0
		.amdhsa_system_sgpr_workgroup_id_z 0
		.amdhsa_system_sgpr_workgroup_info 0
		.amdhsa_system_vgpr_workitem_id 0
		.amdhsa_next_free_vgpr 9
		.amdhsa_next_free_sgpr 12
		.amdhsa_named_barrier_count 0
		.amdhsa_reserve_vcc 1
		.amdhsa_float_round_mode_32 0
		.amdhsa_float_round_mode_16_64 0
		.amdhsa_float_denorm_mode_32 3
		.amdhsa_float_denorm_mode_16_64 3
		.amdhsa_fp16_overflow 0
		.amdhsa_memory_ordered 1
		.amdhsa_forward_progress 1
		.amdhsa_inst_pref_size 6
		.amdhsa_round_robin_scheduling 0
		.amdhsa_exception_fp_ieee_invalid_op 0
		.amdhsa_exception_fp_denorm_src 0
		.amdhsa_exception_fp_ieee_div_zero 0
		.amdhsa_exception_fp_ieee_overflow 0
		.amdhsa_exception_fp_ieee_underflow 0
		.amdhsa_exception_fp_ieee_inexact 0
		.amdhsa_exception_int_div_zero 0
	.end_amdhsa_kernel
	.section	.text._ZN2at6native14lpnorm_cleanupIdLNS0_8NormTypeE1EN3c104HalfELb1EfEEvPKT3_NS0_19TensorListAddressesEi,"axG",@progbits,_ZN2at6native14lpnorm_cleanupIdLNS0_8NormTypeE1EN3c104HalfELb1EfEEvPKT3_NS0_19TensorListAddressesEi,comdat
.Lfunc_end41:
	.size	_ZN2at6native14lpnorm_cleanupIdLNS0_8NormTypeE1EN3c104HalfELb1EfEEvPKT3_NS0_19TensorListAddressesEi, .Lfunc_end41-_ZN2at6native14lpnorm_cleanupIdLNS0_8NormTypeE1EN3c104HalfELb1EfEEvPKT3_NS0_19TensorListAddressesEi
                                        ; -- End function
	.set _ZN2at6native14lpnorm_cleanupIdLNS0_8NormTypeE1EN3c104HalfELb1EfEEvPKT3_NS0_19TensorListAddressesEi.num_vgpr, 9
	.set _ZN2at6native14lpnorm_cleanupIdLNS0_8NormTypeE1EN3c104HalfELb1EfEEvPKT3_NS0_19TensorListAddressesEi.num_agpr, 0
	.set _ZN2at6native14lpnorm_cleanupIdLNS0_8NormTypeE1EN3c104HalfELb1EfEEvPKT3_NS0_19TensorListAddressesEi.numbered_sgpr, 12
	.set _ZN2at6native14lpnorm_cleanupIdLNS0_8NormTypeE1EN3c104HalfELb1EfEEvPKT3_NS0_19TensorListAddressesEi.num_named_barrier, 0
	.set _ZN2at6native14lpnorm_cleanupIdLNS0_8NormTypeE1EN3c104HalfELb1EfEEvPKT3_NS0_19TensorListAddressesEi.private_seg_size, 0
	.set _ZN2at6native14lpnorm_cleanupIdLNS0_8NormTypeE1EN3c104HalfELb1EfEEvPKT3_NS0_19TensorListAddressesEi.uses_vcc, 1
	.set _ZN2at6native14lpnorm_cleanupIdLNS0_8NormTypeE1EN3c104HalfELb1EfEEvPKT3_NS0_19TensorListAddressesEi.uses_flat_scratch, 0
	.set _ZN2at6native14lpnorm_cleanupIdLNS0_8NormTypeE1EN3c104HalfELb1EfEEvPKT3_NS0_19TensorListAddressesEi.has_dyn_sized_stack, 0
	.set _ZN2at6native14lpnorm_cleanupIdLNS0_8NormTypeE1EN3c104HalfELb1EfEEvPKT3_NS0_19TensorListAddressesEi.has_recursion, 0
	.set _ZN2at6native14lpnorm_cleanupIdLNS0_8NormTypeE1EN3c104HalfELb1EfEEvPKT3_NS0_19TensorListAddressesEi.has_indirect_call, 0
	.section	.AMDGPU.csdata,"",@progbits
; Kernel info:
; codeLenInByte = 672
; TotalNumSgprs: 14
; NumVgprs: 9
; ScratchSize: 0
; MemoryBound: 0
; FloatMode: 240
; IeeeMode: 1
; LDSByteSize: 2048 bytes/workgroup (compile time only)
; SGPRBlocks: 0
; VGPRBlocks: 0
; NumSGPRsForWavesPerEU: 14
; NumVGPRsForWavesPerEU: 9
; NamedBarCnt: 0
; Occupancy: 16
; WaveLimiterHint : 0
; COMPUTE_PGM_RSRC2:SCRATCH_EN: 0
; COMPUTE_PGM_RSRC2:USER_SGPR: 2
; COMPUTE_PGM_RSRC2:TRAP_HANDLER: 0
; COMPUTE_PGM_RSRC2:TGID_X_EN: 1
; COMPUTE_PGM_RSRC2:TGID_Y_EN: 0
; COMPUTE_PGM_RSRC2:TGID_Z_EN: 0
; COMPUTE_PGM_RSRC2:TIDIG_COMP_CNT: 0
	.section	.text._ZN2at6native14lpnorm_cleanupIdLNS0_8NormTypeE2EN3c104HalfELb1EfEEvPKT3_NS0_19TensorListAddressesEi,"axG",@progbits,_ZN2at6native14lpnorm_cleanupIdLNS0_8NormTypeE2EN3c104HalfELb1EfEEvPKT3_NS0_19TensorListAddressesEi,comdat
	.protected	_ZN2at6native14lpnorm_cleanupIdLNS0_8NormTypeE2EN3c104HalfELb1EfEEvPKT3_NS0_19TensorListAddressesEi ; -- Begin function _ZN2at6native14lpnorm_cleanupIdLNS0_8NormTypeE2EN3c104HalfELb1EfEEvPKT3_NS0_19TensorListAddressesEi
	.globl	_ZN2at6native14lpnorm_cleanupIdLNS0_8NormTypeE2EN3c104HalfELb1EfEEvPKT3_NS0_19TensorListAddressesEi
	.p2align	8
	.type	_ZN2at6native14lpnorm_cleanupIdLNS0_8NormTypeE2EN3c104HalfELb1EfEEvPKT3_NS0_19TensorListAddressesEi,@function
_ZN2at6native14lpnorm_cleanupIdLNS0_8NormTypeE2EN3c104HalfELb1EfEEvPKT3_NS0_19TensorListAddressesEi: ; @_ZN2at6native14lpnorm_cleanupIdLNS0_8NormTypeE2EN3c104HalfELb1EfEEvPKT3_NS0_19TensorListAddressesEi
; %bb.0:
	s_load_b32 s2, s[0:1], 0xc88
	s_bfe_u32 s3, ttmp6, 0x4000c
	s_and_b32 s4, ttmp6, 15
	s_add_co_i32 s3, s3, 1
	s_getreg_b32 s5, hwreg(HW_REG_IB_STS2, 6, 4)
	s_mul_i32 s3, ttmp9, s3
	v_mov_b32_e32 v1, 0
	s_add_co_i32 s4, s4, s3
	s_cmp_eq_u32 s5, 0
	s_mov_b32 s5, 0
	s_cselect_b32 s8, ttmp9, s4
	s_mov_b32 s9, exec_lo
	s_wait_kmcnt 0x0
	v_cmpx_gt_u32_e64 s2, v0
	s_cbranch_execz .LBB42_4
; %bb.1:
	s_clause 0x1
	s_load_b64 s[6:7], s[0:1], 0x0
	s_load_b32 s4, s[0:1], 0xc9c
	v_dual_mov_b32 v1, 0 :: v_dual_lshlrev_b32 v2, 2, v0
	s_mul_i32 s10, s2, s8
	s_mov_b32 s11, s5
	s_ashr_i32 s3, s2, 31
	s_delay_alu instid0(VALU_DEP_1)
	v_mov_b32_e32 v3, v1
	s_lshl_b64 s[10:11], s[10:11], 2
	v_mov_b64_e32 v[4:5], v[0:1]
	s_wait_kmcnt 0x0
	s_add_nc_u64 s[6:7], s[6:7], s[10:11]
	s_and_b32 s4, s4, 0xffff
	v_add_nc_u64_e32 v[2:3], s[6:7], v[2:3]
	s_lshl_b32 s6, s4, 2
	s_mov_b32 s7, s5
	s_mov_b32 s10, s5
.LBB42_2:                               ; =>This Inner Loop Header: Depth=1
	global_load_b32 v6, v[2:3], off
	v_add_nc_u64_e32 v[4:5], s[4:5], v[4:5]
	s_wait_xcnt 0x0
	v_add_nc_u64_e32 v[2:3], s[6:7], v[2:3]
	s_delay_alu instid0(VALU_DEP_2)
	v_cmp_le_u64_e32 vcc_lo, s[2:3], v[4:5]
	s_or_b32 s10, vcc_lo, s10
	s_wait_loadcnt 0x0
	v_add_f32_e32 v1, v1, v6
	s_and_not1_b32 exec_lo, exec_lo, s10
	s_cbranch_execnz .LBB42_2
; %bb.3:
	s_or_b32 exec_lo, exec_lo, s10
.LBB42_4:
	s_delay_alu instid0(SALU_CYCLE_1) | instskip(SKIP_4) | instid1(VALU_DEP_1)
	s_or_b32 exec_lo, exec_lo, s9
	v_mbcnt_lo_u32_b32 v5, -1, 0
	s_mov_b32 s2, exec_lo
	s_barrier_signal -1
	s_barrier_wait -1
	v_lshl_or_b32 v2, v5, 2, 64
	v_cmp_gt_u32_e32 vcc_lo, 24, v5
	ds_bpermute_b32 v4, v2, v1
	v_cndmask_b32_e64 v3, 0, 8, vcc_lo
	v_cmp_gt_u32_e32 vcc_lo, 28, v5
	s_delay_alu instid0(VALU_DEP_2)
	v_add_lshl_u32 v3, v3, v5, 2
	s_wait_dscnt 0x0
	v_add_f32_e32 v4, v1, v4
	v_cndmask_b32_e64 v1, 0, 4, vcc_lo
	v_cmp_gt_u32_e32 vcc_lo, 30, v5
	ds_bpermute_b32 v6, v3, v4
	v_add_lshl_u32 v1, v1, v5, 2
	s_wait_dscnt 0x0
	v_add_f32_e32 v6, v4, v6
	v_cndmask_b32_e64 v4, 0, 2, vcc_lo
	v_cmp_ne_u32_e32 vcc_lo, 31, v5
	s_delay_alu instid0(VALU_DEP_2) | instskip(SKIP_1) | instid1(VALU_DEP_1)
	v_add_lshl_u32 v4, v4, v5, 2
	v_add_co_ci_u32_e64 v5, null, 0, v5, vcc_lo
	v_lshlrev_b32_e32 v5, 2, v5
	ds_bpermute_b32 v7, v1, v6
	s_wait_dscnt 0x0
	v_add_f32_e32 v6, v6, v7
	ds_bpermute_b32 v7, v4, v6
	s_wait_dscnt 0x0
	v_dual_add_f32 v7, v6, v7 :: v_dual_bitop2_b32 v6, 31, v0 bitop3:0x40
	ds_bpermute_b32 v8, v5, v7
	v_cmpx_eq_u32_e32 0, v6
	s_cbranch_execz .LBB42_6
; %bb.5:
	s_wait_dscnt 0x0
	v_add_f32_e32 v7, v7, v8
	v_lshrrev_b32_e32 v8, 3, v0
	ds_store_b32 v8, v7
.LBB42_6:
	s_or_b32 exec_lo, exec_lo, s2
	s_wait_dscnt 0x0
	s_barrier_signal -1
	s_barrier_wait -1
	s_load_b32 s2, s[0:1], 0xc9c
	v_mov_b32_e32 v7, 0
	s_wait_kmcnt 0x0
	s_bfe_u32 s2, s2, 0xb0005
	s_delay_alu instid0(SALU_CYCLE_1)
	v_cmp_gt_u32_e32 vcc_lo, s2, v0
	s_and_saveexec_b32 s2, vcc_lo
; %bb.7:
	v_lshlrev_b32_e32 v6, 2, v6
	ds_load_b32 v7, v6
; %bb.8:
	s_or_b32 exec_lo, exec_lo, s2
	s_delay_alu instid0(SALU_CYCLE_1)
	s_mov_b32 s2, exec_lo
	v_cmpx_gt_u32_e32 32, v0
	s_cbranch_execz .LBB42_10
; %bb.9:
	s_wait_dscnt 0x0
	ds_bpermute_b32 v2, v2, v7
	s_wait_dscnt 0x0
	v_add_f32_e32 v2, v7, v2
	ds_bpermute_b32 v3, v3, v2
	s_wait_dscnt 0x0
	v_add_f32_e32 v2, v2, v3
	ds_bpermute_b32 v1, v1, v2
	s_wait_dscnt 0x0
	v_add_f32_e32 v1, v2, v1
	ds_bpermute_b32 v2, v4, v1
	s_wait_dscnt 0x0
	v_add_f32_e32 v1, v1, v2
	ds_bpermute_b32 v2, v5, v1
	s_wait_dscnt 0x0
	v_add_f32_e32 v7, v1, v2
.LBB42_10:
	s_or_b32 exec_lo, exec_lo, s2
	s_delay_alu instid0(SALU_CYCLE_1)
	s_mov_b32 s2, exec_lo
	v_cmpx_eq_u32_e32 0, v0
	s_cbranch_execz .LBB42_12
; %bb.11:
	s_wait_dscnt 0x0
	v_mul_f32_e32 v0, 0x4f800000, v7
	v_cmp_gt_f32_e32 vcc_lo, 0xf800000, v7
	s_load_b64 s[0:1], s[0:1], s8 offset:0x8 scale_offset
	s_delay_alu instid0(VALU_DEP_2) | instskip(NEXT) | instid1(VALU_DEP_1)
	v_cndmask_b32_e32 v0, v7, v0, vcc_lo
	v_sqrt_f32_e32 v1, v0
	v_nop
	s_delay_alu instid0(TRANS32_DEP_1) | instskip(NEXT) | instid1(VALU_DEP_1)
	v_dual_add_nc_u32 v2, -1, v1 :: v_dual_add_nc_u32 v3, 1, v1
	v_dual_fma_f32 v4, -v2, v1, v0 :: v_dual_fma_f32 v5, -v3, v1, v0
	s_delay_alu instid0(VALU_DEP_1) | instskip(NEXT) | instid1(VALU_DEP_1)
	v_cmp_ge_f32_e64 s2, 0, v4
	v_cndmask_b32_e64 v1, v1, v2, s2
	s_delay_alu instid0(VALU_DEP_3) | instskip(NEXT) | instid1(VALU_DEP_1)
	v_cmp_lt_f32_e64 s2, 0, v5
	v_cndmask_b32_e64 v1, v1, v3, s2
	s_delay_alu instid0(VALU_DEP_1) | instskip(NEXT) | instid1(VALU_DEP_1)
	v_mul_f32_e32 v2, 0x37800000, v1
	v_cndmask_b32_e32 v1, v1, v2, vcc_lo
	v_cmp_class_f32_e64 vcc_lo, v0, 0x260
	s_delay_alu instid0(VALU_DEP_2) | instskip(NEXT) | instid1(VALU_DEP_1)
	v_dual_cndmask_b32 v0, v1, v0 :: v_dual_mov_b32 v1, 0
	v_cvt_f16_f32_e32 v0, v0
	s_wait_kmcnt 0x0
	global_store_b16 v1, v0, s[0:1]
.LBB42_12:
	s_endpgm
	.section	.rodata,"a",@progbits
	.p2align	6, 0x0
	.amdhsa_kernel _ZN2at6native14lpnorm_cleanupIdLNS0_8NormTypeE2EN3c104HalfELb1EfEEvPKT3_NS0_19TensorListAddressesEi
		.amdhsa_group_segment_fixed_size 2048
		.amdhsa_private_segment_fixed_size 0
		.amdhsa_kernarg_size 3472
		.amdhsa_user_sgpr_count 2
		.amdhsa_user_sgpr_dispatch_ptr 0
		.amdhsa_user_sgpr_queue_ptr 0
		.amdhsa_user_sgpr_kernarg_segment_ptr 1
		.amdhsa_user_sgpr_dispatch_id 0
		.amdhsa_user_sgpr_kernarg_preload_length 0
		.amdhsa_user_sgpr_kernarg_preload_offset 0
		.amdhsa_user_sgpr_private_segment_size 0
		.amdhsa_wavefront_size32 1
		.amdhsa_uses_dynamic_stack 0
		.amdhsa_enable_private_segment 0
		.amdhsa_system_sgpr_workgroup_id_x 1
		.amdhsa_system_sgpr_workgroup_id_y 0
		.amdhsa_system_sgpr_workgroup_id_z 0
		.amdhsa_system_sgpr_workgroup_info 0
		.amdhsa_system_vgpr_workitem_id 0
		.amdhsa_next_free_vgpr 9
		.amdhsa_next_free_sgpr 12
		.amdhsa_named_barrier_count 0
		.amdhsa_reserve_vcc 1
		.amdhsa_float_round_mode_32 0
		.amdhsa_float_round_mode_16_64 0
		.amdhsa_float_denorm_mode_32 3
		.amdhsa_float_denorm_mode_16_64 3
		.amdhsa_fp16_overflow 0
		.amdhsa_memory_ordered 1
		.amdhsa_forward_progress 1
		.amdhsa_inst_pref_size 7
		.amdhsa_round_robin_scheduling 0
		.amdhsa_exception_fp_ieee_invalid_op 0
		.amdhsa_exception_fp_denorm_src 0
		.amdhsa_exception_fp_ieee_div_zero 0
		.amdhsa_exception_fp_ieee_overflow 0
		.amdhsa_exception_fp_ieee_underflow 0
		.amdhsa_exception_fp_ieee_inexact 0
		.amdhsa_exception_int_div_zero 0
	.end_amdhsa_kernel
	.section	.text._ZN2at6native14lpnorm_cleanupIdLNS0_8NormTypeE2EN3c104HalfELb1EfEEvPKT3_NS0_19TensorListAddressesEi,"axG",@progbits,_ZN2at6native14lpnorm_cleanupIdLNS0_8NormTypeE2EN3c104HalfELb1EfEEvPKT3_NS0_19TensorListAddressesEi,comdat
.Lfunc_end42:
	.size	_ZN2at6native14lpnorm_cleanupIdLNS0_8NormTypeE2EN3c104HalfELb1EfEEvPKT3_NS0_19TensorListAddressesEi, .Lfunc_end42-_ZN2at6native14lpnorm_cleanupIdLNS0_8NormTypeE2EN3c104HalfELb1EfEEvPKT3_NS0_19TensorListAddressesEi
                                        ; -- End function
	.set _ZN2at6native14lpnorm_cleanupIdLNS0_8NormTypeE2EN3c104HalfELb1EfEEvPKT3_NS0_19TensorListAddressesEi.num_vgpr, 9
	.set _ZN2at6native14lpnorm_cleanupIdLNS0_8NormTypeE2EN3c104HalfELb1EfEEvPKT3_NS0_19TensorListAddressesEi.num_agpr, 0
	.set _ZN2at6native14lpnorm_cleanupIdLNS0_8NormTypeE2EN3c104HalfELb1EfEEvPKT3_NS0_19TensorListAddressesEi.numbered_sgpr, 12
	.set _ZN2at6native14lpnorm_cleanupIdLNS0_8NormTypeE2EN3c104HalfELb1EfEEvPKT3_NS0_19TensorListAddressesEi.num_named_barrier, 0
	.set _ZN2at6native14lpnorm_cleanupIdLNS0_8NormTypeE2EN3c104HalfELb1EfEEvPKT3_NS0_19TensorListAddressesEi.private_seg_size, 0
	.set _ZN2at6native14lpnorm_cleanupIdLNS0_8NormTypeE2EN3c104HalfELb1EfEEvPKT3_NS0_19TensorListAddressesEi.uses_vcc, 1
	.set _ZN2at6native14lpnorm_cleanupIdLNS0_8NormTypeE2EN3c104HalfELb1EfEEvPKT3_NS0_19TensorListAddressesEi.uses_flat_scratch, 0
	.set _ZN2at6native14lpnorm_cleanupIdLNS0_8NormTypeE2EN3c104HalfELb1EfEEvPKT3_NS0_19TensorListAddressesEi.has_dyn_sized_stack, 0
	.set _ZN2at6native14lpnorm_cleanupIdLNS0_8NormTypeE2EN3c104HalfELb1EfEEvPKT3_NS0_19TensorListAddressesEi.has_recursion, 0
	.set _ZN2at6native14lpnorm_cleanupIdLNS0_8NormTypeE2EN3c104HalfELb1EfEEvPKT3_NS0_19TensorListAddressesEi.has_indirect_call, 0
	.section	.AMDGPU.csdata,"",@progbits
; Kernel info:
; codeLenInByte = 808
; TotalNumSgprs: 14
; NumVgprs: 9
; ScratchSize: 0
; MemoryBound: 0
; FloatMode: 240
; IeeeMode: 1
; LDSByteSize: 2048 bytes/workgroup (compile time only)
; SGPRBlocks: 0
; VGPRBlocks: 0
; NumSGPRsForWavesPerEU: 14
; NumVGPRsForWavesPerEU: 9
; NamedBarCnt: 0
; Occupancy: 16
; WaveLimiterHint : 0
; COMPUTE_PGM_RSRC2:SCRATCH_EN: 0
; COMPUTE_PGM_RSRC2:USER_SGPR: 2
; COMPUTE_PGM_RSRC2:TRAP_HANDLER: 0
; COMPUTE_PGM_RSRC2:TGID_X_EN: 1
; COMPUTE_PGM_RSRC2:TGID_Y_EN: 0
; COMPUTE_PGM_RSRC2:TGID_Z_EN: 0
; COMPUTE_PGM_RSRC2:TIDIG_COMP_CNT: 0
	.section	.text._ZN2at6native14lpnorm_cleanupIdLNS0_8NormTypeE3EN3c104HalfELb1EfEEvPKT3_NS0_19TensorListAddressesEi,"axG",@progbits,_ZN2at6native14lpnorm_cleanupIdLNS0_8NormTypeE3EN3c104HalfELb1EfEEvPKT3_NS0_19TensorListAddressesEi,comdat
	.protected	_ZN2at6native14lpnorm_cleanupIdLNS0_8NormTypeE3EN3c104HalfELb1EfEEvPKT3_NS0_19TensorListAddressesEi ; -- Begin function _ZN2at6native14lpnorm_cleanupIdLNS0_8NormTypeE3EN3c104HalfELb1EfEEvPKT3_NS0_19TensorListAddressesEi
	.globl	_ZN2at6native14lpnorm_cleanupIdLNS0_8NormTypeE3EN3c104HalfELb1EfEEvPKT3_NS0_19TensorListAddressesEi
	.p2align	8
	.type	_ZN2at6native14lpnorm_cleanupIdLNS0_8NormTypeE3EN3c104HalfELb1EfEEvPKT3_NS0_19TensorListAddressesEi,@function
_ZN2at6native14lpnorm_cleanupIdLNS0_8NormTypeE3EN3c104HalfELb1EfEEvPKT3_NS0_19TensorListAddressesEi: ; @_ZN2at6native14lpnorm_cleanupIdLNS0_8NormTypeE3EN3c104HalfELb1EfEEvPKT3_NS0_19TensorListAddressesEi
; %bb.0:
	s_load_b32 s4, s[0:1], 0xc88
	s_bfe_u32 s2, ttmp6, 0x4000c
	s_and_b32 s3, ttmp6, 15
	s_add_co_i32 s2, s2, 1
	s_getreg_b32 s5, hwreg(HW_REG_IB_STS2, 6, 4)
	s_mul_i32 s2, ttmp9, s2
	v_mov_b32_e32 v1, 0
	s_add_co_i32 s3, s3, s2
	s_cmp_eq_u32 s5, 0
	s_mov_b32 s7, 0
	s_cselect_b32 s10, ttmp9, s3
	s_mov_b32 s11, exec_lo
	s_wait_kmcnt 0x0
	v_cmpx_gt_u32_e64 s4, v0
	s_cbranch_execz .LBB43_4
; %bb.1:
	s_clause 0x1
	s_load_b64 s[2:3], s[0:1], 0x0
	s_load_b32 s6, s[0:1], 0xc9c
	v_dual_mov_b32 v1, 0 :: v_dual_lshlrev_b32 v2, 2, v0
	s_mul_i32 s8, s4, s10
	s_mov_b32 s9, s7
	s_ashr_i32 s5, s4, 31
	s_delay_alu instid0(VALU_DEP_1)
	v_mov_b32_e32 v3, v1
	s_lshl_b64 s[8:9], s[8:9], 2
	v_mov_b64_e32 v[4:5], v[0:1]
	s_mov_b32 s12, s7
	s_wait_kmcnt 0x0
	s_add_nc_u64 s[2:3], s[2:3], s[8:9]
	s_and_b32 s6, s6, 0xffff
	v_add_nc_u64_e32 v[2:3], s[2:3], v[2:3]
	s_lshl_b32 s8, s6, 2
	s_mov_b32 s9, s7
.LBB43_2:                               ; =>This Inner Loop Header: Depth=1
	global_load_b32 v6, v[2:3], off
	v_add_nc_u64_e32 v[4:5], s[6:7], v[4:5]
	s_wait_xcnt 0x0
	v_add_nc_u64_e32 v[2:3], s[8:9], v[2:3]
	s_delay_alu instid0(VALU_DEP_2)
	v_cmp_le_u64_e32 vcc_lo, s[4:5], v[4:5]
	s_wait_loadcnt 0x0
	v_cmp_u_f32_e64 s2, v6, v6
	v_cmp_lt_f32_e64 s3, v1, v6
	s_or_b32 s2, s2, s3
	s_or_b32 s12, vcc_lo, s12
	v_cndmask_b32_e64 v1, v1, v6, s2
	s_and_not1_b32 exec_lo, exec_lo, s12
	s_cbranch_execnz .LBB43_2
; %bb.3:
	s_or_b32 exec_lo, exec_lo, s12
.LBB43_4:
	s_delay_alu instid0(SALU_CYCLE_1) | instskip(SKIP_3) | instid1(VALU_DEP_1)
	s_or_b32 exec_lo, exec_lo, s11
	v_mbcnt_lo_u32_b32 v5, -1, 0
	s_barrier_signal -1
	s_barrier_wait -1
	v_lshl_or_b32 v2, v5, 2, 64
	v_cmp_gt_u32_e32 vcc_lo, 24, v5
	v_cmp_ne_u32_e64 s3, 31, v5
	ds_bpermute_b32 v4, v2, v1
	v_cndmask_b32_e64 v3, 0, 8, vcc_lo
	s_delay_alu instid0(VALU_DEP_1)
	v_add_lshl_u32 v3, v3, v5, 2
	s_wait_dscnt 0x0
	v_cmp_u_f32_e32 vcc_lo, v4, v4
	v_cmp_lt_f32_e64 s2, v1, v4
	s_or_b32 vcc_lo, vcc_lo, s2
	v_cndmask_b32_e32 v4, v1, v4, vcc_lo
	v_cmp_gt_u32_e32 vcc_lo, 28, v5
	ds_bpermute_b32 v6, v3, v4
	v_cndmask_b32_e64 v1, 0, 4, vcc_lo
	s_delay_alu instid0(VALU_DEP_1)
	v_add_lshl_u32 v1, v1, v5, 2
	s_wait_dscnt 0x0
	v_cmp_u_f32_e32 vcc_lo, v6, v6
	v_cmp_lt_f32_e64 s2, v4, v6
	s_or_b32 vcc_lo, vcc_lo, s2
	v_cndmask_b32_e32 v6, v4, v6, vcc_lo
	v_cmp_gt_u32_e32 vcc_lo, 30, v5
	v_cndmask_b32_e64 v4, 0, 2, vcc_lo
	s_delay_alu instid0(VALU_DEP_1)
	v_add_lshl_u32 v4, v4, v5, 2
	v_add_co_ci_u32_e64 v5, null, 0, v5, s3
	s_mov_b32 s3, exec_lo
	v_lshlrev_b32_e32 v5, 2, v5
	ds_bpermute_b32 v7, v1, v6
	s_wait_dscnt 0x0
	v_cmp_u_f32_e32 vcc_lo, v7, v7
	v_cmp_lt_f32_e64 s2, v6, v7
	s_or_b32 vcc_lo, vcc_lo, s2
	v_cndmask_b32_e32 v6, v6, v7, vcc_lo
	ds_bpermute_b32 v7, v4, v6
	s_wait_dscnt 0x0
	v_cmp_u_f32_e32 vcc_lo, v7, v7
	v_cmp_lt_f32_e64 s2, v6, v7
	s_or_b32 vcc_lo, vcc_lo, s2
	s_delay_alu instid0(SALU_CYCLE_1)
	v_dual_cndmask_b32 v7, v6, v7, vcc_lo :: v_dual_bitop2_b32 v6, 31, v0 bitop3:0x40
	ds_bpermute_b32 v8, v5, v7
	v_cmpx_eq_u32_e32 0, v6
	s_cbranch_execz .LBB43_6
; %bb.5:
	s_wait_dscnt 0x0
	v_cmp_u_f32_e32 vcc_lo, v8, v8
	v_cmp_lt_f32_e64 s2, v7, v8
	s_or_b32 vcc_lo, vcc_lo, s2
	v_cndmask_b32_e32 v7, v7, v8, vcc_lo
	v_lshrrev_b32_e32 v8, 3, v0
	ds_store_b32 v8, v7
.LBB43_6:
	s_or_b32 exec_lo, exec_lo, s3
	s_wait_dscnt 0x0
	s_barrier_signal -1
	s_barrier_wait -1
	s_load_b32 s2, s[0:1], 0xc9c
	v_mov_b32_e32 v7, 0xff7fffff
	s_wait_kmcnt 0x0
	s_bfe_u32 s2, s2, 0xb0005
	s_delay_alu instid0(SALU_CYCLE_1)
	v_cmp_gt_u32_e32 vcc_lo, s2, v0
	s_and_saveexec_b32 s2, vcc_lo
; %bb.7:
	v_lshlrev_b32_e32 v6, 2, v6
	ds_load_b32 v7, v6
; %bb.8:
	s_or_b32 exec_lo, exec_lo, s2
	s_delay_alu instid0(SALU_CYCLE_1)
	s_mov_b32 s3, exec_lo
	v_cmpx_gt_u32_e32 32, v0
	s_cbranch_execz .LBB43_10
; %bb.9:
	s_wait_dscnt 0x0
	ds_bpermute_b32 v2, v2, v7
	s_wait_dscnt 0x0
	v_cmp_u_f32_e32 vcc_lo, v2, v2
	v_cmp_lt_f32_e64 s2, v7, v2
	s_or_b32 vcc_lo, vcc_lo, s2
	v_cndmask_b32_e32 v2, v7, v2, vcc_lo
	ds_bpermute_b32 v3, v3, v2
	s_wait_dscnt 0x0
	v_cmp_u_f32_e32 vcc_lo, v3, v3
	v_cmp_lt_f32_e64 s2, v2, v3
	s_or_b32 vcc_lo, vcc_lo, s2
	v_cndmask_b32_e32 v2, v2, v3, vcc_lo
	ds_bpermute_b32 v1, v1, v2
	s_wait_dscnt 0x0
	v_cmp_u_f32_e32 vcc_lo, v1, v1
	v_cmp_lt_f32_e64 s2, v2, v1
	s_or_b32 vcc_lo, vcc_lo, s2
	v_cndmask_b32_e32 v1, v2, v1, vcc_lo
	ds_bpermute_b32 v2, v4, v1
	s_wait_dscnt 0x0
	v_cmp_u_f32_e32 vcc_lo, v2, v2
	v_cmp_lt_f32_e64 s2, v1, v2
	s_or_b32 vcc_lo, vcc_lo, s2
	v_cndmask_b32_e32 v1, v1, v2, vcc_lo
	ds_bpermute_b32 v2, v5, v1
	s_wait_dscnt 0x0
	v_cmp_u_f32_e32 vcc_lo, v2, v2
	v_cmp_lt_f32_e64 s2, v1, v2
	s_or_b32 vcc_lo, vcc_lo, s2
	v_cndmask_b32_e32 v7, v1, v2, vcc_lo
.LBB43_10:
	s_or_b32 exec_lo, exec_lo, s3
	s_delay_alu instid0(SALU_CYCLE_1)
	s_mov_b32 s2, exec_lo
	v_cmpx_eq_u32_e32 0, v0
	s_cbranch_execz .LBB43_12
; %bb.11:
	s_load_b64 s[0:1], s[0:1], s10 offset:0x8 scale_offset
	s_wait_dscnt 0x0
	v_cvt_f16_f32_e32 v0, v7
	v_mov_b32_e32 v1, 0
	s_wait_kmcnt 0x0
	global_store_b16 v1, v0, s[0:1]
.LBB43_12:
	s_endpgm
	.section	.rodata,"a",@progbits
	.p2align	6, 0x0
	.amdhsa_kernel _ZN2at6native14lpnorm_cleanupIdLNS0_8NormTypeE3EN3c104HalfELb1EfEEvPKT3_NS0_19TensorListAddressesEi
		.amdhsa_group_segment_fixed_size 2048
		.amdhsa_private_segment_fixed_size 0
		.amdhsa_kernarg_size 3472
		.amdhsa_user_sgpr_count 2
		.amdhsa_user_sgpr_dispatch_ptr 0
		.amdhsa_user_sgpr_queue_ptr 0
		.amdhsa_user_sgpr_kernarg_segment_ptr 1
		.amdhsa_user_sgpr_dispatch_id 0
		.amdhsa_user_sgpr_kernarg_preload_length 0
		.amdhsa_user_sgpr_kernarg_preload_offset 0
		.amdhsa_user_sgpr_private_segment_size 0
		.amdhsa_wavefront_size32 1
		.amdhsa_uses_dynamic_stack 0
		.amdhsa_enable_private_segment 0
		.amdhsa_system_sgpr_workgroup_id_x 1
		.amdhsa_system_sgpr_workgroup_id_y 0
		.amdhsa_system_sgpr_workgroup_id_z 0
		.amdhsa_system_sgpr_workgroup_info 0
		.amdhsa_system_vgpr_workitem_id 0
		.amdhsa_next_free_vgpr 9
		.amdhsa_next_free_sgpr 13
		.amdhsa_named_barrier_count 0
		.amdhsa_reserve_vcc 1
		.amdhsa_float_round_mode_32 0
		.amdhsa_float_round_mode_16_64 0
		.amdhsa_float_denorm_mode_32 3
		.amdhsa_float_denorm_mode_16_64 3
		.amdhsa_fp16_overflow 0
		.amdhsa_memory_ordered 1
		.amdhsa_forward_progress 1
		.amdhsa_inst_pref_size 7
		.amdhsa_round_robin_scheduling 0
		.amdhsa_exception_fp_ieee_invalid_op 0
		.amdhsa_exception_fp_denorm_src 0
		.amdhsa_exception_fp_ieee_div_zero 0
		.amdhsa_exception_fp_ieee_overflow 0
		.amdhsa_exception_fp_ieee_underflow 0
		.amdhsa_exception_fp_ieee_inexact 0
		.amdhsa_exception_int_div_zero 0
	.end_amdhsa_kernel
	.section	.text._ZN2at6native14lpnorm_cleanupIdLNS0_8NormTypeE3EN3c104HalfELb1EfEEvPKT3_NS0_19TensorListAddressesEi,"axG",@progbits,_ZN2at6native14lpnorm_cleanupIdLNS0_8NormTypeE3EN3c104HalfELb1EfEEvPKT3_NS0_19TensorListAddressesEi,comdat
.Lfunc_end43:
	.size	_ZN2at6native14lpnorm_cleanupIdLNS0_8NormTypeE3EN3c104HalfELb1EfEEvPKT3_NS0_19TensorListAddressesEi, .Lfunc_end43-_ZN2at6native14lpnorm_cleanupIdLNS0_8NormTypeE3EN3c104HalfELb1EfEEvPKT3_NS0_19TensorListAddressesEi
                                        ; -- End function
	.set _ZN2at6native14lpnorm_cleanupIdLNS0_8NormTypeE3EN3c104HalfELb1EfEEvPKT3_NS0_19TensorListAddressesEi.num_vgpr, 9
	.set _ZN2at6native14lpnorm_cleanupIdLNS0_8NormTypeE3EN3c104HalfELb1EfEEvPKT3_NS0_19TensorListAddressesEi.num_agpr, 0
	.set _ZN2at6native14lpnorm_cleanupIdLNS0_8NormTypeE3EN3c104HalfELb1EfEEvPKT3_NS0_19TensorListAddressesEi.numbered_sgpr, 13
	.set _ZN2at6native14lpnorm_cleanupIdLNS0_8NormTypeE3EN3c104HalfELb1EfEEvPKT3_NS0_19TensorListAddressesEi.num_named_barrier, 0
	.set _ZN2at6native14lpnorm_cleanupIdLNS0_8NormTypeE3EN3c104HalfELb1EfEEvPKT3_NS0_19TensorListAddressesEi.private_seg_size, 0
	.set _ZN2at6native14lpnorm_cleanupIdLNS0_8NormTypeE3EN3c104HalfELb1EfEEvPKT3_NS0_19TensorListAddressesEi.uses_vcc, 1
	.set _ZN2at6native14lpnorm_cleanupIdLNS0_8NormTypeE3EN3c104HalfELb1EfEEvPKT3_NS0_19TensorListAddressesEi.uses_flat_scratch, 0
	.set _ZN2at6native14lpnorm_cleanupIdLNS0_8NormTypeE3EN3c104HalfELb1EfEEvPKT3_NS0_19TensorListAddressesEi.has_dyn_sized_stack, 0
	.set _ZN2at6native14lpnorm_cleanupIdLNS0_8NormTypeE3EN3c104HalfELb1EfEEvPKT3_NS0_19TensorListAddressesEi.has_recursion, 0
	.set _ZN2at6native14lpnorm_cleanupIdLNS0_8NormTypeE3EN3c104HalfELb1EfEEvPKT3_NS0_19TensorListAddressesEi.has_indirect_call, 0
	.section	.AMDGPU.csdata,"",@progbits
; Kernel info:
; codeLenInByte = 872
; TotalNumSgprs: 15
; NumVgprs: 9
; ScratchSize: 0
; MemoryBound: 0
; FloatMode: 240
; IeeeMode: 1
; LDSByteSize: 2048 bytes/workgroup (compile time only)
; SGPRBlocks: 0
; VGPRBlocks: 0
; NumSGPRsForWavesPerEU: 15
; NumVGPRsForWavesPerEU: 9
; NamedBarCnt: 0
; Occupancy: 16
; WaveLimiterHint : 0
; COMPUTE_PGM_RSRC2:SCRATCH_EN: 0
; COMPUTE_PGM_RSRC2:USER_SGPR: 2
; COMPUTE_PGM_RSRC2:TRAP_HANDLER: 0
; COMPUTE_PGM_RSRC2:TGID_X_EN: 1
; COMPUTE_PGM_RSRC2:TGID_Y_EN: 0
; COMPUTE_PGM_RSRC2:TGID_Z_EN: 0
; COMPUTE_PGM_RSRC2:TIDIG_COMP_CNT: 0
	.section	.text._ZN2at6native12_GLOBAL__N_125multi_tensor_apply_kernelINS1_18TensorListMetadataILi1EEENS0_13LpNormFunctorIdLNS0_8NormTypeE0EN3c108BFloat16ELi1ELi1ELi0EEEJPfiEEEvT_T0_DpT1_,"axG",@progbits,_ZN2at6native12_GLOBAL__N_125multi_tensor_apply_kernelINS1_18TensorListMetadataILi1EEENS0_13LpNormFunctorIdLNS0_8NormTypeE0EN3c108BFloat16ELi1ELi1ELi0EEEJPfiEEEvT_T0_DpT1_,comdat
	.globl	_ZN2at6native12_GLOBAL__N_125multi_tensor_apply_kernelINS1_18TensorListMetadataILi1EEENS0_13LpNormFunctorIdLNS0_8NormTypeE0EN3c108BFloat16ELi1ELi1ELi0EEEJPfiEEEvT_T0_DpT1_ ; -- Begin function _ZN2at6native12_GLOBAL__N_125multi_tensor_apply_kernelINS1_18TensorListMetadataILi1EEENS0_13LpNormFunctorIdLNS0_8NormTypeE0EN3c108BFloat16ELi1ELi1ELi0EEEJPfiEEEvT_T0_DpT1_
	.p2align	8
	.type	_ZN2at6native12_GLOBAL__N_125multi_tensor_apply_kernelINS1_18TensorListMetadataILi1EEENS0_13LpNormFunctorIdLNS0_8NormTypeE0EN3c108BFloat16ELi1ELi1ELi0EEEJPfiEEEvT_T0_DpT1_,@function
_ZN2at6native12_GLOBAL__N_125multi_tensor_apply_kernelINS1_18TensorListMetadataILi1EEENS0_13LpNormFunctorIdLNS0_8NormTypeE0EN3c108BFloat16ELi1ELi1ELi0EEEJPfiEEEvT_T0_DpT1_: ; @_ZN2at6native12_GLOBAL__N_125multi_tensor_apply_kernelINS1_18TensorListMetadataILi1EEENS0_13LpNormFunctorIdLNS0_8NormTypeE0EN3c108BFloat16ELi1ELi1ELi0EEEJPfiEEEvT_T0_DpT1_
; %bb.0:
	s_bfe_u32 s2, ttmp6, 0x4000c
	s_and_b32 s3, ttmp6, 15
	s_add_co_i32 s2, s2, 1
	s_getreg_b32 s4, hwreg(HW_REG_IB_STS2, 6, 4)
	s_mul_i32 s2, ttmp9, s2
	s_delay_alu instid0(SALU_CYCLE_1)
	s_add_co_i32 s3, s3, s2
	s_cmp_eq_u32 s4, 0
	s_cselect_b32 s2, ttmp9, s3
	s_mov_b32 s3, 0
	v_mov_b32_e32 v1, s2
	s_add_nc_u64 s[4:5], s[0:1], s[2:3]
	s_mul_u64 s[6:7], s[2:3], 3
	s_delay_alu instid0(SALU_CYCLE_1) | instskip(SKIP_4) | instid1(SALU_CYCLE_1)
	s_add_nc_u64 s[4:5], s[4:5], s[6:7]
	global_load_u8 v15, v1, s[0:1] offset:1760
	s_load_b32 s4, s[4:5], 0x820
	s_wait_kmcnt 0x0
	s_ashr_i32 s5, s4, 31
	s_lshl_b64 s[10:11], s[4:5], 19
	s_lshl_b64 s[12:13], s[4:5], 16
	s_wait_loadcnt 0x0
	v_readfirstlane_b32 s2, v15
	s_and_b32 s2, s2, 0xff
	s_clause 0x1
	s_load_b64 s[6:7], s[0:1], s2 offset:0x0 scale_offset
	s_load_b64 s[8:9], s[0:1], s2 offset:0x370 scale_offset
	s_wait_kmcnt 0x0
	s_add_nc_u64 s[6:7], s[6:7], s[10:11]
	s_and_b32 s2, s8, 3
	s_and_b64 s[10:11], s[6:7], 31
	s_sub_nc_u64 s[8:9], s[8:9], s[12:13]
	s_or_b64 s[10:11], s[2:3], s[10:11]
	s_delay_alu instid0(SALU_CYCLE_1)
	s_cmp_eq_u64 s[10:11], 0
	s_cbranch_scc1 .LBB44_12
; %bb.1:
	v_cmp_lt_i64_e64 s2, s[8:9], 1
	s_and_b32 vcc_lo, exec_lo, s2
	s_cbranch_vccnz .LBB44_28
; %bb.2:
	s_load_b32 s2, s[0:1], 0xd4c
	v_min_i64 v[10:11], 0x10000, s[8:9]
	s_mov_b32 s11, 0
	s_mov_b64 s[12:13], 0
	s_wait_kmcnt 0x0
	s_and_b32 s2, s2, 0xffff
	s_delay_alu instid0(SALU_CYCLE_1) | instskip(SKIP_3) | instid1(VALU_DEP_3)
	v_dual_mov_b32 v7, 0 :: v_dual_add_nc_u32 v16, s2, v0
	v_mad_u32 v12, s2, 3, v0
	v_lshl_add_u32 v14, s2, 1, v0
	s_lshl_b32 s10, s2, 2
	v_dual_mov_b32 v6, v7 :: v_dual_mov_b32 v8, v7
	v_mov_b32_e32 v9, v7
	s_delay_alu instid0(VALU_DEP_2) | instskip(NEXT) | instid1(VALU_DEP_2)
	v_mov_b64_e32 v[2:3], v[6:7]
	v_mov_b64_e32 v[4:5], v[8:9]
	s_branch .LBB44_4
.LBB44_3:                               ;   in Loop: Header=BB44_4 Depth=1
	s_or_b32 exec_lo, exec_lo, s2
	s_add_nc_u64 s[12:13], s[12:13], s[10:11]
	s_delay_alu instid0(SALU_CYCLE_1)
	v_cmp_lt_i64_e32 vcc_lo, s[12:13], v[10:11]
	s_cbranch_vccz .LBB44_13
.LBB44_4:                               ; =>This Inner Loop Header: Depth=1
	v_add_nc_u32_e32 v6, s12, v0
	s_delay_alu instid0(VALU_DEP_1) | instskip(SKIP_2) | instid1(SALU_CYCLE_1)
	v_cmp_gt_i64_e32 vcc_lo, s[8:9], v[6:7]
	v_cmp_gt_u32_e64 s2, 0x10000, v6
	s_and_b32 s5, s2, vcc_lo
	s_and_saveexec_b32 s2, s5
	s_cbranch_execz .LBB44_6
; %bb.5:                                ;   in Loop: Header=BB44_4 Depth=1
	v_lshl_add_u64 v[8:9], v[6:7], 3, s[6:7]
	global_load_b64 v[8:9], v[8:9], off
	s_wait_loadcnt 0x0
	v_cvt_f32_f64_e32 v1, v[8:9]
	s_delay_alu instid0(VALU_DEP_1) | instskip(SKIP_1) | instid1(VALU_DEP_1)
	v_cmp_neq_f32_e32 vcc_lo, 0, v1
	v_cndmask_b32_e64 v1, 0, 1.0, vcc_lo
	v_add_f32_e32 v2, v2, v1
.LBB44_6:                               ;   in Loop: Header=BB44_4 Depth=1
	s_or_b32 exec_lo, exec_lo, s2
	v_add_nc_u32_e32 v6, s12, v16
	s_delay_alu instid0(VALU_DEP_1) | instskip(SKIP_2) | instid1(SALU_CYCLE_1)
	v_cmp_gt_i64_e32 vcc_lo, s[8:9], v[6:7]
	v_cmp_gt_u32_e64 s2, 0x10000, v6
	s_and_b32 s5, s2, vcc_lo
	s_and_saveexec_b32 s2, s5
	s_cbranch_execz .LBB44_8
; %bb.7:                                ;   in Loop: Header=BB44_4 Depth=1
	v_lshl_add_u64 v[8:9], v[6:7], 3, s[6:7]
	global_load_b64 v[8:9], v[8:9], off
	s_wait_loadcnt 0x0
	v_cvt_f32_f64_e32 v1, v[8:9]
	s_delay_alu instid0(VALU_DEP_1) | instskip(SKIP_1) | instid1(VALU_DEP_1)
	v_cmp_neq_f32_e32 vcc_lo, 0, v1
	v_cndmask_b32_e64 v1, 0, 1.0, vcc_lo
	v_add_f32_e32 v3, v3, v1
.LBB44_8:                               ;   in Loop: Header=BB44_4 Depth=1
	s_or_b32 exec_lo, exec_lo, s2
	v_add_nc_u32_e32 v6, s12, v14
	s_delay_alu instid0(VALU_DEP_1) | instskip(SKIP_2) | instid1(SALU_CYCLE_1)
	v_cmp_gt_i64_e32 vcc_lo, s[8:9], v[6:7]
	v_cmp_gt_u32_e64 s2, 0x10000, v6
	s_and_b32 s5, s2, vcc_lo
	s_and_saveexec_b32 s2, s5
	s_cbranch_execz .LBB44_10
; %bb.9:                                ;   in Loop: Header=BB44_4 Depth=1
	v_lshl_add_u64 v[8:9], v[6:7], 3, s[6:7]
	global_load_b64 v[8:9], v[8:9], off
	s_wait_loadcnt 0x0
	v_cvt_f32_f64_e32 v1, v[8:9]
	s_delay_alu instid0(VALU_DEP_1) | instskip(SKIP_1) | instid1(VALU_DEP_1)
	v_cmp_neq_f32_e32 vcc_lo, 0, v1
	v_cndmask_b32_e64 v1, 0, 1.0, vcc_lo
	v_add_f32_e32 v4, v4, v1
.LBB44_10:                              ;   in Loop: Header=BB44_4 Depth=1
	s_or_b32 exec_lo, exec_lo, s2
	v_add_nc_u32_e32 v6, s12, v12
	s_delay_alu instid0(VALU_DEP_1) | instskip(SKIP_2) | instid1(SALU_CYCLE_1)
	v_cmp_gt_i64_e32 vcc_lo, s[8:9], v[6:7]
	v_cmp_gt_u32_e64 s2, 0x10000, v6
	s_and_b32 s5, s2, vcc_lo
	s_and_saveexec_b32 s2, s5
	s_cbranch_execz .LBB44_3
; %bb.11:                               ;   in Loop: Header=BB44_4 Depth=1
	v_lshl_add_u64 v[8:9], v[6:7], 3, s[6:7]
	global_load_b64 v[8:9], v[8:9], off
	s_wait_loadcnt 0x0
	v_cvt_f32_f64_e32 v1, v[8:9]
	s_delay_alu instid0(VALU_DEP_1) | instskip(SKIP_1) | instid1(VALU_DEP_1)
	v_cmp_neq_f32_e32 vcc_lo, 0, v1
	v_cndmask_b32_e64 v1, 0, 1.0, vcc_lo
	v_add_f32_e32 v5, v5, v1
	s_branch .LBB44_3
.LBB44_12:
	s_mov_b32 s3, -1
                                        ; implicit-def: $vgpr2_vgpr3_vgpr4_vgpr5
.LBB44_13:
	s_delay_alu instid0(SALU_CYCLE_1)
	s_and_not1_b32 vcc_lo, exec_lo, s3
	s_cbranch_vccnz .LBB44_19
.LBB44_14:
	v_min_i64 v[8:9], 0x10000, s[8:9]
	v_dual_mov_b32 v3, 0 :: v_dual_lshlrev_b32 v2, 2, v0
	s_mov_b32 s9, 0
	s_delay_alu instid0(VALU_DEP_1) | instskip(NEXT) | instid1(VALU_DEP_2)
	v_dual_mov_b32 v5, v3 :: v_dual_mov_b32 v4, v3
	v_cmp_lt_i64_e32 vcc_lo, v[2:3], v[8:9]
	v_mov_b32_e32 v2, v3
	s_and_saveexec_b32 s3, vcc_lo
	s_cbranch_execz .LBB44_18
; %bb.15:
	s_load_b32 s2, s[0:1], 0xd4c
	v_dual_mov_b32 v1, v3 :: v_dual_lshlrev_b32 v2, 5, v0
	v_dual_mov_b32 v5, 0 :: v_dual_mov_b32 v6, 0
	v_mov_b32_e32 v7, 0
	s_delay_alu instid0(VALU_DEP_3) | instskip(NEXT) | instid1(VALU_DEP_4)
	v_add_nc_u64_e32 v[10:11], s[6:7], v[2:3]
	v_mov_b64_e32 v[12:13], v[0:1]
	s_mov_b32 s7, s9
	s_mov_b32 s5, s9
	s_delay_alu instid0(VALU_DEP_2) | instskip(SKIP_2) | instid1(SALU_CYCLE_1)
	v_add_nc_u64_e32 v[10:11], 16, v[10:11]
	s_wait_kmcnt 0x0
	s_and_b32 s8, s2, 0xffff
	s_lshl_b32 s6, s8, 5
.LBB44_16:                              ; =>This Inner Loop Header: Depth=1
	s_clause 0x1
	global_load_b128 v[16:19], v[10:11], off offset:-16
	global_load_b128 v[20:23], v[10:11], off
	v_add_nc_u64_e32 v[12:13], s[8:9], v[12:13]
	s_wait_xcnt 0x0
	v_add_nc_u64_e32 v[10:11], s[6:7], v[10:11]
	s_wait_loadcnt 0x1
	v_cvt_f32_f64_e32 v1, v[16:17]
	v_cvt_f32_f64_e32 v2, v[18:19]
	s_wait_loadcnt 0x0
	v_cvt_f32_f64_e32 v4, v[20:21]
	v_cvt_f32_f64_e32 v14, v[22:23]
	v_lshlrev_b64_e32 v[16:17], 2, v[12:13]
	s_delay_alu instid0(VALU_DEP_1) | instskip(SKIP_2) | instid1(VALU_DEP_1)
	v_cmp_ge_i64_e32 vcc_lo, v[16:17], v[8:9]
	s_or_b32 s5, vcc_lo, s5
	v_cmp_neq_f32_e64 s2, 0, v1
	v_cndmask_b32_e64 v1, 0, 1.0, s2
	v_cmp_neq_f32_e64 s2, 0, v2
	s_delay_alu instid0(VALU_DEP_1) | instskip(SKIP_1) | instid1(VALU_DEP_2)
	v_cndmask_b32_e64 v2, 0, 1.0, s2
	v_cmp_neq_f32_e64 s2, 0, v4
	v_dual_add_f32 v3, v3, v1 :: v_dual_add_f32 v5, v5, v2
	s_delay_alu instid0(VALU_DEP_2) | instskip(SKIP_1) | instid1(VALU_DEP_1)
	v_cndmask_b32_e64 v4, 0, 1.0, s2
	v_cmp_neq_f32_e64 s2, 0, v14
	v_cndmask_b32_e64 v14, 0, 1.0, s2
	s_delay_alu instid0(VALU_DEP_1)
	v_dual_add_f32 v6, v6, v4 :: v_dual_add_f32 v7, v7, v14
	s_and_not1_b32 exec_lo, exec_lo, s5
	s_cbranch_execnz .LBB44_16
; %bb.17:
	s_or_b32 exec_lo, exec_lo, s5
	v_mov_b32_e32 v4, v3
	s_delay_alu instid0(VALU_DEP_1)
	v_mov_b64_e32 v[2:3], v[4:5]
	v_mov_b64_e32 v[4:5], v[6:7]
.LBB44_18:
	s_or_b32 exec_lo, exec_lo, s3
.LBB44_19:
	s_delay_alu instid0(VALU_DEP_1) | instskip(SKIP_3) | instid1(VALU_DEP_2)
	v_add_f32_e32 v1, 0, v2
	v_mbcnt_lo_u32_b32 v6, -1, 0
	s_mov_b32 s2, exec_lo
	s_barrier_signal -1
	v_add_f32_e32 v1, v3, v1
	s_delay_alu instid0(VALU_DEP_2) | instskip(SKIP_1) | instid1(VALU_DEP_2)
	v_cmp_gt_u32_e32 vcc_lo, 24, v6
	s_barrier_wait -1
	v_add_f32_e32 v2, v4, v1
	v_lshl_or_b32 v1, v6, 2, 64
	s_delay_alu instid0(VALU_DEP_2)
	v_add_f32_e32 v3, v5, v2
	v_cndmask_b32_e64 v2, 0, 8, vcc_lo
	v_cmp_gt_u32_e32 vcc_lo, 28, v6
	ds_bpermute_b32 v4, v1, v3
	v_add_lshl_u32 v2, v2, v6, 2
	s_wait_dscnt 0x0
	v_add_f32_e32 v4, v3, v4
	v_cndmask_b32_e64 v3, 0, 4, vcc_lo
	v_cmp_gt_u32_e32 vcc_lo, 30, v6
	ds_bpermute_b32 v5, v2, v4
	v_add_lshl_u32 v3, v3, v6, 2
	s_wait_dscnt 0x0
	v_add_f32_e32 v5, v4, v5
	v_cndmask_b32_e64 v4, 0, 2, vcc_lo
	v_cmp_ne_u32_e32 vcc_lo, 31, v6
	ds_bpermute_b32 v7, v3, v5
	v_add_lshl_u32 v4, v4, v6, 2
	v_add_co_ci_u32_e64 v8, null, 0, v6, vcc_lo
	s_wait_dscnt 0x0
	v_add_f32_e32 v5, v5, v7
	ds_bpermute_b32 v7, v4, v5
	s_wait_dscnt 0x0
	v_dual_add_f32 v6, v5, v7 :: v_dual_lshlrev_b32 v5, 2, v8
	v_and_b32_e32 v7, 31, v0
	ds_bpermute_b32 v8, v5, v6
	v_cmpx_eq_u32_e32 0, v7
	s_cbranch_execz .LBB44_21
; %bb.20:
	v_lshrrev_b32_e32 v9, 3, v0
	s_wait_dscnt 0x0
	v_add_f32_e32 v6, v6, v8
	ds_store_b32 v9, v6
.LBB44_21:
	s_or_b32 exec_lo, exec_lo, s2
	s_wait_dscnt 0x0
	s_barrier_signal -1
	s_barrier_wait -1
	s_load_b32 s2, s[0:1], 0xd4c
	v_mov_b32_e32 v6, 0
	s_wait_kmcnt 0x0
	s_bfe_u32 s2, s2, 0xb0005
	s_delay_alu instid0(SALU_CYCLE_1)
	v_cmp_gt_u32_e32 vcc_lo, s2, v0
	s_and_saveexec_b32 s2, vcc_lo
; %bb.22:
	v_lshlrev_b32_e32 v6, 2, v7
	ds_load_b32 v6, v6
; %bb.23:
	s_or_b32 exec_lo, exec_lo, s2
	s_delay_alu instid0(SALU_CYCLE_1)
	s_mov_b32 s2, exec_lo
	v_cmpx_gt_u32_e32 32, v0
	s_cbranch_execz .LBB44_25
; %bb.24:
	s_wait_dscnt 0x0
	ds_bpermute_b32 v1, v1, v6
	s_wait_dscnt 0x0
	v_add_f32_e32 v1, v6, v1
	ds_bpermute_b32 v2, v2, v1
	s_wait_dscnt 0x0
	v_add_f32_e32 v1, v1, v2
	;; [unrolled: 3-line block ×5, first 2 shown]
.LBB44_25:
	s_or_b32 exec_lo, exec_lo, s2
	s_delay_alu instid0(SALU_CYCLE_1)
	s_mov_b32 s2, exec_lo
	v_cmpx_eq_u32_e32 0, v0
	s_cbranch_execz .LBB44_27
; %bb.26:
	s_clause 0x1
	s_load_b32 s2, s[0:1], 0xd20
	s_load_b96 s[8:10], s[0:1], 0xd30
	v_and_b32_e32 v0, 0xff, v15
	s_wait_kmcnt 0x0
	s_delay_alu instid0(VALU_DEP_1) | instskip(NEXT) | instid1(VALU_DEP_1)
	v_add_nc_u32_e32 v0, s2, v0
	v_mul_lo_u32 v0, v0, s10
	s_delay_alu instid0(VALU_DEP_1)
	v_add_nc_u32_e32 v0, s4, v0
	s_wait_dscnt 0x0
	global_store_b32 v0, v6, s[8:9] scale_offset
.LBB44_27:
	s_endpgm
.LBB44_28:
	v_mov_b32_e32 v2, 0
	s_delay_alu instid0(VALU_DEP_1)
	v_dual_mov_b32 v3, v2 :: v_dual_mov_b32 v4, v2
	v_mov_b32_e32 v5, v2
	s_and_not1_b32 vcc_lo, exec_lo, s3
	s_cbranch_vccz .LBB44_14
	s_branch .LBB44_19
	.section	.rodata,"a",@progbits
	.p2align	6, 0x0
	.amdhsa_kernel _ZN2at6native12_GLOBAL__N_125multi_tensor_apply_kernelINS1_18TensorListMetadataILi1EEENS0_13LpNormFunctorIdLNS0_8NormTypeE0EN3c108BFloat16ELi1ELi1ELi0EEEJPfiEEEvT_T0_DpT1_
		.amdhsa_group_segment_fixed_size 2048
		.amdhsa_private_segment_fixed_size 0
		.amdhsa_kernarg_size 3648
		.amdhsa_user_sgpr_count 2
		.amdhsa_user_sgpr_dispatch_ptr 0
		.amdhsa_user_sgpr_queue_ptr 0
		.amdhsa_user_sgpr_kernarg_segment_ptr 1
		.amdhsa_user_sgpr_dispatch_id 0
		.amdhsa_user_sgpr_kernarg_preload_length 0
		.amdhsa_user_sgpr_kernarg_preload_offset 0
		.amdhsa_user_sgpr_private_segment_size 0
		.amdhsa_wavefront_size32 1
		.amdhsa_uses_dynamic_stack 0
		.amdhsa_enable_private_segment 0
		.amdhsa_system_sgpr_workgroup_id_x 1
		.amdhsa_system_sgpr_workgroup_id_y 0
		.amdhsa_system_sgpr_workgroup_id_z 0
		.amdhsa_system_sgpr_workgroup_info 0
		.amdhsa_system_vgpr_workitem_id 0
		.amdhsa_next_free_vgpr 24
		.amdhsa_next_free_sgpr 14
		.amdhsa_named_barrier_count 0
		.amdhsa_reserve_vcc 1
		.amdhsa_float_round_mode_32 0
		.amdhsa_float_round_mode_16_64 0
		.amdhsa_float_denorm_mode_32 3
		.amdhsa_float_denorm_mode_16_64 3
		.amdhsa_fp16_overflow 0
		.amdhsa_memory_ordered 1
		.amdhsa_forward_progress 1
		.amdhsa_inst_pref_size 13
		.amdhsa_round_robin_scheduling 0
		.amdhsa_exception_fp_ieee_invalid_op 0
		.amdhsa_exception_fp_denorm_src 0
		.amdhsa_exception_fp_ieee_div_zero 0
		.amdhsa_exception_fp_ieee_overflow 0
		.amdhsa_exception_fp_ieee_underflow 0
		.amdhsa_exception_fp_ieee_inexact 0
		.amdhsa_exception_int_div_zero 0
	.end_amdhsa_kernel
	.section	.text._ZN2at6native12_GLOBAL__N_125multi_tensor_apply_kernelINS1_18TensorListMetadataILi1EEENS0_13LpNormFunctorIdLNS0_8NormTypeE0EN3c108BFloat16ELi1ELi1ELi0EEEJPfiEEEvT_T0_DpT1_,"axG",@progbits,_ZN2at6native12_GLOBAL__N_125multi_tensor_apply_kernelINS1_18TensorListMetadataILi1EEENS0_13LpNormFunctorIdLNS0_8NormTypeE0EN3c108BFloat16ELi1ELi1ELi0EEEJPfiEEEvT_T0_DpT1_,comdat
.Lfunc_end44:
	.size	_ZN2at6native12_GLOBAL__N_125multi_tensor_apply_kernelINS1_18TensorListMetadataILi1EEENS0_13LpNormFunctorIdLNS0_8NormTypeE0EN3c108BFloat16ELi1ELi1ELi0EEEJPfiEEEvT_T0_DpT1_, .Lfunc_end44-_ZN2at6native12_GLOBAL__N_125multi_tensor_apply_kernelINS1_18TensorListMetadataILi1EEENS0_13LpNormFunctorIdLNS0_8NormTypeE0EN3c108BFloat16ELi1ELi1ELi0EEEJPfiEEEvT_T0_DpT1_
                                        ; -- End function
	.set _ZN2at6native12_GLOBAL__N_125multi_tensor_apply_kernelINS1_18TensorListMetadataILi1EEENS0_13LpNormFunctorIdLNS0_8NormTypeE0EN3c108BFloat16ELi1ELi1ELi0EEEJPfiEEEvT_T0_DpT1_.num_vgpr, 24
	.set _ZN2at6native12_GLOBAL__N_125multi_tensor_apply_kernelINS1_18TensorListMetadataILi1EEENS0_13LpNormFunctorIdLNS0_8NormTypeE0EN3c108BFloat16ELi1ELi1ELi0EEEJPfiEEEvT_T0_DpT1_.num_agpr, 0
	.set _ZN2at6native12_GLOBAL__N_125multi_tensor_apply_kernelINS1_18TensorListMetadataILi1EEENS0_13LpNormFunctorIdLNS0_8NormTypeE0EN3c108BFloat16ELi1ELi1ELi0EEEJPfiEEEvT_T0_DpT1_.numbered_sgpr, 14
	.set _ZN2at6native12_GLOBAL__N_125multi_tensor_apply_kernelINS1_18TensorListMetadataILi1EEENS0_13LpNormFunctorIdLNS0_8NormTypeE0EN3c108BFloat16ELi1ELi1ELi0EEEJPfiEEEvT_T0_DpT1_.num_named_barrier, 0
	.set _ZN2at6native12_GLOBAL__N_125multi_tensor_apply_kernelINS1_18TensorListMetadataILi1EEENS0_13LpNormFunctorIdLNS0_8NormTypeE0EN3c108BFloat16ELi1ELi1ELi0EEEJPfiEEEvT_T0_DpT1_.private_seg_size, 0
	.set _ZN2at6native12_GLOBAL__N_125multi_tensor_apply_kernelINS1_18TensorListMetadataILi1EEENS0_13LpNormFunctorIdLNS0_8NormTypeE0EN3c108BFloat16ELi1ELi1ELi0EEEJPfiEEEvT_T0_DpT1_.uses_vcc, 1
	.set _ZN2at6native12_GLOBAL__N_125multi_tensor_apply_kernelINS1_18TensorListMetadataILi1EEENS0_13LpNormFunctorIdLNS0_8NormTypeE0EN3c108BFloat16ELi1ELi1ELi0EEEJPfiEEEvT_T0_DpT1_.uses_flat_scratch, 0
	.set _ZN2at6native12_GLOBAL__N_125multi_tensor_apply_kernelINS1_18TensorListMetadataILi1EEENS0_13LpNormFunctorIdLNS0_8NormTypeE0EN3c108BFloat16ELi1ELi1ELi0EEEJPfiEEEvT_T0_DpT1_.has_dyn_sized_stack, 0
	.set _ZN2at6native12_GLOBAL__N_125multi_tensor_apply_kernelINS1_18TensorListMetadataILi1EEENS0_13LpNormFunctorIdLNS0_8NormTypeE0EN3c108BFloat16ELi1ELi1ELi0EEEJPfiEEEvT_T0_DpT1_.has_recursion, 0
	.set _ZN2at6native12_GLOBAL__N_125multi_tensor_apply_kernelINS1_18TensorListMetadataILi1EEENS0_13LpNormFunctorIdLNS0_8NormTypeE0EN3c108BFloat16ELi1ELi1ELi0EEEJPfiEEEvT_T0_DpT1_.has_indirect_call, 0
	.section	.AMDGPU.csdata,"",@progbits
; Kernel info:
; codeLenInByte = 1544
; TotalNumSgprs: 16
; NumVgprs: 24
; ScratchSize: 0
; MemoryBound: 0
; FloatMode: 240
; IeeeMode: 1
; LDSByteSize: 2048 bytes/workgroup (compile time only)
; SGPRBlocks: 0
; VGPRBlocks: 1
; NumSGPRsForWavesPerEU: 16
; NumVGPRsForWavesPerEU: 24
; NamedBarCnt: 0
; Occupancy: 16
; WaveLimiterHint : 0
; COMPUTE_PGM_RSRC2:SCRATCH_EN: 0
; COMPUTE_PGM_RSRC2:USER_SGPR: 2
; COMPUTE_PGM_RSRC2:TRAP_HANDLER: 0
; COMPUTE_PGM_RSRC2:TGID_X_EN: 1
; COMPUTE_PGM_RSRC2:TGID_Y_EN: 0
; COMPUTE_PGM_RSRC2:TGID_Z_EN: 0
; COMPUTE_PGM_RSRC2:TIDIG_COMP_CNT: 0
	.section	.text._ZN2at6native12_GLOBAL__N_125multi_tensor_apply_kernelINS1_18TensorListMetadataILi1EEENS0_13LpNormFunctorIdLNS0_8NormTypeE1EN3c108BFloat16ELi1ELi1ELi0EEEJPfiEEEvT_T0_DpT1_,"axG",@progbits,_ZN2at6native12_GLOBAL__N_125multi_tensor_apply_kernelINS1_18TensorListMetadataILi1EEENS0_13LpNormFunctorIdLNS0_8NormTypeE1EN3c108BFloat16ELi1ELi1ELi0EEEJPfiEEEvT_T0_DpT1_,comdat
	.globl	_ZN2at6native12_GLOBAL__N_125multi_tensor_apply_kernelINS1_18TensorListMetadataILi1EEENS0_13LpNormFunctorIdLNS0_8NormTypeE1EN3c108BFloat16ELi1ELi1ELi0EEEJPfiEEEvT_T0_DpT1_ ; -- Begin function _ZN2at6native12_GLOBAL__N_125multi_tensor_apply_kernelINS1_18TensorListMetadataILi1EEENS0_13LpNormFunctorIdLNS0_8NormTypeE1EN3c108BFloat16ELi1ELi1ELi0EEEJPfiEEEvT_T0_DpT1_
	.p2align	8
	.type	_ZN2at6native12_GLOBAL__N_125multi_tensor_apply_kernelINS1_18TensorListMetadataILi1EEENS0_13LpNormFunctorIdLNS0_8NormTypeE1EN3c108BFloat16ELi1ELi1ELi0EEEJPfiEEEvT_T0_DpT1_,@function
_ZN2at6native12_GLOBAL__N_125multi_tensor_apply_kernelINS1_18TensorListMetadataILi1EEENS0_13LpNormFunctorIdLNS0_8NormTypeE1EN3c108BFloat16ELi1ELi1ELi0EEEJPfiEEEvT_T0_DpT1_: ; @_ZN2at6native12_GLOBAL__N_125multi_tensor_apply_kernelINS1_18TensorListMetadataILi1EEENS0_13LpNormFunctorIdLNS0_8NormTypeE1EN3c108BFloat16ELi1ELi1ELi0EEEJPfiEEEvT_T0_DpT1_
; %bb.0:
	s_bfe_u32 s2, ttmp6, 0x4000c
	s_and_b32 s3, ttmp6, 15
	s_add_co_i32 s2, s2, 1
	s_getreg_b32 s4, hwreg(HW_REG_IB_STS2, 6, 4)
	s_mul_i32 s2, ttmp9, s2
	s_delay_alu instid0(SALU_CYCLE_1)
	s_add_co_i32 s3, s3, s2
	s_cmp_eq_u32 s4, 0
	s_cselect_b32 s2, ttmp9, s3
	s_mov_b32 s3, 0
	v_mov_b32_e32 v1, s2
	s_add_nc_u64 s[4:5], s[0:1], s[2:3]
	s_mul_u64 s[6:7], s[2:3], 3
	s_delay_alu instid0(SALU_CYCLE_1) | instskip(SKIP_4) | instid1(SALU_CYCLE_1)
	s_add_nc_u64 s[4:5], s[4:5], s[6:7]
	global_load_u8 v13, v1, s[0:1] offset:1760
	s_load_b32 s4, s[4:5], 0x820
	s_wait_kmcnt 0x0
	s_ashr_i32 s5, s4, 31
	s_lshl_b64 s[10:11], s[4:5], 19
	s_lshl_b64 s[12:13], s[4:5], 16
	s_wait_loadcnt 0x0
	v_readfirstlane_b32 s2, v13
	s_and_b32 s2, s2, 0xff
	s_clause 0x1
	s_load_b64 s[6:7], s[0:1], s2 offset:0x0 scale_offset
	s_load_b64 s[8:9], s[0:1], s2 offset:0x370 scale_offset
	s_wait_kmcnt 0x0
	s_add_nc_u64 s[6:7], s[6:7], s[10:11]
	s_and_b32 s2, s8, 3
	s_and_b64 s[10:11], s[6:7], 31
	s_sub_nc_u64 s[8:9], s[8:9], s[12:13]
	s_or_b64 s[10:11], s[2:3], s[10:11]
	s_delay_alu instid0(SALU_CYCLE_1)
	s_cmp_eq_u64 s[10:11], 0
	s_cbranch_scc1 .LBB45_12
; %bb.1:
	v_cmp_lt_i64_e64 s2, s[8:9], 1
	s_and_b32 vcc_lo, exec_lo, s2
	s_cbranch_vccnz .LBB45_28
; %bb.2:
	s_load_b32 s2, s[0:1], 0xd4c
	v_min_i64 v[10:11], 0x10000, s[8:9]
	s_mov_b32 s11, 0
	s_mov_b64 s[12:13], 0
	s_wait_kmcnt 0x0
	s_and_b32 s2, s2, 0xffff
	s_delay_alu instid0(SALU_CYCLE_1) | instskip(SKIP_3) | instid1(VALU_DEP_3)
	v_dual_mov_b32 v7, 0 :: v_dual_add_nc_u32 v16, s2, v0
	v_mad_u32 v12, s2, 3, v0
	v_lshl_add_u32 v14, s2, 1, v0
	s_lshl_b32 s10, s2, 2
	v_dual_mov_b32 v6, v7 :: v_dual_mov_b32 v8, v7
	v_mov_b32_e32 v9, v7
	s_delay_alu instid0(VALU_DEP_2) | instskip(NEXT) | instid1(VALU_DEP_2)
	v_mov_b64_e32 v[2:3], v[6:7]
	v_mov_b64_e32 v[4:5], v[8:9]
	s_branch .LBB45_4
.LBB45_3:                               ;   in Loop: Header=BB45_4 Depth=1
	s_or_b32 exec_lo, exec_lo, s2
	s_add_nc_u64 s[12:13], s[12:13], s[10:11]
	s_delay_alu instid0(SALU_CYCLE_1)
	v_cmp_lt_i64_e32 vcc_lo, s[12:13], v[10:11]
	s_cbranch_vccz .LBB45_13
.LBB45_4:                               ; =>This Inner Loop Header: Depth=1
	v_add_nc_u32_e32 v6, s12, v0
	s_delay_alu instid0(VALU_DEP_1) | instskip(SKIP_2) | instid1(SALU_CYCLE_1)
	v_cmp_gt_i64_e32 vcc_lo, s[8:9], v[6:7]
	v_cmp_gt_u32_e64 s2, 0x10000, v6
	s_and_b32 s5, s2, vcc_lo
	s_and_saveexec_b32 s2, s5
	s_cbranch_execz .LBB45_6
; %bb.5:                                ;   in Loop: Header=BB45_4 Depth=1
	v_lshl_add_u64 v[8:9], v[6:7], 3, s[6:7]
	global_load_b64 v[8:9], v[8:9], off
	s_wait_loadcnt 0x0
	v_cvt_f32_f64_e32 v1, v[8:9]
	s_delay_alu instid0(VALU_DEP_1)
	v_add_f32_e64 v2, v2, |v1|
.LBB45_6:                               ;   in Loop: Header=BB45_4 Depth=1
	s_or_b32 exec_lo, exec_lo, s2
	v_add_nc_u32_e32 v6, s12, v16
	s_delay_alu instid0(VALU_DEP_1) | instskip(SKIP_2) | instid1(SALU_CYCLE_1)
	v_cmp_gt_i64_e32 vcc_lo, s[8:9], v[6:7]
	v_cmp_gt_u32_e64 s2, 0x10000, v6
	s_and_b32 s5, s2, vcc_lo
	s_and_saveexec_b32 s2, s5
	s_cbranch_execz .LBB45_8
; %bb.7:                                ;   in Loop: Header=BB45_4 Depth=1
	v_lshl_add_u64 v[8:9], v[6:7], 3, s[6:7]
	global_load_b64 v[8:9], v[8:9], off
	s_wait_loadcnt 0x0
	v_cvt_f32_f64_e32 v1, v[8:9]
	s_delay_alu instid0(VALU_DEP_1)
	v_add_f32_e64 v3, v3, |v1|
.LBB45_8:                               ;   in Loop: Header=BB45_4 Depth=1
	s_or_b32 exec_lo, exec_lo, s2
	v_add_nc_u32_e32 v6, s12, v14
	s_delay_alu instid0(VALU_DEP_1) | instskip(SKIP_2) | instid1(SALU_CYCLE_1)
	v_cmp_gt_i64_e32 vcc_lo, s[8:9], v[6:7]
	v_cmp_gt_u32_e64 s2, 0x10000, v6
	s_and_b32 s5, s2, vcc_lo
	s_and_saveexec_b32 s2, s5
	s_cbranch_execz .LBB45_10
; %bb.9:                                ;   in Loop: Header=BB45_4 Depth=1
	v_lshl_add_u64 v[8:9], v[6:7], 3, s[6:7]
	global_load_b64 v[8:9], v[8:9], off
	s_wait_loadcnt 0x0
	v_cvt_f32_f64_e32 v1, v[8:9]
	s_delay_alu instid0(VALU_DEP_1)
	v_add_f32_e64 v4, v4, |v1|
.LBB45_10:                              ;   in Loop: Header=BB45_4 Depth=1
	s_or_b32 exec_lo, exec_lo, s2
	v_add_nc_u32_e32 v6, s12, v12
	s_delay_alu instid0(VALU_DEP_1) | instskip(SKIP_2) | instid1(SALU_CYCLE_1)
	v_cmp_gt_i64_e32 vcc_lo, s[8:9], v[6:7]
	v_cmp_gt_u32_e64 s2, 0x10000, v6
	s_and_b32 s5, s2, vcc_lo
	s_and_saveexec_b32 s2, s5
	s_cbranch_execz .LBB45_3
; %bb.11:                               ;   in Loop: Header=BB45_4 Depth=1
	v_lshl_add_u64 v[8:9], v[6:7], 3, s[6:7]
	global_load_b64 v[8:9], v[8:9], off
	s_wait_loadcnt 0x0
	v_cvt_f32_f64_e32 v1, v[8:9]
	s_delay_alu instid0(VALU_DEP_1)
	v_add_f32_e64 v5, v5, |v1|
	s_branch .LBB45_3
.LBB45_12:
	s_mov_b32 s3, -1
                                        ; implicit-def: $vgpr2_vgpr3_vgpr4_vgpr5
.LBB45_13:
	s_delay_alu instid0(SALU_CYCLE_1)
	s_and_not1_b32 vcc_lo, exec_lo, s3
	s_cbranch_vccnz .LBB45_19
.LBB45_14:
	v_min_i64 v[6:7], 0x10000, s[8:9]
	v_dual_mov_b32 v2, 0 :: v_dual_lshlrev_b32 v4, 2, v0
	s_mov_b32 s3, 0
	s_delay_alu instid0(VALU_DEP_1) | instskip(NEXT) | instid1(VALU_DEP_1)
	v_dual_mov_b32 v5, v2 :: v_dual_mov_b32 v3, v2
	v_cmp_lt_i64_e32 vcc_lo, v[4:5], v[6:7]
	v_mov_b32_e32 v4, v2
	s_and_saveexec_b32 s5, vcc_lo
	s_cbranch_execz .LBB45_18
; %bb.15:
	s_load_b32 s2, s[0:1], 0xd4c
	v_dual_mov_b32 v5, v2 :: v_dual_lshlrev_b32 v4, 5, v0
	v_dual_mov_b32 v1, v2 :: v_dual_mov_b32 v3, v2
	s_mov_b32 s8, s3
	s_delay_alu instid0(VALU_DEP_2) | instskip(NEXT) | instid1(VALU_DEP_2)
	v_add_nc_u64_e32 v[8:9], s[6:7], v[4:5]
	v_mov_b64_e32 v[10:11], v[0:1]
	v_mov_b32_e32 v4, v2
	s_mov_b32 s7, s3
	s_delay_alu instid0(VALU_DEP_3) | instskip(SKIP_2) | instid1(SALU_CYCLE_1)
	v_add_nc_u64_e32 v[8:9], 16, v[8:9]
	s_wait_kmcnt 0x0
	s_and_b32 s2, s2, 0xffff
	s_lshl_b32 s6, s2, 5
.LBB45_16:                              ; =>This Inner Loop Header: Depth=1
	s_clause 0x1
	global_load_b128 v[14:17], v[8:9], off offset:-16
	global_load_b128 v[18:21], v[8:9], off
	v_add_nc_u64_e32 v[10:11], s[2:3], v[10:11]
	s_wait_xcnt 0x0
	v_add_nc_u64_e32 v[8:9], s[6:7], v[8:9]
	s_wait_loadcnt 0x1
	v_cvt_f32_f64_e32 v1, v[16:17]
	s_wait_loadcnt 0x0
	v_cvt_f32_f64_e32 v12, v[20:21]
	v_cvt_f32_f64_e32 v16, v[18:19]
	;; [unrolled: 1-line block ×3, first 2 shown]
	v_lshlrev_b64_e32 v[14:15], 2, v[10:11]
	s_delay_alu instid0(VALU_DEP_1)
	v_cmp_ge_i64_e32 vcc_lo, v[14:15], v[6:7]
	s_or_b32 s8, vcc_lo, s8
	v_and_b32_e32 v15, 0x7fffffff, v1
	v_and_b32_e32 v17, 0x7fffffff, v12
	;; [unrolled: 1-line block ×4, first 2 shown]
	s_delay_alu instid0(VALU_DEP_2) | instskip(NEXT) | instid1(VALU_DEP_2)
	v_pk_add_f32 v[4:5], v[4:5], v[16:17]
	v_pk_add_f32 v[2:3], v[2:3], v[14:15]
	s_and_not1_b32 exec_lo, exec_lo, s8
	s_cbranch_execnz .LBB45_16
; %bb.17:
	s_or_b32 exec_lo, exec_lo, s8
.LBB45_18:
	s_delay_alu instid0(SALU_CYCLE_1)
	s_or_b32 exec_lo, exec_lo, s5
.LBB45_19:
	v_add_f32_e32 v1, 0, v2
	v_mbcnt_lo_u32_b32 v6, -1, 0
	s_mov_b32 s2, exec_lo
	s_barrier_signal -1
	s_delay_alu instid0(VALU_DEP_2) | instskip(NEXT) | instid1(VALU_DEP_2)
	v_add_f32_e32 v1, v3, v1
	v_cmp_gt_u32_e32 vcc_lo, 24, v6
	s_barrier_wait -1
	s_delay_alu instid0(VALU_DEP_2) | instskip(SKIP_1) | instid1(VALU_DEP_2)
	v_add_f32_e32 v2, v4, v1
	v_lshl_or_b32 v1, v6, 2, 64
	v_add_f32_e32 v3, v5, v2
	v_cndmask_b32_e64 v2, 0, 8, vcc_lo
	v_cmp_gt_u32_e32 vcc_lo, 28, v6
	ds_bpermute_b32 v4, v1, v3
	v_add_lshl_u32 v2, v2, v6, 2
	s_wait_dscnt 0x0
	v_add_f32_e32 v4, v3, v4
	v_cndmask_b32_e64 v3, 0, 4, vcc_lo
	v_cmp_gt_u32_e32 vcc_lo, 30, v6
	ds_bpermute_b32 v5, v2, v4
	v_add_lshl_u32 v3, v3, v6, 2
	s_wait_dscnt 0x0
	v_add_f32_e32 v5, v4, v5
	v_cndmask_b32_e64 v4, 0, 2, vcc_lo
	v_cmp_ne_u32_e32 vcc_lo, 31, v6
	ds_bpermute_b32 v7, v3, v5
	v_add_lshl_u32 v4, v4, v6, 2
	v_add_co_ci_u32_e64 v8, null, 0, v6, vcc_lo
	s_wait_dscnt 0x0
	v_add_f32_e32 v5, v5, v7
	ds_bpermute_b32 v7, v4, v5
	s_wait_dscnt 0x0
	v_dual_add_f32 v6, v5, v7 :: v_dual_lshlrev_b32 v5, 2, v8
	v_and_b32_e32 v7, 31, v0
	ds_bpermute_b32 v8, v5, v6
	v_cmpx_eq_u32_e32 0, v7
	s_cbranch_execz .LBB45_21
; %bb.20:
	v_lshrrev_b32_e32 v9, 3, v0
	s_wait_dscnt 0x0
	v_add_f32_e32 v6, v6, v8
	ds_store_b32 v9, v6
.LBB45_21:
	s_or_b32 exec_lo, exec_lo, s2
	s_wait_dscnt 0x0
	s_barrier_signal -1
	s_barrier_wait -1
	s_load_b32 s2, s[0:1], 0xd4c
	v_mov_b32_e32 v6, 0
	s_wait_kmcnt 0x0
	s_bfe_u32 s2, s2, 0xb0005
	s_delay_alu instid0(SALU_CYCLE_1)
	v_cmp_gt_u32_e32 vcc_lo, s2, v0
	s_and_saveexec_b32 s2, vcc_lo
; %bb.22:
	v_lshlrev_b32_e32 v6, 2, v7
	ds_load_b32 v6, v6
; %bb.23:
	s_or_b32 exec_lo, exec_lo, s2
	s_delay_alu instid0(SALU_CYCLE_1)
	s_mov_b32 s2, exec_lo
	v_cmpx_gt_u32_e32 32, v0
	s_cbranch_execz .LBB45_25
; %bb.24:
	s_wait_dscnt 0x0
	ds_bpermute_b32 v1, v1, v6
	s_wait_dscnt 0x0
	v_add_f32_e32 v1, v6, v1
	ds_bpermute_b32 v2, v2, v1
	s_wait_dscnt 0x0
	v_add_f32_e32 v1, v1, v2
	ds_bpermute_b32 v2, v3, v1
	s_wait_dscnt 0x0
	v_add_f32_e32 v1, v1, v2
	ds_bpermute_b32 v2, v4, v1
	s_wait_dscnt 0x0
	v_add_f32_e32 v1, v1, v2
	ds_bpermute_b32 v2, v5, v1
	s_wait_dscnt 0x0
	v_add_f32_e32 v6, v1, v2
.LBB45_25:
	s_or_b32 exec_lo, exec_lo, s2
	s_delay_alu instid0(SALU_CYCLE_1)
	s_mov_b32 s2, exec_lo
	v_cmpx_eq_u32_e32 0, v0
	s_cbranch_execz .LBB45_27
; %bb.26:
	s_clause 0x1
	s_load_b32 s2, s[0:1], 0xd20
	s_load_b96 s[8:10], s[0:1], 0xd30
	v_and_b32_e32 v0, 0xff, v13
	s_wait_kmcnt 0x0
	s_delay_alu instid0(VALU_DEP_1) | instskip(NEXT) | instid1(VALU_DEP_1)
	v_add_nc_u32_e32 v0, s2, v0
	v_mul_lo_u32 v0, v0, s10
	s_delay_alu instid0(VALU_DEP_1)
	v_add_nc_u32_e32 v0, s4, v0
	s_wait_dscnt 0x0
	global_store_b32 v0, v6, s[8:9] scale_offset
.LBB45_27:
	s_endpgm
.LBB45_28:
	v_mov_b32_e32 v2, 0
	s_delay_alu instid0(VALU_DEP_1)
	v_dual_mov_b32 v3, v2 :: v_dual_mov_b32 v4, v2
	v_mov_b32_e32 v5, v2
	s_and_not1_b32 vcc_lo, exec_lo, s3
	s_cbranch_vccz .LBB45_14
	s_branch .LBB45_19
	.section	.rodata,"a",@progbits
	.p2align	6, 0x0
	.amdhsa_kernel _ZN2at6native12_GLOBAL__N_125multi_tensor_apply_kernelINS1_18TensorListMetadataILi1EEENS0_13LpNormFunctorIdLNS0_8NormTypeE1EN3c108BFloat16ELi1ELi1ELi0EEEJPfiEEEvT_T0_DpT1_
		.amdhsa_group_segment_fixed_size 2048
		.amdhsa_private_segment_fixed_size 0
		.amdhsa_kernarg_size 3648
		.amdhsa_user_sgpr_count 2
		.amdhsa_user_sgpr_dispatch_ptr 0
		.amdhsa_user_sgpr_queue_ptr 0
		.amdhsa_user_sgpr_kernarg_segment_ptr 1
		.amdhsa_user_sgpr_dispatch_id 0
		.amdhsa_user_sgpr_kernarg_preload_length 0
		.amdhsa_user_sgpr_kernarg_preload_offset 0
		.amdhsa_user_sgpr_private_segment_size 0
		.amdhsa_wavefront_size32 1
		.amdhsa_uses_dynamic_stack 0
		.amdhsa_enable_private_segment 0
		.amdhsa_system_sgpr_workgroup_id_x 1
		.amdhsa_system_sgpr_workgroup_id_y 0
		.amdhsa_system_sgpr_workgroup_id_z 0
		.amdhsa_system_sgpr_workgroup_info 0
		.amdhsa_system_vgpr_workitem_id 0
		.amdhsa_next_free_vgpr 22
		.amdhsa_next_free_sgpr 14
		.amdhsa_named_barrier_count 0
		.amdhsa_reserve_vcc 1
		.amdhsa_float_round_mode_32 0
		.amdhsa_float_round_mode_16_64 0
		.amdhsa_float_denorm_mode_32 3
		.amdhsa_float_denorm_mode_16_64 3
		.amdhsa_fp16_overflow 0
		.amdhsa_memory_ordered 1
		.amdhsa_forward_progress 1
		.amdhsa_inst_pref_size 12
		.amdhsa_round_robin_scheduling 0
		.amdhsa_exception_fp_ieee_invalid_op 0
		.amdhsa_exception_fp_denorm_src 0
		.amdhsa_exception_fp_ieee_div_zero 0
		.amdhsa_exception_fp_ieee_overflow 0
		.amdhsa_exception_fp_ieee_underflow 0
		.amdhsa_exception_fp_ieee_inexact 0
		.amdhsa_exception_int_div_zero 0
	.end_amdhsa_kernel
	.section	.text._ZN2at6native12_GLOBAL__N_125multi_tensor_apply_kernelINS1_18TensorListMetadataILi1EEENS0_13LpNormFunctorIdLNS0_8NormTypeE1EN3c108BFloat16ELi1ELi1ELi0EEEJPfiEEEvT_T0_DpT1_,"axG",@progbits,_ZN2at6native12_GLOBAL__N_125multi_tensor_apply_kernelINS1_18TensorListMetadataILi1EEENS0_13LpNormFunctorIdLNS0_8NormTypeE1EN3c108BFloat16ELi1ELi1ELi0EEEJPfiEEEvT_T0_DpT1_,comdat
.Lfunc_end45:
	.size	_ZN2at6native12_GLOBAL__N_125multi_tensor_apply_kernelINS1_18TensorListMetadataILi1EEENS0_13LpNormFunctorIdLNS0_8NormTypeE1EN3c108BFloat16ELi1ELi1ELi0EEEJPfiEEEvT_T0_DpT1_, .Lfunc_end45-_ZN2at6native12_GLOBAL__N_125multi_tensor_apply_kernelINS1_18TensorListMetadataILi1EEENS0_13LpNormFunctorIdLNS0_8NormTypeE1EN3c108BFloat16ELi1ELi1ELi0EEEJPfiEEEvT_T0_DpT1_
                                        ; -- End function
	.set _ZN2at6native12_GLOBAL__N_125multi_tensor_apply_kernelINS1_18TensorListMetadataILi1EEENS0_13LpNormFunctorIdLNS0_8NormTypeE1EN3c108BFloat16ELi1ELi1ELi0EEEJPfiEEEvT_T0_DpT1_.num_vgpr, 22
	.set _ZN2at6native12_GLOBAL__N_125multi_tensor_apply_kernelINS1_18TensorListMetadataILi1EEENS0_13LpNormFunctorIdLNS0_8NormTypeE1EN3c108BFloat16ELi1ELi1ELi0EEEJPfiEEEvT_T0_DpT1_.num_agpr, 0
	.set _ZN2at6native12_GLOBAL__N_125multi_tensor_apply_kernelINS1_18TensorListMetadataILi1EEENS0_13LpNormFunctorIdLNS0_8NormTypeE1EN3c108BFloat16ELi1ELi1ELi0EEEJPfiEEEvT_T0_DpT1_.numbered_sgpr, 14
	.set _ZN2at6native12_GLOBAL__N_125multi_tensor_apply_kernelINS1_18TensorListMetadataILi1EEENS0_13LpNormFunctorIdLNS0_8NormTypeE1EN3c108BFloat16ELi1ELi1ELi0EEEJPfiEEEvT_T0_DpT1_.num_named_barrier, 0
	.set _ZN2at6native12_GLOBAL__N_125multi_tensor_apply_kernelINS1_18TensorListMetadataILi1EEENS0_13LpNormFunctorIdLNS0_8NormTypeE1EN3c108BFloat16ELi1ELi1ELi0EEEJPfiEEEvT_T0_DpT1_.private_seg_size, 0
	.set _ZN2at6native12_GLOBAL__N_125multi_tensor_apply_kernelINS1_18TensorListMetadataILi1EEENS0_13LpNormFunctorIdLNS0_8NormTypeE1EN3c108BFloat16ELi1ELi1ELi0EEEJPfiEEEvT_T0_DpT1_.uses_vcc, 1
	.set _ZN2at6native12_GLOBAL__N_125multi_tensor_apply_kernelINS1_18TensorListMetadataILi1EEENS0_13LpNormFunctorIdLNS0_8NormTypeE1EN3c108BFloat16ELi1ELi1ELi0EEEJPfiEEEvT_T0_DpT1_.uses_flat_scratch, 0
	.set _ZN2at6native12_GLOBAL__N_125multi_tensor_apply_kernelINS1_18TensorListMetadataILi1EEENS0_13LpNormFunctorIdLNS0_8NormTypeE1EN3c108BFloat16ELi1ELi1ELi0EEEJPfiEEEvT_T0_DpT1_.has_dyn_sized_stack, 0
	.set _ZN2at6native12_GLOBAL__N_125multi_tensor_apply_kernelINS1_18TensorListMetadataILi1EEENS0_13LpNormFunctorIdLNS0_8NormTypeE1EN3c108BFloat16ELi1ELi1ELi0EEEJPfiEEEvT_T0_DpT1_.has_recursion, 0
	.set _ZN2at6native12_GLOBAL__N_125multi_tensor_apply_kernelINS1_18TensorListMetadataILi1EEENS0_13LpNormFunctorIdLNS0_8NormTypeE1EN3c108BFloat16ELi1ELi1ELi0EEEJPfiEEEvT_T0_DpT1_.has_indirect_call, 0
	.section	.AMDGPU.csdata,"",@progbits
; Kernel info:
; codeLenInByte = 1464
; TotalNumSgprs: 16
; NumVgprs: 22
; ScratchSize: 0
; MemoryBound: 0
; FloatMode: 240
; IeeeMode: 1
; LDSByteSize: 2048 bytes/workgroup (compile time only)
; SGPRBlocks: 0
; VGPRBlocks: 1
; NumSGPRsForWavesPerEU: 16
; NumVGPRsForWavesPerEU: 22
; NamedBarCnt: 0
; Occupancy: 16
; WaveLimiterHint : 0
; COMPUTE_PGM_RSRC2:SCRATCH_EN: 0
; COMPUTE_PGM_RSRC2:USER_SGPR: 2
; COMPUTE_PGM_RSRC2:TRAP_HANDLER: 0
; COMPUTE_PGM_RSRC2:TGID_X_EN: 1
; COMPUTE_PGM_RSRC2:TGID_Y_EN: 0
; COMPUTE_PGM_RSRC2:TGID_Z_EN: 0
; COMPUTE_PGM_RSRC2:TIDIG_COMP_CNT: 0
	.section	.text._ZN2at6native12_GLOBAL__N_125multi_tensor_apply_kernelINS1_18TensorListMetadataILi1EEENS0_13LpNormFunctorIdLNS0_8NormTypeE2EN3c108BFloat16ELi1ELi1ELi0EEEJPfiEEEvT_T0_DpT1_,"axG",@progbits,_ZN2at6native12_GLOBAL__N_125multi_tensor_apply_kernelINS1_18TensorListMetadataILi1EEENS0_13LpNormFunctorIdLNS0_8NormTypeE2EN3c108BFloat16ELi1ELi1ELi0EEEJPfiEEEvT_T0_DpT1_,comdat
	.globl	_ZN2at6native12_GLOBAL__N_125multi_tensor_apply_kernelINS1_18TensorListMetadataILi1EEENS0_13LpNormFunctorIdLNS0_8NormTypeE2EN3c108BFloat16ELi1ELi1ELi0EEEJPfiEEEvT_T0_DpT1_ ; -- Begin function _ZN2at6native12_GLOBAL__N_125multi_tensor_apply_kernelINS1_18TensorListMetadataILi1EEENS0_13LpNormFunctorIdLNS0_8NormTypeE2EN3c108BFloat16ELi1ELi1ELi0EEEJPfiEEEvT_T0_DpT1_
	.p2align	8
	.type	_ZN2at6native12_GLOBAL__N_125multi_tensor_apply_kernelINS1_18TensorListMetadataILi1EEENS0_13LpNormFunctorIdLNS0_8NormTypeE2EN3c108BFloat16ELi1ELi1ELi0EEEJPfiEEEvT_T0_DpT1_,@function
_ZN2at6native12_GLOBAL__N_125multi_tensor_apply_kernelINS1_18TensorListMetadataILi1EEENS0_13LpNormFunctorIdLNS0_8NormTypeE2EN3c108BFloat16ELi1ELi1ELi0EEEJPfiEEEvT_T0_DpT1_: ; @_ZN2at6native12_GLOBAL__N_125multi_tensor_apply_kernelINS1_18TensorListMetadataILi1EEENS0_13LpNormFunctorIdLNS0_8NormTypeE2EN3c108BFloat16ELi1ELi1ELi0EEEJPfiEEEvT_T0_DpT1_
; %bb.0:
	s_bfe_u32 s2, ttmp6, 0x4000c
	s_and_b32 s3, ttmp6, 15
	s_add_co_i32 s2, s2, 1
	s_getreg_b32 s4, hwreg(HW_REG_IB_STS2, 6, 4)
	s_mul_i32 s2, ttmp9, s2
	s_delay_alu instid0(SALU_CYCLE_1)
	s_add_co_i32 s3, s3, s2
	s_cmp_eq_u32 s4, 0
	s_cselect_b32 s2, ttmp9, s3
	s_mov_b32 s3, 0
	v_mov_b32_e32 v1, s2
	s_add_nc_u64 s[4:5], s[0:1], s[2:3]
	s_mul_u64 s[6:7], s[2:3], 3
	s_delay_alu instid0(SALU_CYCLE_1) | instskip(SKIP_4) | instid1(SALU_CYCLE_1)
	s_add_nc_u64 s[4:5], s[4:5], s[6:7]
	global_load_u8 v15, v1, s[0:1] offset:1760
	s_load_b32 s4, s[4:5], 0x820
	s_wait_kmcnt 0x0
	s_ashr_i32 s5, s4, 31
	s_lshl_b64 s[10:11], s[4:5], 19
	s_lshl_b64 s[12:13], s[4:5], 16
	s_wait_loadcnt 0x0
	v_readfirstlane_b32 s2, v15
	s_and_b32 s2, s2, 0xff
	s_clause 0x1
	s_load_b64 s[6:7], s[0:1], s2 offset:0x0 scale_offset
	s_load_b64 s[8:9], s[0:1], s2 offset:0x370 scale_offset
	s_wait_kmcnt 0x0
	s_add_nc_u64 s[6:7], s[6:7], s[10:11]
	s_and_b32 s2, s8, 3
	s_and_b64 s[10:11], s[6:7], 31
	s_sub_nc_u64 s[8:9], s[8:9], s[12:13]
	s_or_b64 s[10:11], s[2:3], s[10:11]
	s_delay_alu instid0(SALU_CYCLE_1)
	s_cmp_eq_u64 s[10:11], 0
	s_cbranch_scc1 .LBB46_12
; %bb.1:
	v_cmp_lt_i64_e64 s2, s[8:9], 1
	s_and_b32 vcc_lo, exec_lo, s2
	s_cbranch_vccnz .LBB46_28
; %bb.2:
	s_load_b32 s2, s[0:1], 0xd4c
	v_min_i64 v[10:11], 0x10000, s[8:9]
	s_mov_b32 s11, 0
	s_mov_b64 s[12:13], 0
	s_wait_kmcnt 0x0
	s_and_b32 s2, s2, 0xffff
	s_delay_alu instid0(SALU_CYCLE_1) | instskip(SKIP_3) | instid1(VALU_DEP_3)
	v_dual_mov_b32 v7, 0 :: v_dual_add_nc_u32 v16, s2, v0
	v_mad_u32 v12, s2, 3, v0
	v_lshl_add_u32 v14, s2, 1, v0
	s_lshl_b32 s10, s2, 2
	v_dual_mov_b32 v6, v7 :: v_dual_mov_b32 v8, v7
	v_mov_b32_e32 v9, v7
	s_delay_alu instid0(VALU_DEP_2) | instskip(NEXT) | instid1(VALU_DEP_2)
	v_mov_b64_e32 v[2:3], v[6:7]
	v_mov_b64_e32 v[4:5], v[8:9]
	s_branch .LBB46_4
.LBB46_3:                               ;   in Loop: Header=BB46_4 Depth=1
	s_or_b32 exec_lo, exec_lo, s2
	s_add_nc_u64 s[12:13], s[12:13], s[10:11]
	s_delay_alu instid0(SALU_CYCLE_1)
	v_cmp_lt_i64_e32 vcc_lo, s[12:13], v[10:11]
	s_cbranch_vccz .LBB46_13
.LBB46_4:                               ; =>This Inner Loop Header: Depth=1
	v_add_nc_u32_e32 v6, s12, v0
	s_delay_alu instid0(VALU_DEP_1) | instskip(SKIP_2) | instid1(SALU_CYCLE_1)
	v_cmp_gt_i64_e32 vcc_lo, s[8:9], v[6:7]
	v_cmp_gt_u32_e64 s2, 0x10000, v6
	s_and_b32 s5, s2, vcc_lo
	s_and_saveexec_b32 s2, s5
	s_cbranch_execz .LBB46_6
; %bb.5:                                ;   in Loop: Header=BB46_4 Depth=1
	v_lshl_add_u64 v[8:9], v[6:7], 3, s[6:7]
	global_load_b64 v[8:9], v[8:9], off
	s_wait_loadcnt 0x0
	v_cvt_f32_f64_e32 v1, v[8:9]
	s_delay_alu instid0(VALU_DEP_1)
	v_fma_f32 v2, v1, v1, v2
.LBB46_6:                               ;   in Loop: Header=BB46_4 Depth=1
	s_or_b32 exec_lo, exec_lo, s2
	v_add_nc_u32_e32 v6, s12, v16
	s_delay_alu instid0(VALU_DEP_1) | instskip(SKIP_2) | instid1(SALU_CYCLE_1)
	v_cmp_gt_i64_e32 vcc_lo, s[8:9], v[6:7]
	v_cmp_gt_u32_e64 s2, 0x10000, v6
	s_and_b32 s5, s2, vcc_lo
	s_and_saveexec_b32 s2, s5
	s_cbranch_execz .LBB46_8
; %bb.7:                                ;   in Loop: Header=BB46_4 Depth=1
	v_lshl_add_u64 v[8:9], v[6:7], 3, s[6:7]
	global_load_b64 v[8:9], v[8:9], off
	s_wait_loadcnt 0x0
	v_cvt_f32_f64_e32 v1, v[8:9]
	s_delay_alu instid0(VALU_DEP_1)
	v_fma_f32 v3, v1, v1, v3
.LBB46_8:                               ;   in Loop: Header=BB46_4 Depth=1
	s_or_b32 exec_lo, exec_lo, s2
	v_add_nc_u32_e32 v6, s12, v14
	s_delay_alu instid0(VALU_DEP_1) | instskip(SKIP_2) | instid1(SALU_CYCLE_1)
	v_cmp_gt_i64_e32 vcc_lo, s[8:9], v[6:7]
	v_cmp_gt_u32_e64 s2, 0x10000, v6
	s_and_b32 s5, s2, vcc_lo
	s_and_saveexec_b32 s2, s5
	s_cbranch_execz .LBB46_10
; %bb.9:                                ;   in Loop: Header=BB46_4 Depth=1
	v_lshl_add_u64 v[8:9], v[6:7], 3, s[6:7]
	global_load_b64 v[8:9], v[8:9], off
	s_wait_loadcnt 0x0
	v_cvt_f32_f64_e32 v1, v[8:9]
	s_delay_alu instid0(VALU_DEP_1)
	v_fma_f32 v4, v1, v1, v4
.LBB46_10:                              ;   in Loop: Header=BB46_4 Depth=1
	s_or_b32 exec_lo, exec_lo, s2
	v_add_nc_u32_e32 v6, s12, v12
	s_delay_alu instid0(VALU_DEP_1) | instskip(SKIP_2) | instid1(SALU_CYCLE_1)
	v_cmp_gt_i64_e32 vcc_lo, s[8:9], v[6:7]
	v_cmp_gt_u32_e64 s2, 0x10000, v6
	s_and_b32 s5, s2, vcc_lo
	s_and_saveexec_b32 s2, s5
	s_cbranch_execz .LBB46_3
; %bb.11:                               ;   in Loop: Header=BB46_4 Depth=1
	v_lshl_add_u64 v[8:9], v[6:7], 3, s[6:7]
	global_load_b64 v[8:9], v[8:9], off
	s_wait_loadcnt 0x0
	v_cvt_f32_f64_e32 v1, v[8:9]
	s_delay_alu instid0(VALU_DEP_1)
	v_fma_f32 v5, v1, v1, v5
	s_branch .LBB46_3
.LBB46_12:
	s_mov_b32 s3, -1
                                        ; implicit-def: $vgpr2_vgpr3_vgpr4_vgpr5
.LBB46_13:
	s_delay_alu instid0(SALU_CYCLE_1)
	s_and_not1_b32 vcc_lo, exec_lo, s3
	s_cbranch_vccnz .LBB46_19
.LBB46_14:
	v_min_i64 v[8:9], 0x10000, s[8:9]
	v_dual_mov_b32 v3, 0 :: v_dual_lshlrev_b32 v2, 2, v0
	s_mov_b32 s3, 0
	s_delay_alu instid0(VALU_DEP_1) | instskip(NEXT) | instid1(VALU_DEP_2)
	v_dual_mov_b32 v5, v3 :: v_dual_mov_b32 v4, v3
	v_cmp_lt_i64_e32 vcc_lo, v[2:3], v[8:9]
	v_mov_b32_e32 v2, v3
	s_and_saveexec_b32 s5, vcc_lo
	s_cbranch_execz .LBB46_18
; %bb.15:
	s_load_b32 s2, s[0:1], 0xd4c
	v_dual_mov_b32 v1, v3 :: v_dual_lshlrev_b32 v2, 5, v0
	v_dual_mov_b32 v5, 0 :: v_dual_mov_b32 v6, 0
	v_mov_b32_e32 v7, 0
	s_delay_alu instid0(VALU_DEP_3) | instskip(NEXT) | instid1(VALU_DEP_4)
	v_add_nc_u64_e32 v[10:11], s[6:7], v[2:3]
	v_mov_b64_e32 v[12:13], v[0:1]
	s_mov_b32 s7, s3
	s_mov_b32 s8, s3
	s_delay_alu instid0(VALU_DEP_2) | instskip(SKIP_2) | instid1(SALU_CYCLE_1)
	v_add_nc_u64_e32 v[10:11], 16, v[10:11]
	s_wait_kmcnt 0x0
	s_and_b32 s2, s2, 0xffff
	s_lshl_b32 s6, s2, 5
.LBB46_16:                              ; =>This Inner Loop Header: Depth=1
	s_clause 0x1
	global_load_b128 v[16:19], v[10:11], off offset:-16
	global_load_b128 v[20:23], v[10:11], off
	v_add_nc_u64_e32 v[12:13], s[2:3], v[12:13]
	s_wait_xcnt 0x0
	v_add_nc_u64_e32 v[10:11], s[6:7], v[10:11]
	s_wait_loadcnt 0x1
	v_cvt_f32_f64_e32 v1, v[16:17]
	v_cvt_f32_f64_e32 v2, v[18:19]
	s_wait_loadcnt 0x0
	v_cvt_f32_f64_e32 v4, v[20:21]
	v_cvt_f32_f64_e32 v14, v[22:23]
	v_lshlrev_b64_e32 v[16:17], 2, v[12:13]
	s_delay_alu instid0(VALU_DEP_1) | instskip(SKIP_2) | instid1(VALU_DEP_4)
	v_cmp_ge_i64_e32 vcc_lo, v[16:17], v[8:9]
	s_or_b32 s8, vcc_lo, s8
	v_dual_fmac_f32 v3, v1, v1 :: v_dual_fmac_f32 v5, v2, v2
	v_dual_fmac_f32 v6, v4, v4 :: v_dual_fmac_f32 v7, v14, v14
	s_and_not1_b32 exec_lo, exec_lo, s8
	s_cbranch_execnz .LBB46_16
; %bb.17:
	s_or_b32 exec_lo, exec_lo, s8
	v_mov_b32_e32 v4, v3
	s_delay_alu instid0(VALU_DEP_1)
	v_mov_b64_e32 v[2:3], v[4:5]
	v_mov_b64_e32 v[4:5], v[6:7]
.LBB46_18:
	s_or_b32 exec_lo, exec_lo, s5
.LBB46_19:
	s_delay_alu instid0(VALU_DEP_1) | instskip(SKIP_3) | instid1(VALU_DEP_2)
	v_add_f32_e32 v1, 0, v2
	v_mbcnt_lo_u32_b32 v6, -1, 0
	s_mov_b32 s2, exec_lo
	s_barrier_signal -1
	v_add_f32_e32 v1, v3, v1
	s_delay_alu instid0(VALU_DEP_2) | instskip(SKIP_1) | instid1(VALU_DEP_2)
	v_cmp_gt_u32_e32 vcc_lo, 24, v6
	s_barrier_wait -1
	v_add_f32_e32 v2, v4, v1
	v_lshl_or_b32 v1, v6, 2, 64
	s_delay_alu instid0(VALU_DEP_2)
	v_add_f32_e32 v3, v5, v2
	v_cndmask_b32_e64 v2, 0, 8, vcc_lo
	v_cmp_gt_u32_e32 vcc_lo, 28, v6
	ds_bpermute_b32 v4, v1, v3
	v_add_lshl_u32 v2, v2, v6, 2
	s_wait_dscnt 0x0
	v_add_f32_e32 v4, v3, v4
	v_cndmask_b32_e64 v3, 0, 4, vcc_lo
	v_cmp_gt_u32_e32 vcc_lo, 30, v6
	ds_bpermute_b32 v5, v2, v4
	v_add_lshl_u32 v3, v3, v6, 2
	s_wait_dscnt 0x0
	v_add_f32_e32 v5, v4, v5
	v_cndmask_b32_e64 v4, 0, 2, vcc_lo
	v_cmp_ne_u32_e32 vcc_lo, 31, v6
	ds_bpermute_b32 v7, v3, v5
	v_add_lshl_u32 v4, v4, v6, 2
	v_add_co_ci_u32_e64 v8, null, 0, v6, vcc_lo
	s_wait_dscnt 0x0
	v_add_f32_e32 v5, v5, v7
	ds_bpermute_b32 v7, v4, v5
	s_wait_dscnt 0x0
	v_dual_add_f32 v6, v5, v7 :: v_dual_lshlrev_b32 v5, 2, v8
	v_and_b32_e32 v7, 31, v0
	ds_bpermute_b32 v8, v5, v6
	v_cmpx_eq_u32_e32 0, v7
	s_cbranch_execz .LBB46_21
; %bb.20:
	v_lshrrev_b32_e32 v9, 3, v0
	s_wait_dscnt 0x0
	v_add_f32_e32 v6, v6, v8
	ds_store_b32 v9, v6
.LBB46_21:
	s_or_b32 exec_lo, exec_lo, s2
	s_wait_dscnt 0x0
	s_barrier_signal -1
	s_barrier_wait -1
	s_load_b32 s2, s[0:1], 0xd4c
	v_mov_b32_e32 v6, 0
	s_wait_kmcnt 0x0
	s_bfe_u32 s2, s2, 0xb0005
	s_delay_alu instid0(SALU_CYCLE_1)
	v_cmp_gt_u32_e32 vcc_lo, s2, v0
	s_and_saveexec_b32 s2, vcc_lo
; %bb.22:
	v_lshlrev_b32_e32 v6, 2, v7
	ds_load_b32 v6, v6
; %bb.23:
	s_or_b32 exec_lo, exec_lo, s2
	s_delay_alu instid0(SALU_CYCLE_1)
	s_mov_b32 s2, exec_lo
	v_cmpx_gt_u32_e32 32, v0
	s_cbranch_execz .LBB46_25
; %bb.24:
	s_wait_dscnt 0x0
	ds_bpermute_b32 v1, v1, v6
	s_wait_dscnt 0x0
	v_add_f32_e32 v1, v6, v1
	ds_bpermute_b32 v2, v2, v1
	s_wait_dscnt 0x0
	v_add_f32_e32 v1, v1, v2
	;; [unrolled: 3-line block ×5, first 2 shown]
.LBB46_25:
	s_or_b32 exec_lo, exec_lo, s2
	s_delay_alu instid0(SALU_CYCLE_1)
	s_mov_b32 s2, exec_lo
	v_cmpx_eq_u32_e32 0, v0
	s_cbranch_execz .LBB46_27
; %bb.26:
	s_clause 0x1
	s_load_b32 s2, s[0:1], 0xd20
	s_load_b96 s[8:10], s[0:1], 0xd30
	v_and_b32_e32 v0, 0xff, v15
	s_wait_kmcnt 0x0
	s_delay_alu instid0(VALU_DEP_1) | instskip(NEXT) | instid1(VALU_DEP_1)
	v_add_nc_u32_e32 v0, s2, v0
	v_mul_lo_u32 v0, v0, s10
	s_delay_alu instid0(VALU_DEP_1)
	v_add_nc_u32_e32 v0, s4, v0
	s_wait_dscnt 0x0
	global_store_b32 v0, v6, s[8:9] scale_offset
.LBB46_27:
	s_endpgm
.LBB46_28:
	v_mov_b32_e32 v2, 0
	s_delay_alu instid0(VALU_DEP_1)
	v_dual_mov_b32 v3, v2 :: v_dual_mov_b32 v4, v2
	v_mov_b32_e32 v5, v2
	s_and_not1_b32 vcc_lo, exec_lo, s3
	s_cbranch_vccz .LBB46_14
	s_branch .LBB46_19
	.section	.rodata,"a",@progbits
	.p2align	6, 0x0
	.amdhsa_kernel _ZN2at6native12_GLOBAL__N_125multi_tensor_apply_kernelINS1_18TensorListMetadataILi1EEENS0_13LpNormFunctorIdLNS0_8NormTypeE2EN3c108BFloat16ELi1ELi1ELi0EEEJPfiEEEvT_T0_DpT1_
		.amdhsa_group_segment_fixed_size 2048
		.amdhsa_private_segment_fixed_size 0
		.amdhsa_kernarg_size 3648
		.amdhsa_user_sgpr_count 2
		.amdhsa_user_sgpr_dispatch_ptr 0
		.amdhsa_user_sgpr_queue_ptr 0
		.amdhsa_user_sgpr_kernarg_segment_ptr 1
		.amdhsa_user_sgpr_dispatch_id 0
		.amdhsa_user_sgpr_kernarg_preload_length 0
		.amdhsa_user_sgpr_kernarg_preload_offset 0
		.amdhsa_user_sgpr_private_segment_size 0
		.amdhsa_wavefront_size32 1
		.amdhsa_uses_dynamic_stack 0
		.amdhsa_enable_private_segment 0
		.amdhsa_system_sgpr_workgroup_id_x 1
		.amdhsa_system_sgpr_workgroup_id_y 0
		.amdhsa_system_sgpr_workgroup_id_z 0
		.amdhsa_system_sgpr_workgroup_info 0
		.amdhsa_system_vgpr_workitem_id 0
		.amdhsa_next_free_vgpr 24
		.amdhsa_next_free_sgpr 14
		.amdhsa_named_barrier_count 0
		.amdhsa_reserve_vcc 1
		.amdhsa_float_round_mode_32 0
		.amdhsa_float_round_mode_16_64 0
		.amdhsa_float_denorm_mode_32 3
		.amdhsa_float_denorm_mode_16_64 3
		.amdhsa_fp16_overflow 0
		.amdhsa_memory_ordered 1
		.amdhsa_forward_progress 1
		.amdhsa_inst_pref_size 12
		.amdhsa_round_robin_scheduling 0
		.amdhsa_exception_fp_ieee_invalid_op 0
		.amdhsa_exception_fp_denorm_src 0
		.amdhsa_exception_fp_ieee_div_zero 0
		.amdhsa_exception_fp_ieee_overflow 0
		.amdhsa_exception_fp_ieee_underflow 0
		.amdhsa_exception_fp_ieee_inexact 0
		.amdhsa_exception_int_div_zero 0
	.end_amdhsa_kernel
	.section	.text._ZN2at6native12_GLOBAL__N_125multi_tensor_apply_kernelINS1_18TensorListMetadataILi1EEENS0_13LpNormFunctorIdLNS0_8NormTypeE2EN3c108BFloat16ELi1ELi1ELi0EEEJPfiEEEvT_T0_DpT1_,"axG",@progbits,_ZN2at6native12_GLOBAL__N_125multi_tensor_apply_kernelINS1_18TensorListMetadataILi1EEENS0_13LpNormFunctorIdLNS0_8NormTypeE2EN3c108BFloat16ELi1ELi1ELi0EEEJPfiEEEvT_T0_DpT1_,comdat
.Lfunc_end46:
	.size	_ZN2at6native12_GLOBAL__N_125multi_tensor_apply_kernelINS1_18TensorListMetadataILi1EEENS0_13LpNormFunctorIdLNS0_8NormTypeE2EN3c108BFloat16ELi1ELi1ELi0EEEJPfiEEEvT_T0_DpT1_, .Lfunc_end46-_ZN2at6native12_GLOBAL__N_125multi_tensor_apply_kernelINS1_18TensorListMetadataILi1EEENS0_13LpNormFunctorIdLNS0_8NormTypeE2EN3c108BFloat16ELi1ELi1ELi0EEEJPfiEEEvT_T0_DpT1_
                                        ; -- End function
	.set _ZN2at6native12_GLOBAL__N_125multi_tensor_apply_kernelINS1_18TensorListMetadataILi1EEENS0_13LpNormFunctorIdLNS0_8NormTypeE2EN3c108BFloat16ELi1ELi1ELi0EEEJPfiEEEvT_T0_DpT1_.num_vgpr, 24
	.set _ZN2at6native12_GLOBAL__N_125multi_tensor_apply_kernelINS1_18TensorListMetadataILi1EEENS0_13LpNormFunctorIdLNS0_8NormTypeE2EN3c108BFloat16ELi1ELi1ELi0EEEJPfiEEEvT_T0_DpT1_.num_agpr, 0
	.set _ZN2at6native12_GLOBAL__N_125multi_tensor_apply_kernelINS1_18TensorListMetadataILi1EEENS0_13LpNormFunctorIdLNS0_8NormTypeE2EN3c108BFloat16ELi1ELi1ELi0EEEJPfiEEEvT_T0_DpT1_.numbered_sgpr, 14
	.set _ZN2at6native12_GLOBAL__N_125multi_tensor_apply_kernelINS1_18TensorListMetadataILi1EEENS0_13LpNormFunctorIdLNS0_8NormTypeE2EN3c108BFloat16ELi1ELi1ELi0EEEJPfiEEEvT_T0_DpT1_.num_named_barrier, 0
	.set _ZN2at6native12_GLOBAL__N_125multi_tensor_apply_kernelINS1_18TensorListMetadataILi1EEENS0_13LpNormFunctorIdLNS0_8NormTypeE2EN3c108BFloat16ELi1ELi1ELi0EEEJPfiEEEvT_T0_DpT1_.private_seg_size, 0
	.set _ZN2at6native12_GLOBAL__N_125multi_tensor_apply_kernelINS1_18TensorListMetadataILi1EEENS0_13LpNormFunctorIdLNS0_8NormTypeE2EN3c108BFloat16ELi1ELi1ELi0EEEJPfiEEEvT_T0_DpT1_.uses_vcc, 1
	.set _ZN2at6native12_GLOBAL__N_125multi_tensor_apply_kernelINS1_18TensorListMetadataILi1EEENS0_13LpNormFunctorIdLNS0_8NormTypeE2EN3c108BFloat16ELi1ELi1ELi0EEEJPfiEEEvT_T0_DpT1_.uses_flat_scratch, 0
	.set _ZN2at6native12_GLOBAL__N_125multi_tensor_apply_kernelINS1_18TensorListMetadataILi1EEENS0_13LpNormFunctorIdLNS0_8NormTypeE2EN3c108BFloat16ELi1ELi1ELi0EEEJPfiEEEvT_T0_DpT1_.has_dyn_sized_stack, 0
	.set _ZN2at6native12_GLOBAL__N_125multi_tensor_apply_kernelINS1_18TensorListMetadataILi1EEENS0_13LpNormFunctorIdLNS0_8NormTypeE2EN3c108BFloat16ELi1ELi1ELi0EEEJPfiEEEvT_T0_DpT1_.has_recursion, 0
	.set _ZN2at6native12_GLOBAL__N_125multi_tensor_apply_kernelINS1_18TensorListMetadataILi1EEENS0_13LpNormFunctorIdLNS0_8NormTypeE2EN3c108BFloat16ELi1ELi1ELi0EEEJPfiEEEvT_T0_DpT1_.has_indirect_call, 0
	.section	.AMDGPU.csdata,"",@progbits
; Kernel info:
; codeLenInByte = 1436
; TotalNumSgprs: 16
; NumVgprs: 24
; ScratchSize: 0
; MemoryBound: 0
; FloatMode: 240
; IeeeMode: 1
; LDSByteSize: 2048 bytes/workgroup (compile time only)
; SGPRBlocks: 0
; VGPRBlocks: 1
; NumSGPRsForWavesPerEU: 16
; NumVGPRsForWavesPerEU: 24
; NamedBarCnt: 0
; Occupancy: 16
; WaveLimiterHint : 0
; COMPUTE_PGM_RSRC2:SCRATCH_EN: 0
; COMPUTE_PGM_RSRC2:USER_SGPR: 2
; COMPUTE_PGM_RSRC2:TRAP_HANDLER: 0
; COMPUTE_PGM_RSRC2:TGID_X_EN: 1
; COMPUTE_PGM_RSRC2:TGID_Y_EN: 0
; COMPUTE_PGM_RSRC2:TGID_Z_EN: 0
; COMPUTE_PGM_RSRC2:TIDIG_COMP_CNT: 0
	.section	.text._ZN2at6native12_GLOBAL__N_125multi_tensor_apply_kernelINS1_18TensorListMetadataILi1EEENS0_13LpNormFunctorIdLNS0_8NormTypeE3EN3c108BFloat16ELi1ELi1ELi0EEEJPfiEEEvT_T0_DpT1_,"axG",@progbits,_ZN2at6native12_GLOBAL__N_125multi_tensor_apply_kernelINS1_18TensorListMetadataILi1EEENS0_13LpNormFunctorIdLNS0_8NormTypeE3EN3c108BFloat16ELi1ELi1ELi0EEEJPfiEEEvT_T0_DpT1_,comdat
	.globl	_ZN2at6native12_GLOBAL__N_125multi_tensor_apply_kernelINS1_18TensorListMetadataILi1EEENS0_13LpNormFunctorIdLNS0_8NormTypeE3EN3c108BFloat16ELi1ELi1ELi0EEEJPfiEEEvT_T0_DpT1_ ; -- Begin function _ZN2at6native12_GLOBAL__N_125multi_tensor_apply_kernelINS1_18TensorListMetadataILi1EEENS0_13LpNormFunctorIdLNS0_8NormTypeE3EN3c108BFloat16ELi1ELi1ELi0EEEJPfiEEEvT_T0_DpT1_
	.p2align	8
	.type	_ZN2at6native12_GLOBAL__N_125multi_tensor_apply_kernelINS1_18TensorListMetadataILi1EEENS0_13LpNormFunctorIdLNS0_8NormTypeE3EN3c108BFloat16ELi1ELi1ELi0EEEJPfiEEEvT_T0_DpT1_,@function
_ZN2at6native12_GLOBAL__N_125multi_tensor_apply_kernelINS1_18TensorListMetadataILi1EEENS0_13LpNormFunctorIdLNS0_8NormTypeE3EN3c108BFloat16ELi1ELi1ELi0EEEJPfiEEEvT_T0_DpT1_: ; @_ZN2at6native12_GLOBAL__N_125multi_tensor_apply_kernelINS1_18TensorListMetadataILi1EEENS0_13LpNormFunctorIdLNS0_8NormTypeE3EN3c108BFloat16ELi1ELi1ELi0EEEJPfiEEEvT_T0_DpT1_
; %bb.0:
	s_bfe_u32 s2, ttmp6, 0x4000c
	s_and_b32 s3, ttmp6, 15
	s_add_co_i32 s2, s2, 1
	s_getreg_b32 s4, hwreg(HW_REG_IB_STS2, 6, 4)
	s_mul_i32 s2, ttmp9, s2
	s_delay_alu instid0(SALU_CYCLE_1)
	s_add_co_i32 s3, s3, s2
	s_cmp_eq_u32 s4, 0
	s_cselect_b32 s2, ttmp9, s3
	s_mov_b32 s3, 0
	v_mov_b32_e32 v1, s2
	s_add_nc_u64 s[4:5], s[0:1], s[2:3]
	s_mul_u64 s[6:7], s[2:3], 3
	s_delay_alu instid0(SALU_CYCLE_1) | instskip(SKIP_4) | instid1(SALU_CYCLE_1)
	s_add_nc_u64 s[4:5], s[4:5], s[6:7]
	global_load_u8 v15, v1, s[0:1] offset:1760
	s_load_b32 s6, s[4:5], 0x820
	s_wait_kmcnt 0x0
	s_ashr_i32 s7, s6, 31
	s_lshl_b64 s[10:11], s[6:7], 19
	s_lshl_b64 s[12:13], s[6:7], 16
	s_wait_loadcnt 0x0
	v_readfirstlane_b32 s2, v15
	s_and_b32 s2, s2, 0xff
	s_clause 0x1
	s_load_b64 s[4:5], s[0:1], s2 offset:0x0 scale_offset
	s_load_b64 s[8:9], s[0:1], s2 offset:0x370 scale_offset
	s_wait_kmcnt 0x0
	s_add_nc_u64 s[4:5], s[4:5], s[10:11]
	s_and_b32 s2, s8, 3
	s_and_b64 s[10:11], s[4:5], 31
	s_sub_nc_u64 s[8:9], s[8:9], s[12:13]
	s_or_b64 s[10:11], s[2:3], s[10:11]
	s_delay_alu instid0(SALU_CYCLE_1)
	s_cmp_eq_u64 s[10:11], 0
	s_cbranch_scc1 .LBB47_12
; %bb.1:
	v_cmp_lt_i64_e64 s2, s[8:9], 1
	s_and_b32 vcc_lo, exec_lo, s2
	s_cbranch_vccnz .LBB47_28
; %bb.2:
	s_load_b32 s2, s[0:1], 0xd4c
	v_min_i64 v[10:11], 0x10000, s[8:9]
	s_mov_b32 s11, 0
	s_mov_b64 s[12:13], 0
	s_wait_kmcnt 0x0
	s_and_b32 s2, s2, 0xffff
	s_delay_alu instid0(SALU_CYCLE_1) | instskip(SKIP_3) | instid1(VALU_DEP_3)
	v_dual_mov_b32 v7, 0 :: v_dual_add_nc_u32 v16, s2, v0
	v_mad_u32 v12, s2, 3, v0
	v_lshl_add_u32 v14, s2, 1, v0
	s_lshl_b32 s10, s2, 2
	v_dual_mov_b32 v6, v7 :: v_dual_mov_b32 v8, v7
	v_mov_b32_e32 v9, v7
	s_delay_alu instid0(VALU_DEP_2) | instskip(NEXT) | instid1(VALU_DEP_2)
	v_mov_b64_e32 v[2:3], v[6:7]
	v_mov_b64_e32 v[4:5], v[8:9]
	s_branch .LBB47_4
.LBB47_3:                               ;   in Loop: Header=BB47_4 Depth=1
	s_or_b32 exec_lo, exec_lo, s2
	s_add_nc_u64 s[12:13], s[12:13], s[10:11]
	s_delay_alu instid0(SALU_CYCLE_1)
	v_cmp_lt_i64_e32 vcc_lo, s[12:13], v[10:11]
	s_cbranch_vccz .LBB47_13
.LBB47_4:                               ; =>This Inner Loop Header: Depth=1
	v_add_nc_u32_e32 v6, s12, v0
	s_delay_alu instid0(VALU_DEP_1) | instskip(SKIP_2) | instid1(SALU_CYCLE_1)
	v_cmp_gt_i64_e32 vcc_lo, s[8:9], v[6:7]
	v_cmp_gt_u32_e64 s2, 0x10000, v6
	s_and_b32 s7, s2, vcc_lo
	s_and_saveexec_b32 s2, s7
	s_cbranch_execz .LBB47_6
; %bb.5:                                ;   in Loop: Header=BB47_4 Depth=1
	v_lshl_add_u64 v[8:9], v[6:7], 3, s[4:5]
	global_load_b64 v[8:9], v[8:9], off
	s_wait_loadcnt 0x0
	v_cvt_f32_f64_e32 v1, v[8:9]
	s_delay_alu instid0(VALU_DEP_1) | instskip(SKIP_2) | instid1(SALU_CYCLE_1)
	v_cmp_u_f32_e32 vcc_lo, v1, v1
	v_cmp_lt_f32_e64 s7, v2, |v1|
	s_or_b32 s7, vcc_lo, s7
	v_cndmask_b32_e64 v2, v2, |v1|, s7
.LBB47_6:                               ;   in Loop: Header=BB47_4 Depth=1
	s_or_b32 exec_lo, exec_lo, s2
	v_add_nc_u32_e32 v6, s12, v16
	s_delay_alu instid0(VALU_DEP_1) | instskip(SKIP_2) | instid1(SALU_CYCLE_1)
	v_cmp_gt_i64_e32 vcc_lo, s[8:9], v[6:7]
	v_cmp_gt_u32_e64 s2, 0x10000, v6
	s_and_b32 s7, s2, vcc_lo
	s_and_saveexec_b32 s2, s7
	s_cbranch_execz .LBB47_8
; %bb.7:                                ;   in Loop: Header=BB47_4 Depth=1
	v_lshl_add_u64 v[8:9], v[6:7], 3, s[4:5]
	global_load_b64 v[8:9], v[8:9], off
	s_wait_loadcnt 0x0
	v_cvt_f32_f64_e32 v1, v[8:9]
	s_delay_alu instid0(VALU_DEP_1) | instskip(SKIP_2) | instid1(SALU_CYCLE_1)
	v_cmp_u_f32_e32 vcc_lo, v1, v1
	v_cmp_lt_f32_e64 s7, v3, |v1|
	s_or_b32 s7, vcc_lo, s7
	v_cndmask_b32_e64 v3, v3, |v1|, s7
.LBB47_8:                               ;   in Loop: Header=BB47_4 Depth=1
	s_or_b32 exec_lo, exec_lo, s2
	v_add_nc_u32_e32 v6, s12, v14
	s_delay_alu instid0(VALU_DEP_1) | instskip(SKIP_2) | instid1(SALU_CYCLE_1)
	v_cmp_gt_i64_e32 vcc_lo, s[8:9], v[6:7]
	v_cmp_gt_u32_e64 s2, 0x10000, v6
	s_and_b32 s7, s2, vcc_lo
	s_and_saveexec_b32 s2, s7
	s_cbranch_execz .LBB47_10
; %bb.9:                                ;   in Loop: Header=BB47_4 Depth=1
	v_lshl_add_u64 v[8:9], v[6:7], 3, s[4:5]
	global_load_b64 v[8:9], v[8:9], off
	s_wait_loadcnt 0x0
	v_cvt_f32_f64_e32 v1, v[8:9]
	s_delay_alu instid0(VALU_DEP_1) | instskip(SKIP_2) | instid1(SALU_CYCLE_1)
	v_cmp_u_f32_e32 vcc_lo, v1, v1
	v_cmp_lt_f32_e64 s7, v4, |v1|
	s_or_b32 s7, vcc_lo, s7
	v_cndmask_b32_e64 v4, v4, |v1|, s7
.LBB47_10:                              ;   in Loop: Header=BB47_4 Depth=1
	s_or_b32 exec_lo, exec_lo, s2
	v_add_nc_u32_e32 v6, s12, v12
	s_delay_alu instid0(VALU_DEP_1) | instskip(SKIP_2) | instid1(SALU_CYCLE_1)
	v_cmp_gt_i64_e32 vcc_lo, s[8:9], v[6:7]
	v_cmp_gt_u32_e64 s2, 0x10000, v6
	s_and_b32 s7, s2, vcc_lo
	s_and_saveexec_b32 s2, s7
	s_cbranch_execz .LBB47_3
; %bb.11:                               ;   in Loop: Header=BB47_4 Depth=1
	v_lshl_add_u64 v[8:9], v[6:7], 3, s[4:5]
	global_load_b64 v[8:9], v[8:9], off
	s_wait_loadcnt 0x0
	v_cvt_f32_f64_e32 v1, v[8:9]
	s_delay_alu instid0(VALU_DEP_1) | instskip(SKIP_2) | instid1(SALU_CYCLE_1)
	v_cmp_u_f32_e32 vcc_lo, v1, v1
	v_cmp_lt_f32_e64 s7, v5, |v1|
	s_or_b32 s7, vcc_lo, s7
	v_cndmask_b32_e64 v5, v5, |v1|, s7
	s_branch .LBB47_3
.LBB47_12:
	s_mov_b32 s3, -1
                                        ; implicit-def: $vgpr2_vgpr3_vgpr4_vgpr5
.LBB47_13:
	s_delay_alu instid0(SALU_CYCLE_1)
	s_and_not1_b32 vcc_lo, exec_lo, s3
	s_cbranch_vccnz .LBB47_19
.LBB47_14:
	v_min_i64 v[8:9], 0x10000, s[8:9]
	v_dual_mov_b32 v3, 0 :: v_dual_lshlrev_b32 v2, 2, v0
	s_mov_b32 s9, 0
	s_delay_alu instid0(VALU_DEP_1) | instskip(NEXT) | instid1(VALU_DEP_2)
	v_dual_mov_b32 v5, v3 :: v_dual_mov_b32 v4, v3
	v_cmp_lt_i64_e32 vcc_lo, v[2:3], v[8:9]
	v_mov_b32_e32 v2, v3
	s_and_saveexec_b32 s7, vcc_lo
	s_cbranch_execz .LBB47_18
; %bb.15:
	s_load_b32 s2, s[0:1], 0xd4c
	v_dual_mov_b32 v1, v3 :: v_dual_lshlrev_b32 v2, 5, v0
	v_dual_mov_b32 v5, 0 :: v_dual_mov_b32 v6, 0
	v_mov_b32_e32 v7, 0
	s_delay_alu instid0(VALU_DEP_3) | instskip(NEXT) | instid1(VALU_DEP_4)
	v_add_nc_u64_e32 v[10:11], s[4:5], v[2:3]
	v_mov_b64_e32 v[12:13], v[0:1]
	s_mov_b32 s11, s9
	s_mov_b32 s12, s9
	s_delay_alu instid0(VALU_DEP_2) | instskip(SKIP_2) | instid1(SALU_CYCLE_1)
	v_add_nc_u64_e32 v[10:11], 16, v[10:11]
	s_wait_kmcnt 0x0
	s_and_b32 s8, s2, 0xffff
	s_lshl_b32 s10, s8, 5
.LBB47_16:                              ; =>This Inner Loop Header: Depth=1
	s_clause 0x1
	global_load_b128 v[16:19], v[10:11], off
	global_load_b128 v[20:23], v[10:11], off offset:-16
	v_add_nc_u64_e32 v[12:13], s[8:9], v[12:13]
	s_wait_xcnt 0x0
	v_add_nc_u64_e32 v[10:11], s[10:11], v[10:11]
	s_wait_loadcnt 0x1
	v_cvt_f32_f64_e32 v1, v[18:19]
	v_cvt_f32_f64_e32 v2, v[16:17]
	s_wait_loadcnt 0x0
	v_cvt_f32_f64_e32 v4, v[22:23]
	v_cvt_f32_f64_e32 v14, v[20:21]
	v_lshlrev_b64_e32 v[16:17], 2, v[12:13]
	s_delay_alu instid0(VALU_DEP_1)
	v_cmp_ge_i64_e32 vcc_lo, v[16:17], v[8:9]
	v_cmp_u_f32_e64 s2, v1, v1
	v_cmp_lt_f32_e64 s13, v7, |v1|
	v_cmp_u_f32_e64 s3, v2, v2
	v_cmp_lt_f32_e64 s14, v6, |v2|
	v_cmp_u_f32_e64 s4, v4, v4
	v_cmp_lt_f32_e64 s15, v5, |v4|
	s_or_b32 s2, s2, s13
	v_cmp_u_f32_e64 s5, v14, v14
	v_cmp_lt_f32_e64 s16, v3, |v14|
	v_cndmask_b32_e64 v7, v7, |v1|, s2
	s_or_b32 s2, s3, s14
	s_delay_alu instid0(SALU_CYCLE_1) | instskip(SKIP_1) | instid1(SALU_CYCLE_1)
	v_cndmask_b32_e64 v6, v6, |v2|, s2
	s_or_b32 s2, s4, s15
	v_cndmask_b32_e64 v5, v5, |v4|, s2
	s_or_b32 s2, s5, s16
	s_or_b32 s12, vcc_lo, s12
	v_cndmask_b32_e64 v3, v3, |v14|, s2
	s_and_not1_b32 exec_lo, exec_lo, s12
	s_cbranch_execnz .LBB47_16
; %bb.17:
	s_or_b32 exec_lo, exec_lo, s12
	s_delay_alu instid0(VALU_DEP_1) | instskip(NEXT) | instid1(VALU_DEP_1)
	v_mov_b32_e32 v4, v3
	v_mov_b64_e32 v[2:3], v[4:5]
	v_mov_b64_e32 v[4:5], v[6:7]
.LBB47_18:
	s_or_b32 exec_lo, exec_lo, s7
.LBB47_19:
	s_delay_alu instid0(VALU_DEP_1)
	v_cmp_nge_f32_e32 vcc_lo, 0, v2
	v_mbcnt_lo_u32_b32 v6, -1, 0
	s_barrier_signal -1
	s_barrier_wait -1
	v_cndmask_b32_e32 v1, 0, v2, vcc_lo
	v_cmp_u_f32_e32 vcc_lo, v3, v3
	v_cmp_ne_u32_e64 s3, 31, v6
	s_delay_alu instid0(VALU_DEP_3) | instskip(NEXT) | instid1(VALU_DEP_2)
	v_cmp_lt_f32_e64 s2, v1, v3
	v_add_co_ci_u32_e64 v8, null, 0, v6, s3
	s_mov_b32 s3, exec_lo
	s_or_b32 vcc_lo, vcc_lo, s2
	v_cndmask_b32_e32 v1, v1, v3, vcc_lo
	v_cmp_u_f32_e32 vcc_lo, v4, v4
	s_delay_alu instid0(VALU_DEP_2) | instskip(SKIP_4) | instid1(VALU_DEP_3)
	v_cmp_lt_f32_e64 s2, v1, v4
	s_or_b32 vcc_lo, vcc_lo, s2
	v_cndmask_b32_e32 v2, v1, v4, vcc_lo
	v_cmp_u_f32_e32 vcc_lo, v5, v5
	v_lshl_or_b32 v1, v6, 2, 64
	v_cmp_lt_f32_e64 s2, v2, v5
	s_or_b32 vcc_lo, vcc_lo, s2
	v_cndmask_b32_e32 v3, v2, v5, vcc_lo
	v_cmp_gt_u32_e32 vcc_lo, 24, v6
	ds_bpermute_b32 v4, v1, v3
	v_cndmask_b32_e64 v2, 0, 8, vcc_lo
	s_delay_alu instid0(VALU_DEP_1)
	v_add_lshl_u32 v2, v2, v6, 2
	s_wait_dscnt 0x0
	v_cmp_u_f32_e32 vcc_lo, v4, v4
	v_cmp_lt_f32_e64 s2, v3, v4
	s_or_b32 vcc_lo, vcc_lo, s2
	v_cndmask_b32_e32 v4, v3, v4, vcc_lo
	v_cmp_gt_u32_e32 vcc_lo, 28, v6
	ds_bpermute_b32 v5, v2, v4
	v_cndmask_b32_e64 v3, 0, 4, vcc_lo
	s_delay_alu instid0(VALU_DEP_1)
	v_add_lshl_u32 v3, v3, v6, 2
	s_wait_dscnt 0x0
	v_cmp_u_f32_e32 vcc_lo, v5, v5
	;; [unrolled: 10-line block ×3, first 2 shown]
	v_cmp_lt_f32_e64 s2, v5, v7
	s_or_b32 vcc_lo, vcc_lo, s2
	v_cndmask_b32_e32 v5, v5, v7, vcc_lo
	ds_bpermute_b32 v7, v4, v5
	s_wait_dscnt 0x0
	v_cmp_u_f32_e32 vcc_lo, v7, v7
	v_cmp_lt_f32_e64 s2, v5, v7
	s_or_b32 vcc_lo, vcc_lo, s2
	v_dual_cndmask_b32 v6, v5, v7 :: v_dual_lshlrev_b32 v5, 2, v8
	v_and_b32_e32 v7, 31, v0
	ds_bpermute_b32 v8, v5, v6
	v_cmpx_eq_u32_e32 0, v7
	s_cbranch_execz .LBB47_21
; %bb.20:
	s_wait_dscnt 0x0
	v_cmp_u_f32_e32 vcc_lo, v8, v8
	v_cmp_lt_f32_e64 s2, v6, v8
	v_lshrrev_b32_e32 v9, 3, v0
	s_or_b32 vcc_lo, vcc_lo, s2
	v_cndmask_b32_e32 v6, v6, v8, vcc_lo
	ds_store_b32 v9, v6
.LBB47_21:
	s_or_b32 exec_lo, exec_lo, s3
	s_wait_dscnt 0x0
	s_barrier_signal -1
	s_barrier_wait -1
	s_load_b32 s2, s[0:1], 0xd4c
	v_mov_b32_e32 v6, 0xff7fffff
	s_wait_kmcnt 0x0
	s_bfe_u32 s2, s2, 0xb0005
	s_delay_alu instid0(SALU_CYCLE_1)
	v_cmp_gt_u32_e32 vcc_lo, s2, v0
	s_and_saveexec_b32 s2, vcc_lo
; %bb.22:
	v_lshlrev_b32_e32 v6, 2, v7
	ds_load_b32 v6, v6
; %bb.23:
	s_or_b32 exec_lo, exec_lo, s2
	s_delay_alu instid0(SALU_CYCLE_1)
	s_mov_b32 s3, exec_lo
	v_cmpx_gt_u32_e32 32, v0
	s_cbranch_execz .LBB47_25
; %bb.24:
	s_wait_dscnt 0x0
	ds_bpermute_b32 v1, v1, v6
	s_wait_dscnt 0x0
	v_cmp_u_f32_e32 vcc_lo, v1, v1
	v_cmp_lt_f32_e64 s2, v6, v1
	s_or_b32 vcc_lo, vcc_lo, s2
	v_cndmask_b32_e32 v1, v6, v1, vcc_lo
	ds_bpermute_b32 v2, v2, v1
	s_wait_dscnt 0x0
	v_cmp_u_f32_e32 vcc_lo, v2, v2
	v_cmp_lt_f32_e64 s2, v1, v2
	s_or_b32 vcc_lo, vcc_lo, s2
	v_cndmask_b32_e32 v1, v1, v2, vcc_lo
	;; [unrolled: 6-line block ×5, first 2 shown]
.LBB47_25:
	s_or_b32 exec_lo, exec_lo, s3
	s_delay_alu instid0(SALU_CYCLE_1)
	s_mov_b32 s2, exec_lo
	v_cmpx_eq_u32_e32 0, v0
	s_cbranch_execz .LBB47_27
; %bb.26:
	s_clause 0x1
	s_load_b32 s2, s[0:1], 0xd20
	s_load_b96 s[8:10], s[0:1], 0xd30
	v_and_b32_e32 v0, 0xff, v15
	s_wait_kmcnt 0x0
	s_delay_alu instid0(VALU_DEP_1) | instskip(NEXT) | instid1(VALU_DEP_1)
	v_add_nc_u32_e32 v0, s2, v0
	v_mul_lo_u32 v0, v0, s10
	s_delay_alu instid0(VALU_DEP_1)
	v_add_nc_u32_e32 v0, s6, v0
	s_wait_dscnt 0x0
	global_store_b32 v0, v6, s[8:9] scale_offset
.LBB47_27:
	s_endpgm
.LBB47_28:
	v_mov_b32_e32 v2, 0
	s_delay_alu instid0(VALU_DEP_1)
	v_dual_mov_b32 v3, v2 :: v_dual_mov_b32 v4, v2
	v_mov_b32_e32 v5, v2
	s_and_not1_b32 vcc_lo, exec_lo, s3
	s_cbranch_vccz .LBB47_14
	s_branch .LBB47_19
	.section	.rodata,"a",@progbits
	.p2align	6, 0x0
	.amdhsa_kernel _ZN2at6native12_GLOBAL__N_125multi_tensor_apply_kernelINS1_18TensorListMetadataILi1EEENS0_13LpNormFunctorIdLNS0_8NormTypeE3EN3c108BFloat16ELi1ELi1ELi0EEEJPfiEEEvT_T0_DpT1_
		.amdhsa_group_segment_fixed_size 2048
		.amdhsa_private_segment_fixed_size 0
		.amdhsa_kernarg_size 3648
		.amdhsa_user_sgpr_count 2
		.amdhsa_user_sgpr_dispatch_ptr 0
		.amdhsa_user_sgpr_queue_ptr 0
		.amdhsa_user_sgpr_kernarg_segment_ptr 1
		.amdhsa_user_sgpr_dispatch_id 0
		.amdhsa_user_sgpr_kernarg_preload_length 0
		.amdhsa_user_sgpr_kernarg_preload_offset 0
		.amdhsa_user_sgpr_private_segment_size 0
		.amdhsa_wavefront_size32 1
		.amdhsa_uses_dynamic_stack 0
		.amdhsa_enable_private_segment 0
		.amdhsa_system_sgpr_workgroup_id_x 1
		.amdhsa_system_sgpr_workgroup_id_y 0
		.amdhsa_system_sgpr_workgroup_id_z 0
		.amdhsa_system_sgpr_workgroup_info 0
		.amdhsa_system_vgpr_workitem_id 0
		.amdhsa_next_free_vgpr 24
		.amdhsa_next_free_sgpr 17
		.amdhsa_named_barrier_count 0
		.amdhsa_reserve_vcc 1
		.amdhsa_float_round_mode_32 0
		.amdhsa_float_round_mode_16_64 0
		.amdhsa_float_denorm_mode_32 3
		.amdhsa_float_denorm_mode_16_64 3
		.amdhsa_fp16_overflow 0
		.amdhsa_memory_ordered 1
		.amdhsa_forward_progress 1
		.amdhsa_inst_pref_size 15
		.amdhsa_round_robin_scheduling 0
		.amdhsa_exception_fp_ieee_invalid_op 0
		.amdhsa_exception_fp_denorm_src 0
		.amdhsa_exception_fp_ieee_div_zero 0
		.amdhsa_exception_fp_ieee_overflow 0
		.amdhsa_exception_fp_ieee_underflow 0
		.amdhsa_exception_fp_ieee_inexact 0
		.amdhsa_exception_int_div_zero 0
	.end_amdhsa_kernel
	.section	.text._ZN2at6native12_GLOBAL__N_125multi_tensor_apply_kernelINS1_18TensorListMetadataILi1EEENS0_13LpNormFunctorIdLNS0_8NormTypeE3EN3c108BFloat16ELi1ELi1ELi0EEEJPfiEEEvT_T0_DpT1_,"axG",@progbits,_ZN2at6native12_GLOBAL__N_125multi_tensor_apply_kernelINS1_18TensorListMetadataILi1EEENS0_13LpNormFunctorIdLNS0_8NormTypeE3EN3c108BFloat16ELi1ELi1ELi0EEEJPfiEEEvT_T0_DpT1_,comdat
.Lfunc_end47:
	.size	_ZN2at6native12_GLOBAL__N_125multi_tensor_apply_kernelINS1_18TensorListMetadataILi1EEENS0_13LpNormFunctorIdLNS0_8NormTypeE3EN3c108BFloat16ELi1ELi1ELi0EEEJPfiEEEvT_T0_DpT1_, .Lfunc_end47-_ZN2at6native12_GLOBAL__N_125multi_tensor_apply_kernelINS1_18TensorListMetadataILi1EEENS0_13LpNormFunctorIdLNS0_8NormTypeE3EN3c108BFloat16ELi1ELi1ELi0EEEJPfiEEEvT_T0_DpT1_
                                        ; -- End function
	.set _ZN2at6native12_GLOBAL__N_125multi_tensor_apply_kernelINS1_18TensorListMetadataILi1EEENS0_13LpNormFunctorIdLNS0_8NormTypeE3EN3c108BFloat16ELi1ELi1ELi0EEEJPfiEEEvT_T0_DpT1_.num_vgpr, 24
	.set _ZN2at6native12_GLOBAL__N_125multi_tensor_apply_kernelINS1_18TensorListMetadataILi1EEENS0_13LpNormFunctorIdLNS0_8NormTypeE3EN3c108BFloat16ELi1ELi1ELi0EEEJPfiEEEvT_T0_DpT1_.num_agpr, 0
	.set _ZN2at6native12_GLOBAL__N_125multi_tensor_apply_kernelINS1_18TensorListMetadataILi1EEENS0_13LpNormFunctorIdLNS0_8NormTypeE3EN3c108BFloat16ELi1ELi1ELi0EEEJPfiEEEvT_T0_DpT1_.numbered_sgpr, 17
	.set _ZN2at6native12_GLOBAL__N_125multi_tensor_apply_kernelINS1_18TensorListMetadataILi1EEENS0_13LpNormFunctorIdLNS0_8NormTypeE3EN3c108BFloat16ELi1ELi1ELi0EEEJPfiEEEvT_T0_DpT1_.num_named_barrier, 0
	.set _ZN2at6native12_GLOBAL__N_125multi_tensor_apply_kernelINS1_18TensorListMetadataILi1EEENS0_13LpNormFunctorIdLNS0_8NormTypeE3EN3c108BFloat16ELi1ELi1ELi0EEEJPfiEEEvT_T0_DpT1_.private_seg_size, 0
	.set _ZN2at6native12_GLOBAL__N_125multi_tensor_apply_kernelINS1_18TensorListMetadataILi1EEENS0_13LpNormFunctorIdLNS0_8NormTypeE3EN3c108BFloat16ELi1ELi1ELi0EEEJPfiEEEvT_T0_DpT1_.uses_vcc, 1
	.set _ZN2at6native12_GLOBAL__N_125multi_tensor_apply_kernelINS1_18TensorListMetadataILi1EEENS0_13LpNormFunctorIdLNS0_8NormTypeE3EN3c108BFloat16ELi1ELi1ELi0EEEJPfiEEEvT_T0_DpT1_.uses_flat_scratch, 0
	.set _ZN2at6native12_GLOBAL__N_125multi_tensor_apply_kernelINS1_18TensorListMetadataILi1EEENS0_13LpNormFunctorIdLNS0_8NormTypeE3EN3c108BFloat16ELi1ELi1ELi0EEEJPfiEEEvT_T0_DpT1_.has_dyn_sized_stack, 0
	.set _ZN2at6native12_GLOBAL__N_125multi_tensor_apply_kernelINS1_18TensorListMetadataILi1EEENS0_13LpNormFunctorIdLNS0_8NormTypeE3EN3c108BFloat16ELi1ELi1ELi0EEEJPfiEEEvT_T0_DpT1_.has_recursion, 0
	.set _ZN2at6native12_GLOBAL__N_125multi_tensor_apply_kernelINS1_18TensorListMetadataILi1EEENS0_13LpNormFunctorIdLNS0_8NormTypeE3EN3c108BFloat16ELi1ELi1ELi0EEEJPfiEEEvT_T0_DpT1_.has_indirect_call, 0
	.section	.AMDGPU.csdata,"",@progbits
; Kernel info:
; codeLenInByte = 1828
; TotalNumSgprs: 19
; NumVgprs: 24
; ScratchSize: 0
; MemoryBound: 0
; FloatMode: 240
; IeeeMode: 1
; LDSByteSize: 2048 bytes/workgroup (compile time only)
; SGPRBlocks: 0
; VGPRBlocks: 1
; NumSGPRsForWavesPerEU: 19
; NumVGPRsForWavesPerEU: 24
; NamedBarCnt: 0
; Occupancy: 16
; WaveLimiterHint : 0
; COMPUTE_PGM_RSRC2:SCRATCH_EN: 0
; COMPUTE_PGM_RSRC2:USER_SGPR: 2
; COMPUTE_PGM_RSRC2:TRAP_HANDLER: 0
; COMPUTE_PGM_RSRC2:TGID_X_EN: 1
; COMPUTE_PGM_RSRC2:TGID_Y_EN: 0
; COMPUTE_PGM_RSRC2:TGID_Z_EN: 0
; COMPUTE_PGM_RSRC2:TIDIG_COMP_CNT: 0
	.section	.text._ZN2at6native14lpnorm_cleanupIdLNS0_8NormTypeE0EN3c108BFloat16ELb1EfEEvPKT3_NS0_19TensorListAddressesEi,"axG",@progbits,_ZN2at6native14lpnorm_cleanupIdLNS0_8NormTypeE0EN3c108BFloat16ELb1EfEEvPKT3_NS0_19TensorListAddressesEi,comdat
	.protected	_ZN2at6native14lpnorm_cleanupIdLNS0_8NormTypeE0EN3c108BFloat16ELb1EfEEvPKT3_NS0_19TensorListAddressesEi ; -- Begin function _ZN2at6native14lpnorm_cleanupIdLNS0_8NormTypeE0EN3c108BFloat16ELb1EfEEvPKT3_NS0_19TensorListAddressesEi
	.globl	_ZN2at6native14lpnorm_cleanupIdLNS0_8NormTypeE0EN3c108BFloat16ELb1EfEEvPKT3_NS0_19TensorListAddressesEi
	.p2align	8
	.type	_ZN2at6native14lpnorm_cleanupIdLNS0_8NormTypeE0EN3c108BFloat16ELb1EfEEvPKT3_NS0_19TensorListAddressesEi,@function
_ZN2at6native14lpnorm_cleanupIdLNS0_8NormTypeE0EN3c108BFloat16ELb1EfEEvPKT3_NS0_19TensorListAddressesEi: ; @_ZN2at6native14lpnorm_cleanupIdLNS0_8NormTypeE0EN3c108BFloat16ELb1EfEEvPKT3_NS0_19TensorListAddressesEi
; %bb.0:
	s_load_b32 s2, s[0:1], 0xc88
	s_bfe_u32 s3, ttmp6, 0x4000c
	s_and_b32 s4, ttmp6, 15
	s_add_co_i32 s3, s3, 1
	s_getreg_b32 s5, hwreg(HW_REG_IB_STS2, 6, 4)
	s_mul_i32 s3, ttmp9, s3
	v_mov_b32_e32 v1, 0
	s_add_co_i32 s4, s4, s3
	s_cmp_eq_u32 s5, 0
	s_mov_b32 s5, 0
	s_cselect_b32 s8, ttmp9, s4
	s_mov_b32 s9, exec_lo
	s_wait_kmcnt 0x0
	v_cmpx_gt_u32_e64 s2, v0
	s_cbranch_execz .LBB48_4
; %bb.1:
	s_clause 0x1
	s_load_b64 s[6:7], s[0:1], 0x0
	s_load_b32 s4, s[0:1], 0xc9c
	v_dual_mov_b32 v1, 0 :: v_dual_lshlrev_b32 v2, 2, v0
	s_mul_i32 s10, s2, s8
	s_mov_b32 s11, s5
	s_ashr_i32 s3, s2, 31
	s_delay_alu instid0(VALU_DEP_1)
	v_mov_b32_e32 v3, v1
	s_lshl_b64 s[10:11], s[10:11], 2
	v_mov_b64_e32 v[4:5], v[0:1]
	s_wait_kmcnt 0x0
	s_add_nc_u64 s[6:7], s[6:7], s[10:11]
	s_and_b32 s4, s4, 0xffff
	v_add_nc_u64_e32 v[2:3], s[6:7], v[2:3]
	s_lshl_b32 s6, s4, 2
	s_mov_b32 s7, s5
	s_mov_b32 s10, s5
.LBB48_2:                               ; =>This Inner Loop Header: Depth=1
	global_load_b32 v6, v[2:3], off
	v_add_nc_u64_e32 v[4:5], s[4:5], v[4:5]
	s_wait_xcnt 0x0
	v_add_nc_u64_e32 v[2:3], s[6:7], v[2:3]
	s_delay_alu instid0(VALU_DEP_2)
	v_cmp_le_u64_e32 vcc_lo, s[2:3], v[4:5]
	s_or_b32 s10, vcc_lo, s10
	s_wait_loadcnt 0x0
	v_add_f32_e32 v1, v1, v6
	s_and_not1_b32 exec_lo, exec_lo, s10
	s_cbranch_execnz .LBB48_2
; %bb.3:
	s_or_b32 exec_lo, exec_lo, s10
.LBB48_4:
	s_delay_alu instid0(SALU_CYCLE_1) | instskip(SKIP_4) | instid1(VALU_DEP_1)
	s_or_b32 exec_lo, exec_lo, s9
	v_mbcnt_lo_u32_b32 v5, -1, 0
	s_mov_b32 s2, exec_lo
	s_barrier_signal -1
	s_barrier_wait -1
	v_lshl_or_b32 v2, v5, 2, 64
	v_cmp_gt_u32_e32 vcc_lo, 24, v5
	ds_bpermute_b32 v4, v2, v1
	v_cndmask_b32_e64 v3, 0, 8, vcc_lo
	v_cmp_gt_u32_e32 vcc_lo, 28, v5
	s_delay_alu instid0(VALU_DEP_2)
	v_add_lshl_u32 v3, v3, v5, 2
	s_wait_dscnt 0x0
	v_add_f32_e32 v4, v1, v4
	v_cndmask_b32_e64 v1, 0, 4, vcc_lo
	v_cmp_gt_u32_e32 vcc_lo, 30, v5
	ds_bpermute_b32 v6, v3, v4
	v_add_lshl_u32 v1, v1, v5, 2
	s_wait_dscnt 0x0
	v_add_f32_e32 v6, v4, v6
	v_cndmask_b32_e64 v4, 0, 2, vcc_lo
	v_cmp_ne_u32_e32 vcc_lo, 31, v5
	s_delay_alu instid0(VALU_DEP_2) | instskip(SKIP_1) | instid1(VALU_DEP_1)
	v_add_lshl_u32 v4, v4, v5, 2
	v_add_co_ci_u32_e64 v5, null, 0, v5, vcc_lo
	v_lshlrev_b32_e32 v5, 2, v5
	ds_bpermute_b32 v7, v1, v6
	s_wait_dscnt 0x0
	v_add_f32_e32 v6, v6, v7
	ds_bpermute_b32 v7, v4, v6
	s_wait_dscnt 0x0
	v_dual_add_f32 v6, v6, v7 :: v_dual_bitop2_b32 v7, 31, v0 bitop3:0x40
	ds_bpermute_b32 v8, v5, v6
	v_cmpx_eq_u32_e32 0, v7
	s_cbranch_execz .LBB48_6
; %bb.5:
	s_wait_dscnt 0x0
	v_add_f32_e32 v6, v6, v8
	v_lshrrev_b32_e32 v8, 3, v0
	ds_store_b32 v8, v6
.LBB48_6:
	s_or_b32 exec_lo, exec_lo, s2
	s_wait_dscnt 0x0
	s_barrier_signal -1
	s_barrier_wait -1
	s_load_b32 s2, s[0:1], 0xc9c
	v_mov_b32_e32 v6, 0
	s_wait_kmcnt 0x0
	s_bfe_u32 s2, s2, 0xb0005
	s_delay_alu instid0(SALU_CYCLE_1)
	v_cmp_gt_u32_e32 vcc_lo, s2, v0
	s_and_saveexec_b32 s2, vcc_lo
; %bb.7:
	v_lshlrev_b32_e32 v6, 2, v7
	ds_load_b32 v6, v6
; %bb.8:
	s_or_b32 exec_lo, exec_lo, s2
	s_delay_alu instid0(SALU_CYCLE_1)
	s_mov_b32 s2, exec_lo
	v_cmpx_gt_u32_e32 32, v0
	s_cbranch_execz .LBB48_10
; %bb.9:
	s_wait_dscnt 0x0
	ds_bpermute_b32 v2, v2, v6
	s_wait_dscnt 0x0
	v_add_f32_e32 v2, v6, v2
	ds_bpermute_b32 v3, v3, v2
	s_wait_dscnt 0x0
	v_add_f32_e32 v2, v2, v3
	;; [unrolled: 3-line block ×5, first 2 shown]
.LBB48_10:
	s_or_b32 exec_lo, exec_lo, s2
	s_delay_alu instid0(SALU_CYCLE_1)
	s_mov_b32 s2, exec_lo
	v_cmpx_eq_u32_e32 0, v0
	s_cbranch_execz .LBB48_12
; %bb.11:
	s_wait_dscnt 0x0
	v_bfe_u32 v0, v6, 16, 1
	s_load_b64 s[0:1], s[0:1], s8 offset:0x8 scale_offset
	v_cmp_o_f32_e32 vcc_lo, v6, v6
	v_mov_b32_e32 v1, 0
	s_delay_alu instid0(VALU_DEP_3) | instskip(NEXT) | instid1(VALU_DEP_1)
	v_add3_u32 v0, v6, v0, 0x7fff
	v_lshrrev_b32_e32 v0, 16, v0
	s_delay_alu instid0(VALU_DEP_1)
	v_cndmask_b32_e32 v0, 0x7fc0, v0, vcc_lo
	s_wait_kmcnt 0x0
	global_store_b16 v1, v0, s[0:1]
.LBB48_12:
	s_endpgm
	.section	.rodata,"a",@progbits
	.p2align	6, 0x0
	.amdhsa_kernel _ZN2at6native14lpnorm_cleanupIdLNS0_8NormTypeE0EN3c108BFloat16ELb1EfEEvPKT3_NS0_19TensorListAddressesEi
		.amdhsa_group_segment_fixed_size 2048
		.amdhsa_private_segment_fixed_size 0
		.amdhsa_kernarg_size 3472
		.amdhsa_user_sgpr_count 2
		.amdhsa_user_sgpr_dispatch_ptr 0
		.amdhsa_user_sgpr_queue_ptr 0
		.amdhsa_user_sgpr_kernarg_segment_ptr 1
		.amdhsa_user_sgpr_dispatch_id 0
		.amdhsa_user_sgpr_kernarg_preload_length 0
		.amdhsa_user_sgpr_kernarg_preload_offset 0
		.amdhsa_user_sgpr_private_segment_size 0
		.amdhsa_wavefront_size32 1
		.amdhsa_uses_dynamic_stack 0
		.amdhsa_enable_private_segment 0
		.amdhsa_system_sgpr_workgroup_id_x 1
		.amdhsa_system_sgpr_workgroup_id_y 0
		.amdhsa_system_sgpr_workgroup_id_z 0
		.amdhsa_system_sgpr_workgroup_info 0
		.amdhsa_system_vgpr_workitem_id 0
		.amdhsa_next_free_vgpr 9
		.amdhsa_next_free_sgpr 12
		.amdhsa_named_barrier_count 0
		.amdhsa_reserve_vcc 1
		.amdhsa_float_round_mode_32 0
		.amdhsa_float_round_mode_16_64 0
		.amdhsa_float_denorm_mode_32 3
		.amdhsa_float_denorm_mode_16_64 3
		.amdhsa_fp16_overflow 0
		.amdhsa_memory_ordered 1
		.amdhsa_forward_progress 1
		.amdhsa_inst_pref_size 6
		.amdhsa_round_robin_scheduling 0
		.amdhsa_exception_fp_ieee_invalid_op 0
		.amdhsa_exception_fp_denorm_src 0
		.amdhsa_exception_fp_ieee_div_zero 0
		.amdhsa_exception_fp_ieee_overflow 0
		.amdhsa_exception_fp_ieee_underflow 0
		.amdhsa_exception_fp_ieee_inexact 0
		.amdhsa_exception_int_div_zero 0
	.end_amdhsa_kernel
	.section	.text._ZN2at6native14lpnorm_cleanupIdLNS0_8NormTypeE0EN3c108BFloat16ELb1EfEEvPKT3_NS0_19TensorListAddressesEi,"axG",@progbits,_ZN2at6native14lpnorm_cleanupIdLNS0_8NormTypeE0EN3c108BFloat16ELb1EfEEvPKT3_NS0_19TensorListAddressesEi,comdat
.Lfunc_end48:
	.size	_ZN2at6native14lpnorm_cleanupIdLNS0_8NormTypeE0EN3c108BFloat16ELb1EfEEvPKT3_NS0_19TensorListAddressesEi, .Lfunc_end48-_ZN2at6native14lpnorm_cleanupIdLNS0_8NormTypeE0EN3c108BFloat16ELb1EfEEvPKT3_NS0_19TensorListAddressesEi
                                        ; -- End function
	.set _ZN2at6native14lpnorm_cleanupIdLNS0_8NormTypeE0EN3c108BFloat16ELb1EfEEvPKT3_NS0_19TensorListAddressesEi.num_vgpr, 9
	.set _ZN2at6native14lpnorm_cleanupIdLNS0_8NormTypeE0EN3c108BFloat16ELb1EfEEvPKT3_NS0_19TensorListAddressesEi.num_agpr, 0
	.set _ZN2at6native14lpnorm_cleanupIdLNS0_8NormTypeE0EN3c108BFloat16ELb1EfEEvPKT3_NS0_19TensorListAddressesEi.numbered_sgpr, 12
	.set _ZN2at6native14lpnorm_cleanupIdLNS0_8NormTypeE0EN3c108BFloat16ELb1EfEEvPKT3_NS0_19TensorListAddressesEi.num_named_barrier, 0
	.set _ZN2at6native14lpnorm_cleanupIdLNS0_8NormTypeE0EN3c108BFloat16ELb1EfEEvPKT3_NS0_19TensorListAddressesEi.private_seg_size, 0
	.set _ZN2at6native14lpnorm_cleanupIdLNS0_8NormTypeE0EN3c108BFloat16ELb1EfEEvPKT3_NS0_19TensorListAddressesEi.uses_vcc, 1
	.set _ZN2at6native14lpnorm_cleanupIdLNS0_8NormTypeE0EN3c108BFloat16ELb1EfEEvPKT3_NS0_19TensorListAddressesEi.uses_flat_scratch, 0
	.set _ZN2at6native14lpnorm_cleanupIdLNS0_8NormTypeE0EN3c108BFloat16ELb1EfEEvPKT3_NS0_19TensorListAddressesEi.has_dyn_sized_stack, 0
	.set _ZN2at6native14lpnorm_cleanupIdLNS0_8NormTypeE0EN3c108BFloat16ELb1EfEEvPKT3_NS0_19TensorListAddressesEi.has_recursion, 0
	.set _ZN2at6native14lpnorm_cleanupIdLNS0_8NormTypeE0EN3c108BFloat16ELb1EfEEvPKT3_NS0_19TensorListAddressesEi.has_indirect_call, 0
	.section	.AMDGPU.csdata,"",@progbits
; Kernel info:
; codeLenInByte = 712
; TotalNumSgprs: 14
; NumVgprs: 9
; ScratchSize: 0
; MemoryBound: 0
; FloatMode: 240
; IeeeMode: 1
; LDSByteSize: 2048 bytes/workgroup (compile time only)
; SGPRBlocks: 0
; VGPRBlocks: 0
; NumSGPRsForWavesPerEU: 14
; NumVGPRsForWavesPerEU: 9
; NamedBarCnt: 0
; Occupancy: 16
; WaveLimiterHint : 0
; COMPUTE_PGM_RSRC2:SCRATCH_EN: 0
; COMPUTE_PGM_RSRC2:USER_SGPR: 2
; COMPUTE_PGM_RSRC2:TRAP_HANDLER: 0
; COMPUTE_PGM_RSRC2:TGID_X_EN: 1
; COMPUTE_PGM_RSRC2:TGID_Y_EN: 0
; COMPUTE_PGM_RSRC2:TGID_Z_EN: 0
; COMPUTE_PGM_RSRC2:TIDIG_COMP_CNT: 0
	.section	.text._ZN2at6native14lpnorm_cleanupIdLNS0_8NormTypeE1EN3c108BFloat16ELb1EfEEvPKT3_NS0_19TensorListAddressesEi,"axG",@progbits,_ZN2at6native14lpnorm_cleanupIdLNS0_8NormTypeE1EN3c108BFloat16ELb1EfEEvPKT3_NS0_19TensorListAddressesEi,comdat
	.protected	_ZN2at6native14lpnorm_cleanupIdLNS0_8NormTypeE1EN3c108BFloat16ELb1EfEEvPKT3_NS0_19TensorListAddressesEi ; -- Begin function _ZN2at6native14lpnorm_cleanupIdLNS0_8NormTypeE1EN3c108BFloat16ELb1EfEEvPKT3_NS0_19TensorListAddressesEi
	.globl	_ZN2at6native14lpnorm_cleanupIdLNS0_8NormTypeE1EN3c108BFloat16ELb1EfEEvPKT3_NS0_19TensorListAddressesEi
	.p2align	8
	.type	_ZN2at6native14lpnorm_cleanupIdLNS0_8NormTypeE1EN3c108BFloat16ELb1EfEEvPKT3_NS0_19TensorListAddressesEi,@function
_ZN2at6native14lpnorm_cleanupIdLNS0_8NormTypeE1EN3c108BFloat16ELb1EfEEvPKT3_NS0_19TensorListAddressesEi: ; @_ZN2at6native14lpnorm_cleanupIdLNS0_8NormTypeE1EN3c108BFloat16ELb1EfEEvPKT3_NS0_19TensorListAddressesEi
; %bb.0:
	s_load_b32 s2, s[0:1], 0xc88
	s_bfe_u32 s3, ttmp6, 0x4000c
	s_and_b32 s4, ttmp6, 15
	s_add_co_i32 s3, s3, 1
	s_getreg_b32 s5, hwreg(HW_REG_IB_STS2, 6, 4)
	s_mul_i32 s3, ttmp9, s3
	v_mov_b32_e32 v1, 0
	s_add_co_i32 s4, s4, s3
	s_cmp_eq_u32 s5, 0
	s_mov_b32 s5, 0
	s_cselect_b32 s8, ttmp9, s4
	s_mov_b32 s9, exec_lo
	s_wait_kmcnt 0x0
	v_cmpx_gt_u32_e64 s2, v0
	s_cbranch_execz .LBB49_4
; %bb.1:
	s_clause 0x1
	s_load_b64 s[6:7], s[0:1], 0x0
	s_load_b32 s4, s[0:1], 0xc9c
	v_dual_mov_b32 v1, 0 :: v_dual_lshlrev_b32 v2, 2, v0
	s_mul_i32 s10, s2, s8
	s_mov_b32 s11, s5
	s_ashr_i32 s3, s2, 31
	s_delay_alu instid0(VALU_DEP_1)
	v_mov_b32_e32 v3, v1
	s_lshl_b64 s[10:11], s[10:11], 2
	v_mov_b64_e32 v[4:5], v[0:1]
	s_wait_kmcnt 0x0
	s_add_nc_u64 s[6:7], s[6:7], s[10:11]
	s_and_b32 s4, s4, 0xffff
	v_add_nc_u64_e32 v[2:3], s[6:7], v[2:3]
	s_lshl_b32 s6, s4, 2
	s_mov_b32 s7, s5
	s_mov_b32 s10, s5
.LBB49_2:                               ; =>This Inner Loop Header: Depth=1
	global_load_b32 v6, v[2:3], off
	v_add_nc_u64_e32 v[4:5], s[4:5], v[4:5]
	s_wait_xcnt 0x0
	v_add_nc_u64_e32 v[2:3], s[6:7], v[2:3]
	s_delay_alu instid0(VALU_DEP_2)
	v_cmp_le_u64_e32 vcc_lo, s[2:3], v[4:5]
	s_or_b32 s10, vcc_lo, s10
	s_wait_loadcnt 0x0
	v_add_f32_e32 v1, v1, v6
	s_and_not1_b32 exec_lo, exec_lo, s10
	s_cbranch_execnz .LBB49_2
; %bb.3:
	s_or_b32 exec_lo, exec_lo, s10
.LBB49_4:
	s_delay_alu instid0(SALU_CYCLE_1) | instskip(SKIP_4) | instid1(VALU_DEP_1)
	s_or_b32 exec_lo, exec_lo, s9
	v_mbcnt_lo_u32_b32 v5, -1, 0
	s_mov_b32 s2, exec_lo
	s_barrier_signal -1
	s_barrier_wait -1
	v_lshl_or_b32 v2, v5, 2, 64
	v_cmp_gt_u32_e32 vcc_lo, 24, v5
	ds_bpermute_b32 v4, v2, v1
	v_cndmask_b32_e64 v3, 0, 8, vcc_lo
	v_cmp_gt_u32_e32 vcc_lo, 28, v5
	s_delay_alu instid0(VALU_DEP_2)
	v_add_lshl_u32 v3, v3, v5, 2
	s_wait_dscnt 0x0
	v_add_f32_e32 v4, v1, v4
	v_cndmask_b32_e64 v1, 0, 4, vcc_lo
	v_cmp_gt_u32_e32 vcc_lo, 30, v5
	ds_bpermute_b32 v6, v3, v4
	v_add_lshl_u32 v1, v1, v5, 2
	s_wait_dscnt 0x0
	v_add_f32_e32 v6, v4, v6
	v_cndmask_b32_e64 v4, 0, 2, vcc_lo
	v_cmp_ne_u32_e32 vcc_lo, 31, v5
	s_delay_alu instid0(VALU_DEP_2) | instskip(SKIP_1) | instid1(VALU_DEP_1)
	v_add_lshl_u32 v4, v4, v5, 2
	v_add_co_ci_u32_e64 v5, null, 0, v5, vcc_lo
	v_lshlrev_b32_e32 v5, 2, v5
	ds_bpermute_b32 v7, v1, v6
	s_wait_dscnt 0x0
	v_add_f32_e32 v6, v6, v7
	ds_bpermute_b32 v7, v4, v6
	s_wait_dscnt 0x0
	v_dual_add_f32 v6, v6, v7 :: v_dual_bitop2_b32 v7, 31, v0 bitop3:0x40
	ds_bpermute_b32 v8, v5, v6
	v_cmpx_eq_u32_e32 0, v7
	s_cbranch_execz .LBB49_6
; %bb.5:
	s_wait_dscnt 0x0
	v_add_f32_e32 v6, v6, v8
	v_lshrrev_b32_e32 v8, 3, v0
	ds_store_b32 v8, v6
.LBB49_6:
	s_or_b32 exec_lo, exec_lo, s2
	s_wait_dscnt 0x0
	s_barrier_signal -1
	s_barrier_wait -1
	s_load_b32 s2, s[0:1], 0xc9c
	v_mov_b32_e32 v6, 0
	s_wait_kmcnt 0x0
	s_bfe_u32 s2, s2, 0xb0005
	s_delay_alu instid0(SALU_CYCLE_1)
	v_cmp_gt_u32_e32 vcc_lo, s2, v0
	s_and_saveexec_b32 s2, vcc_lo
; %bb.7:
	v_lshlrev_b32_e32 v6, 2, v7
	ds_load_b32 v6, v6
; %bb.8:
	s_or_b32 exec_lo, exec_lo, s2
	s_delay_alu instid0(SALU_CYCLE_1)
	s_mov_b32 s2, exec_lo
	v_cmpx_gt_u32_e32 32, v0
	s_cbranch_execz .LBB49_10
; %bb.9:
	s_wait_dscnt 0x0
	ds_bpermute_b32 v2, v2, v6
	s_wait_dscnt 0x0
	v_add_f32_e32 v2, v6, v2
	ds_bpermute_b32 v3, v3, v2
	s_wait_dscnt 0x0
	v_add_f32_e32 v2, v2, v3
	ds_bpermute_b32 v1, v1, v2
	s_wait_dscnt 0x0
	v_add_f32_e32 v1, v2, v1
	ds_bpermute_b32 v2, v4, v1
	s_wait_dscnt 0x0
	v_add_f32_e32 v1, v1, v2
	ds_bpermute_b32 v2, v5, v1
	s_wait_dscnt 0x0
	v_add_f32_e32 v6, v1, v2
.LBB49_10:
	s_or_b32 exec_lo, exec_lo, s2
	s_delay_alu instid0(SALU_CYCLE_1)
	s_mov_b32 s2, exec_lo
	v_cmpx_eq_u32_e32 0, v0
	s_cbranch_execz .LBB49_12
; %bb.11:
	s_wait_dscnt 0x0
	v_bfe_u32 v0, v6, 16, 1
	s_load_b64 s[0:1], s[0:1], s8 offset:0x8 scale_offset
	v_cmp_o_f32_e32 vcc_lo, v6, v6
	v_mov_b32_e32 v1, 0
	s_delay_alu instid0(VALU_DEP_3) | instskip(NEXT) | instid1(VALU_DEP_1)
	v_add3_u32 v0, v6, v0, 0x7fff
	v_lshrrev_b32_e32 v0, 16, v0
	s_delay_alu instid0(VALU_DEP_1)
	v_cndmask_b32_e32 v0, 0x7fc0, v0, vcc_lo
	s_wait_kmcnt 0x0
	global_store_b16 v1, v0, s[0:1]
.LBB49_12:
	s_endpgm
	.section	.rodata,"a",@progbits
	.p2align	6, 0x0
	.amdhsa_kernel _ZN2at6native14lpnorm_cleanupIdLNS0_8NormTypeE1EN3c108BFloat16ELb1EfEEvPKT3_NS0_19TensorListAddressesEi
		.amdhsa_group_segment_fixed_size 2048
		.amdhsa_private_segment_fixed_size 0
		.amdhsa_kernarg_size 3472
		.amdhsa_user_sgpr_count 2
		.amdhsa_user_sgpr_dispatch_ptr 0
		.amdhsa_user_sgpr_queue_ptr 0
		.amdhsa_user_sgpr_kernarg_segment_ptr 1
		.amdhsa_user_sgpr_dispatch_id 0
		.amdhsa_user_sgpr_kernarg_preload_length 0
		.amdhsa_user_sgpr_kernarg_preload_offset 0
		.amdhsa_user_sgpr_private_segment_size 0
		.amdhsa_wavefront_size32 1
		.amdhsa_uses_dynamic_stack 0
		.amdhsa_enable_private_segment 0
		.amdhsa_system_sgpr_workgroup_id_x 1
		.amdhsa_system_sgpr_workgroup_id_y 0
		.amdhsa_system_sgpr_workgroup_id_z 0
		.amdhsa_system_sgpr_workgroup_info 0
		.amdhsa_system_vgpr_workitem_id 0
		.amdhsa_next_free_vgpr 9
		.amdhsa_next_free_sgpr 12
		.amdhsa_named_barrier_count 0
		.amdhsa_reserve_vcc 1
		.amdhsa_float_round_mode_32 0
		.amdhsa_float_round_mode_16_64 0
		.amdhsa_float_denorm_mode_32 3
		.amdhsa_float_denorm_mode_16_64 3
		.amdhsa_fp16_overflow 0
		.amdhsa_memory_ordered 1
		.amdhsa_forward_progress 1
		.amdhsa_inst_pref_size 6
		.amdhsa_round_robin_scheduling 0
		.amdhsa_exception_fp_ieee_invalid_op 0
		.amdhsa_exception_fp_denorm_src 0
		.amdhsa_exception_fp_ieee_div_zero 0
		.amdhsa_exception_fp_ieee_overflow 0
		.amdhsa_exception_fp_ieee_underflow 0
		.amdhsa_exception_fp_ieee_inexact 0
		.amdhsa_exception_int_div_zero 0
	.end_amdhsa_kernel
	.section	.text._ZN2at6native14lpnorm_cleanupIdLNS0_8NormTypeE1EN3c108BFloat16ELb1EfEEvPKT3_NS0_19TensorListAddressesEi,"axG",@progbits,_ZN2at6native14lpnorm_cleanupIdLNS0_8NormTypeE1EN3c108BFloat16ELb1EfEEvPKT3_NS0_19TensorListAddressesEi,comdat
.Lfunc_end49:
	.size	_ZN2at6native14lpnorm_cleanupIdLNS0_8NormTypeE1EN3c108BFloat16ELb1EfEEvPKT3_NS0_19TensorListAddressesEi, .Lfunc_end49-_ZN2at6native14lpnorm_cleanupIdLNS0_8NormTypeE1EN3c108BFloat16ELb1EfEEvPKT3_NS0_19TensorListAddressesEi
                                        ; -- End function
	.set _ZN2at6native14lpnorm_cleanupIdLNS0_8NormTypeE1EN3c108BFloat16ELb1EfEEvPKT3_NS0_19TensorListAddressesEi.num_vgpr, 9
	.set _ZN2at6native14lpnorm_cleanupIdLNS0_8NormTypeE1EN3c108BFloat16ELb1EfEEvPKT3_NS0_19TensorListAddressesEi.num_agpr, 0
	.set _ZN2at6native14lpnorm_cleanupIdLNS0_8NormTypeE1EN3c108BFloat16ELb1EfEEvPKT3_NS0_19TensorListAddressesEi.numbered_sgpr, 12
	.set _ZN2at6native14lpnorm_cleanupIdLNS0_8NormTypeE1EN3c108BFloat16ELb1EfEEvPKT3_NS0_19TensorListAddressesEi.num_named_barrier, 0
	.set _ZN2at6native14lpnorm_cleanupIdLNS0_8NormTypeE1EN3c108BFloat16ELb1EfEEvPKT3_NS0_19TensorListAddressesEi.private_seg_size, 0
	.set _ZN2at6native14lpnorm_cleanupIdLNS0_8NormTypeE1EN3c108BFloat16ELb1EfEEvPKT3_NS0_19TensorListAddressesEi.uses_vcc, 1
	.set _ZN2at6native14lpnorm_cleanupIdLNS0_8NormTypeE1EN3c108BFloat16ELb1EfEEvPKT3_NS0_19TensorListAddressesEi.uses_flat_scratch, 0
	.set _ZN2at6native14lpnorm_cleanupIdLNS0_8NormTypeE1EN3c108BFloat16ELb1EfEEvPKT3_NS0_19TensorListAddressesEi.has_dyn_sized_stack, 0
	.set _ZN2at6native14lpnorm_cleanupIdLNS0_8NormTypeE1EN3c108BFloat16ELb1EfEEvPKT3_NS0_19TensorListAddressesEi.has_recursion, 0
	.set _ZN2at6native14lpnorm_cleanupIdLNS0_8NormTypeE1EN3c108BFloat16ELb1EfEEvPKT3_NS0_19TensorListAddressesEi.has_indirect_call, 0
	.section	.AMDGPU.csdata,"",@progbits
; Kernel info:
; codeLenInByte = 712
; TotalNumSgprs: 14
; NumVgprs: 9
; ScratchSize: 0
; MemoryBound: 0
; FloatMode: 240
; IeeeMode: 1
; LDSByteSize: 2048 bytes/workgroup (compile time only)
; SGPRBlocks: 0
; VGPRBlocks: 0
; NumSGPRsForWavesPerEU: 14
; NumVGPRsForWavesPerEU: 9
; NamedBarCnt: 0
; Occupancy: 16
; WaveLimiterHint : 0
; COMPUTE_PGM_RSRC2:SCRATCH_EN: 0
; COMPUTE_PGM_RSRC2:USER_SGPR: 2
; COMPUTE_PGM_RSRC2:TRAP_HANDLER: 0
; COMPUTE_PGM_RSRC2:TGID_X_EN: 1
; COMPUTE_PGM_RSRC2:TGID_Y_EN: 0
; COMPUTE_PGM_RSRC2:TGID_Z_EN: 0
; COMPUTE_PGM_RSRC2:TIDIG_COMP_CNT: 0
	.section	.text._ZN2at6native14lpnorm_cleanupIdLNS0_8NormTypeE2EN3c108BFloat16ELb1EfEEvPKT3_NS0_19TensorListAddressesEi,"axG",@progbits,_ZN2at6native14lpnorm_cleanupIdLNS0_8NormTypeE2EN3c108BFloat16ELb1EfEEvPKT3_NS0_19TensorListAddressesEi,comdat
	.protected	_ZN2at6native14lpnorm_cleanupIdLNS0_8NormTypeE2EN3c108BFloat16ELb1EfEEvPKT3_NS0_19TensorListAddressesEi ; -- Begin function _ZN2at6native14lpnorm_cleanupIdLNS0_8NormTypeE2EN3c108BFloat16ELb1EfEEvPKT3_NS0_19TensorListAddressesEi
	.globl	_ZN2at6native14lpnorm_cleanupIdLNS0_8NormTypeE2EN3c108BFloat16ELb1EfEEvPKT3_NS0_19TensorListAddressesEi
	.p2align	8
	.type	_ZN2at6native14lpnorm_cleanupIdLNS0_8NormTypeE2EN3c108BFloat16ELb1EfEEvPKT3_NS0_19TensorListAddressesEi,@function
_ZN2at6native14lpnorm_cleanupIdLNS0_8NormTypeE2EN3c108BFloat16ELb1EfEEvPKT3_NS0_19TensorListAddressesEi: ; @_ZN2at6native14lpnorm_cleanupIdLNS0_8NormTypeE2EN3c108BFloat16ELb1EfEEvPKT3_NS0_19TensorListAddressesEi
; %bb.0:
	s_load_b32 s2, s[0:1], 0xc88
	s_bfe_u32 s3, ttmp6, 0x4000c
	s_and_b32 s4, ttmp6, 15
	s_add_co_i32 s3, s3, 1
	s_getreg_b32 s5, hwreg(HW_REG_IB_STS2, 6, 4)
	s_mul_i32 s3, ttmp9, s3
	v_mov_b32_e32 v1, 0
	s_add_co_i32 s4, s4, s3
	s_cmp_eq_u32 s5, 0
	s_mov_b32 s5, 0
	s_cselect_b32 s8, ttmp9, s4
	s_mov_b32 s9, exec_lo
	s_wait_kmcnt 0x0
	v_cmpx_gt_u32_e64 s2, v0
	s_cbranch_execz .LBB50_4
; %bb.1:
	s_clause 0x1
	s_load_b64 s[6:7], s[0:1], 0x0
	s_load_b32 s4, s[0:1], 0xc9c
	v_dual_mov_b32 v1, 0 :: v_dual_lshlrev_b32 v2, 2, v0
	s_mul_i32 s10, s2, s8
	s_mov_b32 s11, s5
	s_ashr_i32 s3, s2, 31
	s_delay_alu instid0(VALU_DEP_1)
	v_mov_b32_e32 v3, v1
	s_lshl_b64 s[10:11], s[10:11], 2
	v_mov_b64_e32 v[4:5], v[0:1]
	s_wait_kmcnt 0x0
	s_add_nc_u64 s[6:7], s[6:7], s[10:11]
	s_and_b32 s4, s4, 0xffff
	v_add_nc_u64_e32 v[2:3], s[6:7], v[2:3]
	s_lshl_b32 s6, s4, 2
	s_mov_b32 s7, s5
	s_mov_b32 s10, s5
.LBB50_2:                               ; =>This Inner Loop Header: Depth=1
	global_load_b32 v6, v[2:3], off
	v_add_nc_u64_e32 v[4:5], s[4:5], v[4:5]
	s_wait_xcnt 0x0
	v_add_nc_u64_e32 v[2:3], s[6:7], v[2:3]
	s_delay_alu instid0(VALU_DEP_2)
	v_cmp_le_u64_e32 vcc_lo, s[2:3], v[4:5]
	s_or_b32 s10, vcc_lo, s10
	s_wait_loadcnt 0x0
	v_add_f32_e32 v1, v1, v6
	s_and_not1_b32 exec_lo, exec_lo, s10
	s_cbranch_execnz .LBB50_2
; %bb.3:
	s_or_b32 exec_lo, exec_lo, s10
.LBB50_4:
	s_delay_alu instid0(SALU_CYCLE_1) | instskip(SKIP_4) | instid1(VALU_DEP_1)
	s_or_b32 exec_lo, exec_lo, s9
	v_mbcnt_lo_u32_b32 v5, -1, 0
	s_mov_b32 s2, exec_lo
	s_barrier_signal -1
	s_barrier_wait -1
	v_lshl_or_b32 v2, v5, 2, 64
	v_cmp_gt_u32_e32 vcc_lo, 24, v5
	ds_bpermute_b32 v4, v2, v1
	v_cndmask_b32_e64 v3, 0, 8, vcc_lo
	v_cmp_gt_u32_e32 vcc_lo, 28, v5
	s_delay_alu instid0(VALU_DEP_2)
	v_add_lshl_u32 v3, v3, v5, 2
	s_wait_dscnt 0x0
	v_add_f32_e32 v4, v1, v4
	v_cndmask_b32_e64 v1, 0, 4, vcc_lo
	v_cmp_gt_u32_e32 vcc_lo, 30, v5
	ds_bpermute_b32 v6, v3, v4
	v_add_lshl_u32 v1, v1, v5, 2
	s_wait_dscnt 0x0
	v_add_f32_e32 v6, v4, v6
	v_cndmask_b32_e64 v4, 0, 2, vcc_lo
	v_cmp_ne_u32_e32 vcc_lo, 31, v5
	ds_bpermute_b32 v7, v1, v6
	v_add_lshl_u32 v4, v4, v5, 2
	v_add_co_ci_u32_e64 v8, null, 0, v5, vcc_lo
	s_wait_dscnt 0x0
	v_add_f32_e32 v6, v6, v7
	ds_bpermute_b32 v7, v4, v6
	s_wait_dscnt 0x0
	v_dual_add_f32 v5, v6, v7 :: v_dual_lshlrev_b32 v6, 2, v8
	v_and_b32_e32 v7, 31, v0
	ds_bpermute_b32 v8, v6, v5
	v_cmpx_eq_u32_e32 0, v7
	s_cbranch_execz .LBB50_6
; %bb.5:
	s_wait_dscnt 0x0
	v_add_f32_e32 v5, v5, v8
	v_lshrrev_b32_e32 v8, 3, v0
	ds_store_b32 v8, v5
.LBB50_6:
	s_or_b32 exec_lo, exec_lo, s2
	s_wait_dscnt 0x0
	s_barrier_signal -1
	s_barrier_wait -1
	s_load_b32 s2, s[0:1], 0xc9c
	v_mov_b32_e32 v5, 0
	s_wait_kmcnt 0x0
	s_bfe_u32 s2, s2, 0xb0005
	s_delay_alu instid0(SALU_CYCLE_1)
	v_cmp_gt_u32_e32 vcc_lo, s2, v0
	s_and_saveexec_b32 s2, vcc_lo
; %bb.7:
	v_lshlrev_b32_e32 v5, 2, v7
	ds_load_b32 v5, v5
; %bb.8:
	s_or_b32 exec_lo, exec_lo, s2
	s_delay_alu instid0(SALU_CYCLE_1)
	s_mov_b32 s2, exec_lo
	v_cmpx_gt_u32_e32 32, v0
	s_cbranch_execz .LBB50_10
; %bb.9:
	s_wait_dscnt 0x0
	ds_bpermute_b32 v2, v2, v5
	s_wait_dscnt 0x0
	v_add_f32_e32 v2, v5, v2
	ds_bpermute_b32 v3, v3, v2
	s_wait_dscnt 0x0
	v_add_f32_e32 v2, v2, v3
	;; [unrolled: 3-line block ×5, first 2 shown]
.LBB50_10:
	s_or_b32 exec_lo, exec_lo, s2
	s_delay_alu instid0(SALU_CYCLE_1)
	s_mov_b32 s2, exec_lo
	v_cmpx_eq_u32_e32 0, v0
	s_cbranch_execz .LBB50_12
; %bb.11:
	s_wait_dscnt 0x0
	v_cmp_gt_f32_e32 vcc_lo, 0xf800000, v5
	v_mul_f32_e32 v0, 0x4f800000, v5
	s_load_b64 s[0:1], s[0:1], s8 offset:0x8 scale_offset
	s_delay_alu instid0(VALU_DEP_1) | instskip(NEXT) | instid1(VALU_DEP_1)
	v_cndmask_b32_e32 v0, v5, v0, vcc_lo
	v_sqrt_f32_e32 v1, v0
	v_nop
	s_delay_alu instid0(TRANS32_DEP_1) | instskip(NEXT) | instid1(VALU_DEP_1)
	v_dual_add_nc_u32 v2, -1, v1 :: v_dual_add_nc_u32 v3, 1, v1
	v_fma_f32 v4, -v2, v1, v0
	s_delay_alu instid0(VALU_DEP_1) | instskip(NEXT) | instid1(VALU_DEP_1)
	v_cmp_ge_f32_e64 s2, 0, v4
	v_dual_fma_f32 v6, -v3, v1, v0 :: v_dual_cndmask_b32 v1, v1, v2, s2
	s_delay_alu instid0(VALU_DEP_1) | instskip(NEXT) | instid1(VALU_DEP_1)
	v_cmp_lt_f32_e64 s2, 0, v6
	v_cndmask_b32_e64 v1, v1, v3, s2
	s_delay_alu instid0(VALU_DEP_1) | instskip(NEXT) | instid1(VALU_DEP_1)
	v_mul_f32_e32 v2, 0x37800000, v1
	v_cndmask_b32_e32 v1, v1, v2, vcc_lo
	v_cmp_class_f32_e64 vcc_lo, v0, 0x260
	s_delay_alu instid0(VALU_DEP_2) | instskip(SKIP_1) | instid1(VALU_DEP_2)
	v_cndmask_b32_e32 v0, v1, v0, vcc_lo
	v_cmp_le_f32_e32 vcc_lo, 0, v5
	v_bfe_u32 v1, v0, 16, 1
	s_delay_alu instid0(VALU_DEP_1) | instskip(NEXT) | instid1(VALU_DEP_1)
	v_add3_u32 v0, v0, v1, 0x7fff
	v_dual_mov_b32 v1, 0 :: v_dual_lshrrev_b32 v0, 16, v0
	s_delay_alu instid0(VALU_DEP_1)
	v_cndmask_b32_e32 v0, 0x7fc0, v0, vcc_lo
	s_wait_kmcnt 0x0
	global_store_b16 v1, v0, s[0:1]
.LBB50_12:
	s_endpgm
	.section	.rodata,"a",@progbits
	.p2align	6, 0x0
	.amdhsa_kernel _ZN2at6native14lpnorm_cleanupIdLNS0_8NormTypeE2EN3c108BFloat16ELb1EfEEvPKT3_NS0_19TensorListAddressesEi
		.amdhsa_group_segment_fixed_size 2048
		.amdhsa_private_segment_fixed_size 0
		.amdhsa_kernarg_size 3472
		.amdhsa_user_sgpr_count 2
		.amdhsa_user_sgpr_dispatch_ptr 0
		.amdhsa_user_sgpr_queue_ptr 0
		.amdhsa_user_sgpr_kernarg_segment_ptr 1
		.amdhsa_user_sgpr_dispatch_id 0
		.amdhsa_user_sgpr_kernarg_preload_length 0
		.amdhsa_user_sgpr_kernarg_preload_offset 0
		.amdhsa_user_sgpr_private_segment_size 0
		.amdhsa_wavefront_size32 1
		.amdhsa_uses_dynamic_stack 0
		.amdhsa_enable_private_segment 0
		.amdhsa_system_sgpr_workgroup_id_x 1
		.amdhsa_system_sgpr_workgroup_id_y 0
		.amdhsa_system_sgpr_workgroup_id_z 0
		.amdhsa_system_sgpr_workgroup_info 0
		.amdhsa_system_vgpr_workitem_id 0
		.amdhsa_next_free_vgpr 9
		.amdhsa_next_free_sgpr 12
		.amdhsa_named_barrier_count 0
		.amdhsa_reserve_vcc 1
		.amdhsa_float_round_mode_32 0
		.amdhsa_float_round_mode_16_64 0
		.amdhsa_float_denorm_mode_32 3
		.amdhsa_float_denorm_mode_16_64 3
		.amdhsa_fp16_overflow 0
		.amdhsa_memory_ordered 1
		.amdhsa_forward_progress 1
		.amdhsa_inst_pref_size 7
		.amdhsa_round_robin_scheduling 0
		.amdhsa_exception_fp_ieee_invalid_op 0
		.amdhsa_exception_fp_denorm_src 0
		.amdhsa_exception_fp_ieee_div_zero 0
		.amdhsa_exception_fp_ieee_overflow 0
		.amdhsa_exception_fp_ieee_underflow 0
		.amdhsa_exception_fp_ieee_inexact 0
		.amdhsa_exception_int_div_zero 0
	.end_amdhsa_kernel
	.section	.text._ZN2at6native14lpnorm_cleanupIdLNS0_8NormTypeE2EN3c108BFloat16ELb1EfEEvPKT3_NS0_19TensorListAddressesEi,"axG",@progbits,_ZN2at6native14lpnorm_cleanupIdLNS0_8NormTypeE2EN3c108BFloat16ELb1EfEEvPKT3_NS0_19TensorListAddressesEi,comdat
.Lfunc_end50:
	.size	_ZN2at6native14lpnorm_cleanupIdLNS0_8NormTypeE2EN3c108BFloat16ELb1EfEEvPKT3_NS0_19TensorListAddressesEi, .Lfunc_end50-_ZN2at6native14lpnorm_cleanupIdLNS0_8NormTypeE2EN3c108BFloat16ELb1EfEEvPKT3_NS0_19TensorListAddressesEi
                                        ; -- End function
	.set _ZN2at6native14lpnorm_cleanupIdLNS0_8NormTypeE2EN3c108BFloat16ELb1EfEEvPKT3_NS0_19TensorListAddressesEi.num_vgpr, 9
	.set _ZN2at6native14lpnorm_cleanupIdLNS0_8NormTypeE2EN3c108BFloat16ELb1EfEEvPKT3_NS0_19TensorListAddressesEi.num_agpr, 0
	.set _ZN2at6native14lpnorm_cleanupIdLNS0_8NormTypeE2EN3c108BFloat16ELb1EfEEvPKT3_NS0_19TensorListAddressesEi.numbered_sgpr, 12
	.set _ZN2at6native14lpnorm_cleanupIdLNS0_8NormTypeE2EN3c108BFloat16ELb1EfEEvPKT3_NS0_19TensorListAddressesEi.num_named_barrier, 0
	.set _ZN2at6native14lpnorm_cleanupIdLNS0_8NormTypeE2EN3c108BFloat16ELb1EfEEvPKT3_NS0_19TensorListAddressesEi.private_seg_size, 0
	.set _ZN2at6native14lpnorm_cleanupIdLNS0_8NormTypeE2EN3c108BFloat16ELb1EfEEvPKT3_NS0_19TensorListAddressesEi.uses_vcc, 1
	.set _ZN2at6native14lpnorm_cleanupIdLNS0_8NormTypeE2EN3c108BFloat16ELb1EfEEvPKT3_NS0_19TensorListAddressesEi.uses_flat_scratch, 0
	.set _ZN2at6native14lpnorm_cleanupIdLNS0_8NormTypeE2EN3c108BFloat16ELb1EfEEvPKT3_NS0_19TensorListAddressesEi.has_dyn_sized_stack, 0
	.set _ZN2at6native14lpnorm_cleanupIdLNS0_8NormTypeE2EN3c108BFloat16ELb1EfEEvPKT3_NS0_19TensorListAddressesEi.has_recursion, 0
	.set _ZN2at6native14lpnorm_cleanupIdLNS0_8NormTypeE2EN3c108BFloat16ELb1EfEEvPKT3_NS0_19TensorListAddressesEi.has_indirect_call, 0
	.section	.AMDGPU.csdata,"",@progbits
; Kernel info:
; codeLenInByte = 840
; TotalNumSgprs: 14
; NumVgprs: 9
; ScratchSize: 0
; MemoryBound: 0
; FloatMode: 240
; IeeeMode: 1
; LDSByteSize: 2048 bytes/workgroup (compile time only)
; SGPRBlocks: 0
; VGPRBlocks: 0
; NumSGPRsForWavesPerEU: 14
; NumVGPRsForWavesPerEU: 9
; NamedBarCnt: 0
; Occupancy: 16
; WaveLimiterHint : 0
; COMPUTE_PGM_RSRC2:SCRATCH_EN: 0
; COMPUTE_PGM_RSRC2:USER_SGPR: 2
; COMPUTE_PGM_RSRC2:TRAP_HANDLER: 0
; COMPUTE_PGM_RSRC2:TGID_X_EN: 1
; COMPUTE_PGM_RSRC2:TGID_Y_EN: 0
; COMPUTE_PGM_RSRC2:TGID_Z_EN: 0
; COMPUTE_PGM_RSRC2:TIDIG_COMP_CNT: 0
	.section	.text._ZN2at6native14lpnorm_cleanupIdLNS0_8NormTypeE3EN3c108BFloat16ELb1EfEEvPKT3_NS0_19TensorListAddressesEi,"axG",@progbits,_ZN2at6native14lpnorm_cleanupIdLNS0_8NormTypeE3EN3c108BFloat16ELb1EfEEvPKT3_NS0_19TensorListAddressesEi,comdat
	.protected	_ZN2at6native14lpnorm_cleanupIdLNS0_8NormTypeE3EN3c108BFloat16ELb1EfEEvPKT3_NS0_19TensorListAddressesEi ; -- Begin function _ZN2at6native14lpnorm_cleanupIdLNS0_8NormTypeE3EN3c108BFloat16ELb1EfEEvPKT3_NS0_19TensorListAddressesEi
	.globl	_ZN2at6native14lpnorm_cleanupIdLNS0_8NormTypeE3EN3c108BFloat16ELb1EfEEvPKT3_NS0_19TensorListAddressesEi
	.p2align	8
	.type	_ZN2at6native14lpnorm_cleanupIdLNS0_8NormTypeE3EN3c108BFloat16ELb1EfEEvPKT3_NS0_19TensorListAddressesEi,@function
_ZN2at6native14lpnorm_cleanupIdLNS0_8NormTypeE3EN3c108BFloat16ELb1EfEEvPKT3_NS0_19TensorListAddressesEi: ; @_ZN2at6native14lpnorm_cleanupIdLNS0_8NormTypeE3EN3c108BFloat16ELb1EfEEvPKT3_NS0_19TensorListAddressesEi
; %bb.0:
	s_load_b32 s4, s[0:1], 0xc88
	s_bfe_u32 s2, ttmp6, 0x4000c
	s_and_b32 s3, ttmp6, 15
	s_add_co_i32 s2, s2, 1
	s_getreg_b32 s5, hwreg(HW_REG_IB_STS2, 6, 4)
	s_mul_i32 s2, ttmp9, s2
	v_mov_b32_e32 v1, 0
	s_add_co_i32 s3, s3, s2
	s_cmp_eq_u32 s5, 0
	s_mov_b32 s7, 0
	s_cselect_b32 s10, ttmp9, s3
	s_mov_b32 s11, exec_lo
	s_wait_kmcnt 0x0
	v_cmpx_gt_u32_e64 s4, v0
	s_cbranch_execz .LBB51_4
; %bb.1:
	s_clause 0x1
	s_load_b64 s[2:3], s[0:1], 0x0
	s_load_b32 s6, s[0:1], 0xc9c
	v_dual_mov_b32 v1, 0 :: v_dual_lshlrev_b32 v2, 2, v0
	s_mul_i32 s8, s4, s10
	s_mov_b32 s9, s7
	s_ashr_i32 s5, s4, 31
	s_delay_alu instid0(VALU_DEP_1)
	v_mov_b32_e32 v3, v1
	s_lshl_b64 s[8:9], s[8:9], 2
	v_mov_b64_e32 v[4:5], v[0:1]
	s_mov_b32 s12, s7
	s_wait_kmcnt 0x0
	s_add_nc_u64 s[2:3], s[2:3], s[8:9]
	s_and_b32 s6, s6, 0xffff
	v_add_nc_u64_e32 v[2:3], s[2:3], v[2:3]
	s_lshl_b32 s8, s6, 2
	s_mov_b32 s9, s7
.LBB51_2:                               ; =>This Inner Loop Header: Depth=1
	global_load_b32 v6, v[2:3], off
	v_add_nc_u64_e32 v[4:5], s[6:7], v[4:5]
	s_wait_xcnt 0x0
	v_add_nc_u64_e32 v[2:3], s[8:9], v[2:3]
	s_delay_alu instid0(VALU_DEP_2)
	v_cmp_le_u64_e32 vcc_lo, s[4:5], v[4:5]
	s_wait_loadcnt 0x0
	v_cmp_u_f32_e64 s2, v6, v6
	v_cmp_lt_f32_e64 s3, v1, v6
	s_or_b32 s2, s2, s3
	s_or_b32 s12, vcc_lo, s12
	v_cndmask_b32_e64 v1, v1, v6, s2
	s_and_not1_b32 exec_lo, exec_lo, s12
	s_cbranch_execnz .LBB51_2
; %bb.3:
	s_or_b32 exec_lo, exec_lo, s12
.LBB51_4:
	s_delay_alu instid0(SALU_CYCLE_1) | instskip(SKIP_3) | instid1(VALU_DEP_1)
	s_or_b32 exec_lo, exec_lo, s11
	v_mbcnt_lo_u32_b32 v5, -1, 0
	s_barrier_signal -1
	s_barrier_wait -1
	v_lshl_or_b32 v2, v5, 2, 64
	v_cmp_gt_u32_e32 vcc_lo, 24, v5
	v_cmp_ne_u32_e64 s3, 31, v5
	ds_bpermute_b32 v4, v2, v1
	v_cndmask_b32_e64 v3, 0, 8, vcc_lo
	s_delay_alu instid0(VALU_DEP_1)
	v_add_lshl_u32 v3, v3, v5, 2
	s_wait_dscnt 0x0
	v_cmp_u_f32_e32 vcc_lo, v4, v4
	v_cmp_lt_f32_e64 s2, v1, v4
	s_or_b32 vcc_lo, vcc_lo, s2
	v_cndmask_b32_e32 v4, v1, v4, vcc_lo
	v_cmp_gt_u32_e32 vcc_lo, 28, v5
	ds_bpermute_b32 v6, v3, v4
	v_cndmask_b32_e64 v1, 0, 4, vcc_lo
	s_delay_alu instid0(VALU_DEP_1)
	v_add_lshl_u32 v1, v1, v5, 2
	s_wait_dscnt 0x0
	v_cmp_u_f32_e32 vcc_lo, v6, v6
	v_cmp_lt_f32_e64 s2, v4, v6
	s_or_b32 vcc_lo, vcc_lo, s2
	v_cndmask_b32_e32 v6, v4, v6, vcc_lo
	v_cmp_gt_u32_e32 vcc_lo, 30, v5
	v_cndmask_b32_e64 v4, 0, 2, vcc_lo
	s_delay_alu instid0(VALU_DEP_1)
	v_add_lshl_u32 v4, v4, v5, 2
	v_add_co_ci_u32_e64 v5, null, 0, v5, s3
	s_mov_b32 s3, exec_lo
	v_lshlrev_b32_e32 v5, 2, v5
	ds_bpermute_b32 v7, v1, v6
	s_wait_dscnt 0x0
	v_cmp_u_f32_e32 vcc_lo, v7, v7
	v_cmp_lt_f32_e64 s2, v6, v7
	s_or_b32 vcc_lo, vcc_lo, s2
	v_cndmask_b32_e32 v6, v6, v7, vcc_lo
	ds_bpermute_b32 v7, v4, v6
	s_wait_dscnt 0x0
	v_cmp_u_f32_e32 vcc_lo, v7, v7
	v_cmp_lt_f32_e64 s2, v6, v7
	s_or_b32 vcc_lo, vcc_lo, s2
	s_delay_alu instid0(SALU_CYCLE_1)
	v_dual_cndmask_b32 v6, v6, v7, vcc_lo :: v_dual_bitop2_b32 v7, 31, v0 bitop3:0x40
	ds_bpermute_b32 v8, v5, v6
	v_cmpx_eq_u32_e32 0, v7
	s_cbranch_execz .LBB51_6
; %bb.5:
	s_wait_dscnt 0x0
	v_cmp_u_f32_e32 vcc_lo, v8, v8
	v_cmp_lt_f32_e64 s2, v6, v8
	s_or_b32 vcc_lo, vcc_lo, s2
	v_cndmask_b32_e32 v6, v6, v8, vcc_lo
	v_lshrrev_b32_e32 v8, 3, v0
	ds_store_b32 v8, v6
.LBB51_6:
	s_or_b32 exec_lo, exec_lo, s3
	s_wait_dscnt 0x0
	s_barrier_signal -1
	s_barrier_wait -1
	s_load_b32 s2, s[0:1], 0xc9c
	v_mov_b32_e32 v6, 0xff7fffff
	s_wait_kmcnt 0x0
	s_bfe_u32 s2, s2, 0xb0005
	s_delay_alu instid0(SALU_CYCLE_1)
	v_cmp_gt_u32_e32 vcc_lo, s2, v0
	s_and_saveexec_b32 s2, vcc_lo
; %bb.7:
	v_lshlrev_b32_e32 v6, 2, v7
	ds_load_b32 v6, v6
; %bb.8:
	s_or_b32 exec_lo, exec_lo, s2
	s_delay_alu instid0(SALU_CYCLE_1)
	s_mov_b32 s3, exec_lo
	v_cmpx_gt_u32_e32 32, v0
	s_cbranch_execz .LBB51_10
; %bb.9:
	s_wait_dscnt 0x0
	ds_bpermute_b32 v2, v2, v6
	s_wait_dscnt 0x0
	v_cmp_u_f32_e32 vcc_lo, v2, v2
	v_cmp_lt_f32_e64 s2, v6, v2
	s_or_b32 vcc_lo, vcc_lo, s2
	v_cndmask_b32_e32 v2, v6, v2, vcc_lo
	ds_bpermute_b32 v3, v3, v2
	s_wait_dscnt 0x0
	v_cmp_u_f32_e32 vcc_lo, v3, v3
	v_cmp_lt_f32_e64 s2, v2, v3
	s_or_b32 vcc_lo, vcc_lo, s2
	v_cndmask_b32_e32 v2, v2, v3, vcc_lo
	ds_bpermute_b32 v1, v1, v2
	s_wait_dscnt 0x0
	v_cmp_u_f32_e32 vcc_lo, v1, v1
	v_cmp_lt_f32_e64 s2, v2, v1
	s_or_b32 vcc_lo, vcc_lo, s2
	v_cndmask_b32_e32 v1, v2, v1, vcc_lo
	ds_bpermute_b32 v2, v4, v1
	s_wait_dscnt 0x0
	v_cmp_u_f32_e32 vcc_lo, v2, v2
	v_cmp_lt_f32_e64 s2, v1, v2
	s_or_b32 vcc_lo, vcc_lo, s2
	v_cndmask_b32_e32 v1, v1, v2, vcc_lo
	ds_bpermute_b32 v2, v5, v1
	s_wait_dscnt 0x0
	v_cmp_u_f32_e32 vcc_lo, v2, v2
	v_cmp_lt_f32_e64 s2, v1, v2
	s_or_b32 vcc_lo, vcc_lo, s2
	v_cndmask_b32_e32 v6, v1, v2, vcc_lo
.LBB51_10:
	s_or_b32 exec_lo, exec_lo, s3
	s_delay_alu instid0(SALU_CYCLE_1)
	s_mov_b32 s2, exec_lo
	v_cmpx_eq_u32_e32 0, v0
	s_cbranch_execz .LBB51_12
; %bb.11:
	s_wait_dscnt 0x0
	v_bfe_u32 v0, v6, 16, 1
	s_load_b64 s[0:1], s[0:1], s10 offset:0x8 scale_offset
	v_cmp_o_f32_e32 vcc_lo, v6, v6
	v_mov_b32_e32 v1, 0
	s_delay_alu instid0(VALU_DEP_3) | instskip(NEXT) | instid1(VALU_DEP_1)
	v_add3_u32 v0, v6, v0, 0x7fff
	v_lshrrev_b32_e32 v0, 16, v0
	s_delay_alu instid0(VALU_DEP_1)
	v_cndmask_b32_e32 v0, 0x7fc0, v0, vcc_lo
	s_wait_kmcnt 0x0
	global_store_b16 v1, v0, s[0:1]
.LBB51_12:
	s_endpgm
	.section	.rodata,"a",@progbits
	.p2align	6, 0x0
	.amdhsa_kernel _ZN2at6native14lpnorm_cleanupIdLNS0_8NormTypeE3EN3c108BFloat16ELb1EfEEvPKT3_NS0_19TensorListAddressesEi
		.amdhsa_group_segment_fixed_size 2048
		.amdhsa_private_segment_fixed_size 0
		.amdhsa_kernarg_size 3472
		.amdhsa_user_sgpr_count 2
		.amdhsa_user_sgpr_dispatch_ptr 0
		.amdhsa_user_sgpr_queue_ptr 0
		.amdhsa_user_sgpr_kernarg_segment_ptr 1
		.amdhsa_user_sgpr_dispatch_id 0
		.amdhsa_user_sgpr_kernarg_preload_length 0
		.amdhsa_user_sgpr_kernarg_preload_offset 0
		.amdhsa_user_sgpr_private_segment_size 0
		.amdhsa_wavefront_size32 1
		.amdhsa_uses_dynamic_stack 0
		.amdhsa_enable_private_segment 0
		.amdhsa_system_sgpr_workgroup_id_x 1
		.amdhsa_system_sgpr_workgroup_id_y 0
		.amdhsa_system_sgpr_workgroup_id_z 0
		.amdhsa_system_sgpr_workgroup_info 0
		.amdhsa_system_vgpr_workitem_id 0
		.amdhsa_next_free_vgpr 9
		.amdhsa_next_free_sgpr 13
		.amdhsa_named_barrier_count 0
		.amdhsa_reserve_vcc 1
		.amdhsa_float_round_mode_32 0
		.amdhsa_float_round_mode_16_64 0
		.amdhsa_float_denorm_mode_32 3
		.amdhsa_float_denorm_mode_16_64 3
		.amdhsa_fp16_overflow 0
		.amdhsa_memory_ordered 1
		.amdhsa_forward_progress 1
		.amdhsa_inst_pref_size 8
		.amdhsa_round_robin_scheduling 0
		.amdhsa_exception_fp_ieee_invalid_op 0
		.amdhsa_exception_fp_denorm_src 0
		.amdhsa_exception_fp_ieee_div_zero 0
		.amdhsa_exception_fp_ieee_overflow 0
		.amdhsa_exception_fp_ieee_underflow 0
		.amdhsa_exception_fp_ieee_inexact 0
		.amdhsa_exception_int_div_zero 0
	.end_amdhsa_kernel
	.section	.text._ZN2at6native14lpnorm_cleanupIdLNS0_8NormTypeE3EN3c108BFloat16ELb1EfEEvPKT3_NS0_19TensorListAddressesEi,"axG",@progbits,_ZN2at6native14lpnorm_cleanupIdLNS0_8NormTypeE3EN3c108BFloat16ELb1EfEEvPKT3_NS0_19TensorListAddressesEi,comdat
.Lfunc_end51:
	.size	_ZN2at6native14lpnorm_cleanupIdLNS0_8NormTypeE3EN3c108BFloat16ELb1EfEEvPKT3_NS0_19TensorListAddressesEi, .Lfunc_end51-_ZN2at6native14lpnorm_cleanupIdLNS0_8NormTypeE3EN3c108BFloat16ELb1EfEEvPKT3_NS0_19TensorListAddressesEi
                                        ; -- End function
	.set _ZN2at6native14lpnorm_cleanupIdLNS0_8NormTypeE3EN3c108BFloat16ELb1EfEEvPKT3_NS0_19TensorListAddressesEi.num_vgpr, 9
	.set _ZN2at6native14lpnorm_cleanupIdLNS0_8NormTypeE3EN3c108BFloat16ELb1EfEEvPKT3_NS0_19TensorListAddressesEi.num_agpr, 0
	.set _ZN2at6native14lpnorm_cleanupIdLNS0_8NormTypeE3EN3c108BFloat16ELb1EfEEvPKT3_NS0_19TensorListAddressesEi.numbered_sgpr, 13
	.set _ZN2at6native14lpnorm_cleanupIdLNS0_8NormTypeE3EN3c108BFloat16ELb1EfEEvPKT3_NS0_19TensorListAddressesEi.num_named_barrier, 0
	.set _ZN2at6native14lpnorm_cleanupIdLNS0_8NormTypeE3EN3c108BFloat16ELb1EfEEvPKT3_NS0_19TensorListAddressesEi.private_seg_size, 0
	.set _ZN2at6native14lpnorm_cleanupIdLNS0_8NormTypeE3EN3c108BFloat16ELb1EfEEvPKT3_NS0_19TensorListAddressesEi.uses_vcc, 1
	.set _ZN2at6native14lpnorm_cleanupIdLNS0_8NormTypeE3EN3c108BFloat16ELb1EfEEvPKT3_NS0_19TensorListAddressesEi.uses_flat_scratch, 0
	.set _ZN2at6native14lpnorm_cleanupIdLNS0_8NormTypeE3EN3c108BFloat16ELb1EfEEvPKT3_NS0_19TensorListAddressesEi.has_dyn_sized_stack, 0
	.set _ZN2at6native14lpnorm_cleanupIdLNS0_8NormTypeE3EN3c108BFloat16ELb1EfEEvPKT3_NS0_19TensorListAddressesEi.has_recursion, 0
	.set _ZN2at6native14lpnorm_cleanupIdLNS0_8NormTypeE3EN3c108BFloat16ELb1EfEEvPKT3_NS0_19TensorListAddressesEi.has_indirect_call, 0
	.section	.AMDGPU.csdata,"",@progbits
; Kernel info:
; codeLenInByte = 912
; TotalNumSgprs: 15
; NumVgprs: 9
; ScratchSize: 0
; MemoryBound: 0
; FloatMode: 240
; IeeeMode: 1
; LDSByteSize: 2048 bytes/workgroup (compile time only)
; SGPRBlocks: 0
; VGPRBlocks: 0
; NumSGPRsForWavesPerEU: 15
; NumVGPRsForWavesPerEU: 9
; NamedBarCnt: 0
; Occupancy: 16
; WaveLimiterHint : 0
; COMPUTE_PGM_RSRC2:SCRATCH_EN: 0
; COMPUTE_PGM_RSRC2:USER_SGPR: 2
; COMPUTE_PGM_RSRC2:TRAP_HANDLER: 0
; COMPUTE_PGM_RSRC2:TGID_X_EN: 1
; COMPUTE_PGM_RSRC2:TGID_Y_EN: 0
; COMPUTE_PGM_RSRC2:TGID_Z_EN: 0
; COMPUTE_PGM_RSRC2:TIDIG_COMP_CNT: 0
	.section	.text._ZN2at6native12_GLOBAL__N_125multi_tensor_apply_kernelINS1_18TensorListMetadataILi1EEENS0_13LpNormFunctorIfLNS0_8NormTypeE0EdLi1ELi1ELi0EEEJPdiEEEvT_T0_DpT1_,"axG",@progbits,_ZN2at6native12_GLOBAL__N_125multi_tensor_apply_kernelINS1_18TensorListMetadataILi1EEENS0_13LpNormFunctorIfLNS0_8NormTypeE0EdLi1ELi1ELi0EEEJPdiEEEvT_T0_DpT1_,comdat
	.globl	_ZN2at6native12_GLOBAL__N_125multi_tensor_apply_kernelINS1_18TensorListMetadataILi1EEENS0_13LpNormFunctorIfLNS0_8NormTypeE0EdLi1ELi1ELi0EEEJPdiEEEvT_T0_DpT1_ ; -- Begin function _ZN2at6native12_GLOBAL__N_125multi_tensor_apply_kernelINS1_18TensorListMetadataILi1EEENS0_13LpNormFunctorIfLNS0_8NormTypeE0EdLi1ELi1ELi0EEEJPdiEEEvT_T0_DpT1_
	.p2align	8
	.type	_ZN2at6native12_GLOBAL__N_125multi_tensor_apply_kernelINS1_18TensorListMetadataILi1EEENS0_13LpNormFunctorIfLNS0_8NormTypeE0EdLi1ELi1ELi0EEEJPdiEEEvT_T0_DpT1_,@function
_ZN2at6native12_GLOBAL__N_125multi_tensor_apply_kernelINS1_18TensorListMetadataILi1EEENS0_13LpNormFunctorIfLNS0_8NormTypeE0EdLi1ELi1ELi0EEEJPdiEEEvT_T0_DpT1_: ; @_ZN2at6native12_GLOBAL__N_125multi_tensor_apply_kernelINS1_18TensorListMetadataILi1EEENS0_13LpNormFunctorIfLNS0_8NormTypeE0EdLi1ELi1ELi0EEEJPdiEEEvT_T0_DpT1_
; %bb.0:
	s_bfe_u32 s2, ttmp6, 0x4000c
	s_and_b32 s3, ttmp6, 15
	s_add_co_i32 s2, s2, 1
	s_getreg_b32 s4, hwreg(HW_REG_IB_STS2, 6, 4)
	s_mul_i32 s2, ttmp9, s2
	s_delay_alu instid0(SALU_CYCLE_1)
	s_add_co_i32 s3, s3, s2
	s_cmp_eq_u32 s4, 0
	s_cselect_b32 s2, ttmp9, s3
	s_mov_b32 s3, 0
	v_mov_b32_e32 v1, s2
	s_add_nc_u64 s[4:5], s[0:1], s[2:3]
	s_mul_u64 s[6:7], s[2:3], 3
	s_delay_alu instid0(SALU_CYCLE_1) | instskip(SKIP_4) | instid1(SALU_CYCLE_1)
	s_add_nc_u64 s[4:5], s[4:5], s[6:7]
	global_load_u8 v21, v1, s[0:1] offset:1760
	s_load_b32 s4, s[4:5], 0x820
	s_wait_kmcnt 0x0
	s_ashr_i32 s5, s4, 31
	s_lshl_b64 s[10:11], s[4:5], 18
	s_lshl_b64 s[12:13], s[4:5], 16
	s_wait_loadcnt 0x0
	v_readfirstlane_b32 s2, v21
	s_and_b32 s2, s2, 0xff
	s_clause 0x1
	s_load_b64 s[6:7], s[0:1], s2 offset:0x0 scale_offset
	s_load_b64 s[8:9], s[0:1], s2 offset:0x370 scale_offset
	s_wait_kmcnt 0x0
	s_add_nc_u64 s[6:7], s[6:7], s[10:11]
	s_and_b32 s2, s8, 3
	s_and_b64 s[10:11], s[6:7], 15
	s_sub_nc_u64 s[8:9], s[8:9], s[12:13]
	s_or_b64 s[10:11], s[2:3], s[10:11]
	s_delay_alu instid0(SALU_CYCLE_1)
	s_cmp_eq_u64 s[10:11], 0
	s_cbranch_scc1 .LBB52_12
; %bb.1:
	v_cmp_lt_i64_e64 s2, s[8:9], 1
	s_and_b32 vcc_lo, exec_lo, s2
	s_cbranch_vccnz .LBB52_28
; %bb.2:
	s_load_b32 s2, s[0:1], 0xd4c
	v_min_i64 v[18:19], 0x10000, s[8:9]
	s_mov_b32 s11, 0
	s_mov_b64 s[12:13], 0
	s_wait_kmcnt 0x0
	s_and_b32 s2, s2, 0xffff
	s_delay_alu instid0(SALU_CYCLE_1) | instskip(SKIP_3) | instid1(VALU_DEP_3)
	v_dual_mov_b32 v11, 0 :: v_dual_add_nc_u32 v24, s2, v0
	v_mad_u32 v20, s2, 3, v0
	v_lshl_add_u32 v22, s2, 1, v0
	s_lshl_b32 s10, s2, 2
	v_dual_mov_b32 v10, v11 :: v_dual_mov_b32 v12, v11
	v_dual_mov_b32 v13, v11 :: v_dual_mov_b32 v14, v11
	;; [unrolled: 1-line block ×3, first 2 shown]
	v_mov_b32_e32 v17, v11
	s_delay_alu instid0(VALU_DEP_4) | instskip(NEXT) | instid1(VALU_DEP_4)
	v_mov_b64_e32 v[2:3], v[10:11]
	v_mov_b64_e32 v[4:5], v[12:13]
	s_delay_alu instid0(VALU_DEP_4) | instskip(NEXT) | instid1(VALU_DEP_4)
	v_mov_b64_e32 v[6:7], v[14:15]
	v_mov_b64_e32 v[8:9], v[16:17]
	s_branch .LBB52_4
.LBB52_3:                               ;   in Loop: Header=BB52_4 Depth=1
	s_or_b32 exec_lo, exec_lo, s2
	s_add_nc_u64 s[12:13], s[12:13], s[10:11]
	s_delay_alu instid0(SALU_CYCLE_1)
	v_cmp_lt_i64_e32 vcc_lo, s[12:13], v[18:19]
	s_cbranch_vccz .LBB52_13
.LBB52_4:                               ; =>This Inner Loop Header: Depth=1
	v_add_nc_u32_e32 v10, s12, v0
	s_delay_alu instid0(VALU_DEP_1) | instskip(SKIP_2) | instid1(SALU_CYCLE_1)
	v_cmp_gt_i64_e32 vcc_lo, s[8:9], v[10:11]
	v_cmp_gt_u32_e64 s2, 0x10000, v10
	s_and_b32 s5, s2, vcc_lo
	s_and_saveexec_b32 s2, s5
	s_cbranch_execz .LBB52_6
; %bb.5:                                ;   in Loop: Header=BB52_4 Depth=1
	v_lshl_add_u64 v[12:13], v[10:11], 2, s[6:7]
	global_load_b32 v1, v[12:13], off
	s_wait_xcnt 0x0
	v_mov_b32_e32 v12, v11
	s_wait_loadcnt 0x0
	v_cmp_neq_f32_e32 vcc_lo, 0, v1
	v_cndmask_b32_e64 v13, 0, 0x3ff00000, vcc_lo
	s_delay_alu instid0(VALU_DEP_1)
	v_add_f64_e32 v[2:3], v[2:3], v[12:13]
.LBB52_6:                               ;   in Loop: Header=BB52_4 Depth=1
	s_or_b32 exec_lo, exec_lo, s2
	v_add_nc_u32_e32 v10, s12, v24
	s_delay_alu instid0(VALU_DEP_1) | instskip(SKIP_2) | instid1(SALU_CYCLE_1)
	v_cmp_gt_i64_e32 vcc_lo, s[8:9], v[10:11]
	v_cmp_gt_u32_e64 s2, 0x10000, v10
	s_and_b32 s5, s2, vcc_lo
	s_and_saveexec_b32 s2, s5
	s_cbranch_execz .LBB52_8
; %bb.7:                                ;   in Loop: Header=BB52_4 Depth=1
	v_lshl_add_u64 v[12:13], v[10:11], 2, s[6:7]
	global_load_b32 v1, v[12:13], off
	s_wait_xcnt 0x0
	v_mov_b32_e32 v12, v11
	s_wait_loadcnt 0x0
	v_cmp_neq_f32_e32 vcc_lo, 0, v1
	v_cndmask_b32_e64 v13, 0, 0x3ff00000, vcc_lo
	s_delay_alu instid0(VALU_DEP_1)
	v_add_f64_e32 v[4:5], v[4:5], v[12:13]
.LBB52_8:                               ;   in Loop: Header=BB52_4 Depth=1
	s_or_b32 exec_lo, exec_lo, s2
	v_add_nc_u32_e32 v10, s12, v22
	s_delay_alu instid0(VALU_DEP_1) | instskip(SKIP_2) | instid1(SALU_CYCLE_1)
	v_cmp_gt_i64_e32 vcc_lo, s[8:9], v[10:11]
	v_cmp_gt_u32_e64 s2, 0x10000, v10
	s_and_b32 s5, s2, vcc_lo
	s_and_saveexec_b32 s2, s5
	s_cbranch_execz .LBB52_10
; %bb.9:                                ;   in Loop: Header=BB52_4 Depth=1
	v_lshl_add_u64 v[12:13], v[10:11], 2, s[6:7]
	global_load_b32 v1, v[12:13], off
	s_wait_xcnt 0x0
	v_mov_b32_e32 v12, v11
	s_wait_loadcnt 0x0
	v_cmp_neq_f32_e32 vcc_lo, 0, v1
	v_cndmask_b32_e64 v13, 0, 0x3ff00000, vcc_lo
	s_delay_alu instid0(VALU_DEP_1)
	v_add_f64_e32 v[6:7], v[6:7], v[12:13]
.LBB52_10:                              ;   in Loop: Header=BB52_4 Depth=1
	s_or_b32 exec_lo, exec_lo, s2
	v_add_nc_u32_e32 v10, s12, v20
	s_delay_alu instid0(VALU_DEP_1) | instskip(SKIP_2) | instid1(SALU_CYCLE_1)
	v_cmp_gt_i64_e32 vcc_lo, s[8:9], v[10:11]
	v_cmp_gt_u32_e64 s2, 0x10000, v10
	s_and_b32 s5, s2, vcc_lo
	s_and_saveexec_b32 s2, s5
	s_cbranch_execz .LBB52_3
; %bb.11:                               ;   in Loop: Header=BB52_4 Depth=1
	v_lshl_add_u64 v[12:13], v[10:11], 2, s[6:7]
	global_load_b32 v1, v[12:13], off
	s_wait_xcnt 0x0
	v_mov_b32_e32 v12, v11
	s_wait_loadcnt 0x0
	v_cmp_neq_f32_e32 vcc_lo, 0, v1
	v_cndmask_b32_e64 v13, 0, 0x3ff00000, vcc_lo
	s_delay_alu instid0(VALU_DEP_1)
	v_add_f64_e32 v[8:9], v[8:9], v[12:13]
	s_branch .LBB52_3
.LBB52_12:
	s_mov_b32 s3, -1
                                        ; implicit-def: $vgpr2_vgpr3_vgpr4_vgpr5_vgpr6_vgpr7_vgpr8_vgpr9
.LBB52_13:
	s_delay_alu instid0(SALU_CYCLE_1)
	s_and_not1_b32 vcc_lo, exec_lo, s3
	s_cbranch_vccnz .LBB52_19
.LBB52_14:
	v_min_i64 v[12:13], 0x10000, s[8:9]
	v_dual_mov_b32 v2, 0 :: v_dual_lshlrev_b32 v8, 2, v0
	s_mov_b32 s3, 0
	s_delay_alu instid0(VALU_DEP_1) | instskip(SKIP_2) | instid1(VALU_DEP_3)
	v_dual_mov_b32 v9, v2 :: v_dual_mov_b32 v3, v2
	v_dual_mov_b32 v4, v2 :: v_dual_mov_b32 v5, v2
	;; [unrolled: 1-line block ×3, first 2 shown]
	v_cmp_lt_i64_e32 vcc_lo, v[8:9], v[12:13]
	v_mov_b32_e32 v8, v2
	s_and_saveexec_b32 s5, vcc_lo
	s_cbranch_execz .LBB52_18
; %bb.15:
	s_load_b32 s2, s[0:1], 0xd4c
	v_dual_mov_b32 v5, v2 :: v_dual_lshlrev_b32 v4, 4, v0
	v_mov_b32_e32 v1, v2
	v_mov_b64_e32 v[6:7], 0
	v_mov_b64_e32 v[8:9], 0
	;; [unrolled: 1-line block ×3, first 2 shown]
	v_add_nc_u64_e32 v[14:15], s[6:7], v[4:5]
	v_mov_b64_e32 v[4:5], 0
	v_mov_b64_e32 v[16:17], v[0:1]
	s_mov_b32 s7, s3
	s_mov_b32 s8, s3
	s_delay_alu instid0(VALU_DEP_3) | instskip(SKIP_2) | instid1(SALU_CYCLE_1)
	v_add_nc_u64_e32 v[14:15], 8, v[14:15]
	s_wait_kmcnt 0x0
	s_and_b32 s2, s2, 0xffff
	s_lshl_b32 s6, s2, 4
.LBB52_16:                              ; =>This Inner Loop Header: Depth=1
	global_load_b128 v[22:25], v[14:15], off offset:-8
	v_add_nc_u64_e32 v[16:17], s[2:3], v[16:17]
	s_wait_xcnt 0x0
	v_add_nc_u64_e32 v[14:15], s[6:7], v[14:15]
	s_delay_alu instid0(VALU_DEP_2) | instskip(SKIP_4) | instid1(VALU_DEP_2)
	v_lshlrev_b64_e32 v[18:19], 2, v[16:17]
	s_wait_loadcnt 0x0
	v_cmp_neq_f32_e32 vcc_lo, 0, v22
	v_cndmask_b32_e64 v3, 0, 0x3ff00000, vcc_lo
	v_cmp_neq_f32_e32 vcc_lo, 0, v23
	v_add_f64_e32 v[4:5], v[4:5], v[2:3]
	v_cndmask_b32_e64 v3, 0, 0x3ff00000, vcc_lo
	v_cmp_neq_f32_e32 vcc_lo, 0, v24
	s_delay_alu instid0(VALU_DEP_2) | instskip(SKIP_2) | instid1(VALU_DEP_2)
	v_add_f64_e32 v[6:7], v[6:7], v[2:3]
	v_cndmask_b32_e64 v3, 0, 0x3ff00000, vcc_lo
	v_cmp_neq_f32_e32 vcc_lo, 0, v25
	v_add_f64_e32 v[8:9], v[8:9], v[2:3]
	v_cndmask_b32_e64 v3, 0, 0x3ff00000, vcc_lo
	v_cmp_ge_i64_e32 vcc_lo, v[18:19], v[12:13]
	s_delay_alu instid0(VALU_DEP_2) | instskip(SKIP_1) | instid1(SALU_CYCLE_1)
	v_add_f64_e32 v[10:11], v[10:11], v[2:3]
	s_or_b32 s8, vcc_lo, s8
	s_and_not1_b32 exec_lo, exec_lo, s8
	s_cbranch_execnz .LBB52_16
; %bb.17:
	s_or_b32 exec_lo, exec_lo, s8
	v_mov_b64_e32 v[2:3], v[4:5]
	v_mov_b64_e32 v[4:5], v[6:7]
	;; [unrolled: 1-line block ×3, first 2 shown]
	s_delay_alu instid0(VALU_DEP_4)
	v_mov_b64_e32 v[8:9], v[10:11]
.LBB52_18:
	s_or_b32 exec_lo, exec_lo, s5
.LBB52_19:
	s_delay_alu instid0(VALU_DEP_4) | instskip(SKIP_3) | instid1(VALU_DEP_1)
	v_add_f64_e32 v[2:3], 0, v[2:3]
	s_mov_b32 s2, exec_lo
	s_barrier_signal -1
	s_barrier_wait -1
	v_dual_add_f64 v[2:3], v[4:5], v[2:3] :: v_dual_bitop2_b32 v10, 31, v0 bitop3:0x40
	s_delay_alu instid0(VALU_DEP_1) | instskip(NEXT) | instid1(VALU_DEP_1)
	v_add_f64_e32 v[2:3], v[6:7], v[2:3]
	v_add_f64_e32 v[2:3], v[8:9], v[2:3]
	v_mbcnt_lo_u32_b32 v9, -1, 0
	s_delay_alu instid0(VALU_DEP_1)
	v_lshl_or_b32 v1, v9, 2, 64
	v_cmp_gt_u32_e32 vcc_lo, 24, v9
	ds_bpermute_b32 v4, v1, v2
	ds_bpermute_b32 v5, v1, v3
	s_wait_dscnt 0x0
	v_add_f64_e32 v[2:3], v[2:3], v[4:5]
	v_cndmask_b32_e64 v4, 0, 8, vcc_lo
	v_cmp_gt_u32_e32 vcc_lo, 28, v9
	s_delay_alu instid0(VALU_DEP_2)
	v_add_lshl_u32 v6, v4, v9, 2
	ds_bpermute_b32 v4, v6, v2
	ds_bpermute_b32 v5, v6, v3
	s_wait_dscnt 0x0
	v_add_f64_e32 v[2:3], v[2:3], v[4:5]
	v_cndmask_b32_e64 v4, 0, 4, vcc_lo
	v_cmp_gt_u32_e32 vcc_lo, 30, v9
	s_delay_alu instid0(VALU_DEP_2)
	v_add_lshl_u32 v7, v4, v9, 2
	ds_bpermute_b32 v4, v7, v2
	ds_bpermute_b32 v5, v7, v3
	s_wait_dscnt 0x0
	v_add_f64_e32 v[2:3], v[2:3], v[4:5]
	v_cndmask_b32_e64 v4, 0, 2, vcc_lo
	v_cmp_ne_u32_e32 vcc_lo, 31, v9
	s_delay_alu instid0(VALU_DEP_2)
	v_add_lshl_u32 v8, v4, v9, 2
	ds_bpermute_b32 v4, v8, v2
	ds_bpermute_b32 v5, v8, v3
	s_wait_dscnt 0x0
	v_add_f64_e32 v[2:3], v[2:3], v[4:5]
	v_add_co_ci_u32_e64 v4, null, 0, v9, vcc_lo
	s_delay_alu instid0(VALU_DEP_1)
	v_lshlrev_b32_e32 v9, 2, v4
	ds_bpermute_b32 v4, v9, v2
	ds_bpermute_b32 v5, v9, v3
	v_cmpx_eq_u32_e32 0, v10
	s_cbranch_execz .LBB52_21
; %bb.20:
	s_wait_dscnt 0x0
	v_add_f64_e32 v[2:3], v[2:3], v[4:5]
	v_lshrrev_b32_e32 v4, 2, v0
	ds_store_b64 v4, v[2:3]
.LBB52_21:
	s_or_b32 exec_lo, exec_lo, s2
	s_wait_dscnt 0x0
	s_barrier_signal -1
	s_barrier_wait -1
	s_load_b32 s2, s[0:1], 0xd4c
	v_mov_b64_e32 v[2:3], 0
	s_wait_kmcnt 0x0
	s_bfe_u32 s2, s2, 0xb0005
	s_delay_alu instid0(SALU_CYCLE_1)
	v_cmp_gt_u32_e32 vcc_lo, s2, v0
	s_and_saveexec_b32 s2, vcc_lo
; %bb.22:
	v_lshlrev_b32_e32 v2, 3, v10
	ds_load_b64 v[2:3], v2
; %bb.23:
	s_or_b32 exec_lo, exec_lo, s2
	s_delay_alu instid0(SALU_CYCLE_1)
	s_mov_b32 s2, exec_lo
	v_cmpx_gt_u32_e32 32, v0
	s_cbranch_execz .LBB52_25
; %bb.24:
	s_wait_dscnt 0x0
	ds_bpermute_b32 v4, v1, v2
	ds_bpermute_b32 v5, v1, v3
	s_wait_dscnt 0x0
	v_add_f64_e32 v[2:3], v[2:3], v[4:5]
	ds_bpermute_b32 v4, v6, v2
	ds_bpermute_b32 v5, v6, v3
	s_wait_dscnt 0x0
	v_add_f64_e32 v[2:3], v[2:3], v[4:5]
	;; [unrolled: 4-line block ×5, first 2 shown]
.LBB52_25:
	s_or_b32 exec_lo, exec_lo, s2
	s_delay_alu instid0(SALU_CYCLE_1)
	s_mov_b32 s2, exec_lo
	v_cmpx_eq_u32_e32 0, v0
	s_cbranch_execz .LBB52_27
; %bb.26:
	s_clause 0x1
	s_load_b32 s2, s[0:1], 0xd20
	s_load_b96 s[8:10], s[0:1], 0xd30
	v_and_b32_e32 v0, 0xff, v21
	s_wait_kmcnt 0x0
	s_delay_alu instid0(VALU_DEP_1) | instskip(NEXT) | instid1(VALU_DEP_1)
	v_add_nc_u32_e32 v0, s2, v0
	v_mul_lo_u32 v0, v0, s10
	s_delay_alu instid0(VALU_DEP_1)
	v_add_nc_u32_e32 v0, s4, v0
	s_wait_dscnt 0x0
	global_store_b64 v0, v[2:3], s[8:9] scale_offset
.LBB52_27:
	s_endpgm
.LBB52_28:
	v_mov_b32_e32 v2, 0
	s_delay_alu instid0(VALU_DEP_1)
	v_dual_mov_b32 v3, v2 :: v_dual_mov_b32 v4, v2
	v_dual_mov_b32 v5, v2 :: v_dual_mov_b32 v6, v2
	;; [unrolled: 1-line block ×3, first 2 shown]
	v_mov_b32_e32 v9, v2
	s_and_not1_b32 vcc_lo, exec_lo, s3
	s_cbranch_vccz .LBB52_14
	s_branch .LBB52_19
	.section	.rodata,"a",@progbits
	.p2align	6, 0x0
	.amdhsa_kernel _ZN2at6native12_GLOBAL__N_125multi_tensor_apply_kernelINS1_18TensorListMetadataILi1EEENS0_13LpNormFunctorIfLNS0_8NormTypeE0EdLi1ELi1ELi0EEEJPdiEEEvT_T0_DpT1_
		.amdhsa_group_segment_fixed_size 4096
		.amdhsa_private_segment_fixed_size 0
		.amdhsa_kernarg_size 3648
		.amdhsa_user_sgpr_count 2
		.amdhsa_user_sgpr_dispatch_ptr 0
		.amdhsa_user_sgpr_queue_ptr 0
		.amdhsa_user_sgpr_kernarg_segment_ptr 1
		.amdhsa_user_sgpr_dispatch_id 0
		.amdhsa_user_sgpr_kernarg_preload_length 0
		.amdhsa_user_sgpr_kernarg_preload_offset 0
		.amdhsa_user_sgpr_private_segment_size 0
		.amdhsa_wavefront_size32 1
		.amdhsa_uses_dynamic_stack 0
		.amdhsa_enable_private_segment 0
		.amdhsa_system_sgpr_workgroup_id_x 1
		.amdhsa_system_sgpr_workgroup_id_y 0
		.amdhsa_system_sgpr_workgroup_id_z 0
		.amdhsa_system_sgpr_workgroup_info 0
		.amdhsa_system_vgpr_workitem_id 0
		.amdhsa_next_free_vgpr 26
		.amdhsa_next_free_sgpr 14
		.amdhsa_named_barrier_count 0
		.amdhsa_reserve_vcc 1
		.amdhsa_float_round_mode_32 0
		.amdhsa_float_round_mode_16_64 0
		.amdhsa_float_denorm_mode_32 3
		.amdhsa_float_denorm_mode_16_64 3
		.amdhsa_fp16_overflow 0
		.amdhsa_memory_ordered 1
		.amdhsa_forward_progress 1
		.amdhsa_inst_pref_size 14
		.amdhsa_round_robin_scheduling 0
		.amdhsa_exception_fp_ieee_invalid_op 0
		.amdhsa_exception_fp_denorm_src 0
		.amdhsa_exception_fp_ieee_div_zero 0
		.amdhsa_exception_fp_ieee_overflow 0
		.amdhsa_exception_fp_ieee_underflow 0
		.amdhsa_exception_fp_ieee_inexact 0
		.amdhsa_exception_int_div_zero 0
	.end_amdhsa_kernel
	.section	.text._ZN2at6native12_GLOBAL__N_125multi_tensor_apply_kernelINS1_18TensorListMetadataILi1EEENS0_13LpNormFunctorIfLNS0_8NormTypeE0EdLi1ELi1ELi0EEEJPdiEEEvT_T0_DpT1_,"axG",@progbits,_ZN2at6native12_GLOBAL__N_125multi_tensor_apply_kernelINS1_18TensorListMetadataILi1EEENS0_13LpNormFunctorIfLNS0_8NormTypeE0EdLi1ELi1ELi0EEEJPdiEEEvT_T0_DpT1_,comdat
.Lfunc_end52:
	.size	_ZN2at6native12_GLOBAL__N_125multi_tensor_apply_kernelINS1_18TensorListMetadataILi1EEENS0_13LpNormFunctorIfLNS0_8NormTypeE0EdLi1ELi1ELi0EEEJPdiEEEvT_T0_DpT1_, .Lfunc_end52-_ZN2at6native12_GLOBAL__N_125multi_tensor_apply_kernelINS1_18TensorListMetadataILi1EEENS0_13LpNormFunctorIfLNS0_8NormTypeE0EdLi1ELi1ELi0EEEJPdiEEEvT_T0_DpT1_
                                        ; -- End function
	.set _ZN2at6native12_GLOBAL__N_125multi_tensor_apply_kernelINS1_18TensorListMetadataILi1EEENS0_13LpNormFunctorIfLNS0_8NormTypeE0EdLi1ELi1ELi0EEEJPdiEEEvT_T0_DpT1_.num_vgpr, 26
	.set _ZN2at6native12_GLOBAL__N_125multi_tensor_apply_kernelINS1_18TensorListMetadataILi1EEENS0_13LpNormFunctorIfLNS0_8NormTypeE0EdLi1ELi1ELi0EEEJPdiEEEvT_T0_DpT1_.num_agpr, 0
	.set _ZN2at6native12_GLOBAL__N_125multi_tensor_apply_kernelINS1_18TensorListMetadataILi1EEENS0_13LpNormFunctorIfLNS0_8NormTypeE0EdLi1ELi1ELi0EEEJPdiEEEvT_T0_DpT1_.numbered_sgpr, 14
	.set _ZN2at6native12_GLOBAL__N_125multi_tensor_apply_kernelINS1_18TensorListMetadataILi1EEENS0_13LpNormFunctorIfLNS0_8NormTypeE0EdLi1ELi1ELi0EEEJPdiEEEvT_T0_DpT1_.num_named_barrier, 0
	.set _ZN2at6native12_GLOBAL__N_125multi_tensor_apply_kernelINS1_18TensorListMetadataILi1EEENS0_13LpNormFunctorIfLNS0_8NormTypeE0EdLi1ELi1ELi0EEEJPdiEEEvT_T0_DpT1_.private_seg_size, 0
	.set _ZN2at6native12_GLOBAL__N_125multi_tensor_apply_kernelINS1_18TensorListMetadataILi1EEENS0_13LpNormFunctorIfLNS0_8NormTypeE0EdLi1ELi1ELi0EEEJPdiEEEvT_T0_DpT1_.uses_vcc, 1
	.set _ZN2at6native12_GLOBAL__N_125multi_tensor_apply_kernelINS1_18TensorListMetadataILi1EEENS0_13LpNormFunctorIfLNS0_8NormTypeE0EdLi1ELi1ELi0EEEJPdiEEEvT_T0_DpT1_.uses_flat_scratch, 0
	.set _ZN2at6native12_GLOBAL__N_125multi_tensor_apply_kernelINS1_18TensorListMetadataILi1EEENS0_13LpNormFunctorIfLNS0_8NormTypeE0EdLi1ELi1ELi0EEEJPdiEEEvT_T0_DpT1_.has_dyn_sized_stack, 0
	.set _ZN2at6native12_GLOBAL__N_125multi_tensor_apply_kernelINS1_18TensorListMetadataILi1EEENS0_13LpNormFunctorIfLNS0_8NormTypeE0EdLi1ELi1ELi0EEEJPdiEEEvT_T0_DpT1_.has_recursion, 0
	.set _ZN2at6native12_GLOBAL__N_125multi_tensor_apply_kernelINS1_18TensorListMetadataILi1EEENS0_13LpNormFunctorIfLNS0_8NormTypeE0EdLi1ELi1ELi0EEEJPdiEEEvT_T0_DpT1_.has_indirect_call, 0
	.section	.AMDGPU.csdata,"",@progbits
; Kernel info:
; codeLenInByte = 1708
; TotalNumSgprs: 16
; NumVgprs: 26
; ScratchSize: 0
; MemoryBound: 0
; FloatMode: 240
; IeeeMode: 1
; LDSByteSize: 4096 bytes/workgroup (compile time only)
; SGPRBlocks: 0
; VGPRBlocks: 1
; NumSGPRsForWavesPerEU: 16
; NumVGPRsForWavesPerEU: 26
; NamedBarCnt: 0
; Occupancy: 16
; WaveLimiterHint : 0
; COMPUTE_PGM_RSRC2:SCRATCH_EN: 0
; COMPUTE_PGM_RSRC2:USER_SGPR: 2
; COMPUTE_PGM_RSRC2:TRAP_HANDLER: 0
; COMPUTE_PGM_RSRC2:TGID_X_EN: 1
; COMPUTE_PGM_RSRC2:TGID_Y_EN: 0
; COMPUTE_PGM_RSRC2:TGID_Z_EN: 0
; COMPUTE_PGM_RSRC2:TIDIG_COMP_CNT: 0
	.section	.text._ZN2at6native12_GLOBAL__N_125multi_tensor_apply_kernelINS1_18TensorListMetadataILi1EEENS0_13LpNormFunctorIfLNS0_8NormTypeE1EdLi1ELi1ELi0EEEJPdiEEEvT_T0_DpT1_,"axG",@progbits,_ZN2at6native12_GLOBAL__N_125multi_tensor_apply_kernelINS1_18TensorListMetadataILi1EEENS0_13LpNormFunctorIfLNS0_8NormTypeE1EdLi1ELi1ELi0EEEJPdiEEEvT_T0_DpT1_,comdat
	.globl	_ZN2at6native12_GLOBAL__N_125multi_tensor_apply_kernelINS1_18TensorListMetadataILi1EEENS0_13LpNormFunctorIfLNS0_8NormTypeE1EdLi1ELi1ELi0EEEJPdiEEEvT_T0_DpT1_ ; -- Begin function _ZN2at6native12_GLOBAL__N_125multi_tensor_apply_kernelINS1_18TensorListMetadataILi1EEENS0_13LpNormFunctorIfLNS0_8NormTypeE1EdLi1ELi1ELi0EEEJPdiEEEvT_T0_DpT1_
	.p2align	8
	.type	_ZN2at6native12_GLOBAL__N_125multi_tensor_apply_kernelINS1_18TensorListMetadataILi1EEENS0_13LpNormFunctorIfLNS0_8NormTypeE1EdLi1ELi1ELi0EEEJPdiEEEvT_T0_DpT1_,@function
_ZN2at6native12_GLOBAL__N_125multi_tensor_apply_kernelINS1_18TensorListMetadataILi1EEENS0_13LpNormFunctorIfLNS0_8NormTypeE1EdLi1ELi1ELi0EEEJPdiEEEvT_T0_DpT1_: ; @_ZN2at6native12_GLOBAL__N_125multi_tensor_apply_kernelINS1_18TensorListMetadataILi1EEENS0_13LpNormFunctorIfLNS0_8NormTypeE1EdLi1ELi1ELi0EEEJPdiEEEvT_T0_DpT1_
; %bb.0:
	s_bfe_u32 s2, ttmp6, 0x4000c
	s_and_b32 s3, ttmp6, 15
	s_add_co_i32 s2, s2, 1
	s_getreg_b32 s4, hwreg(HW_REG_IB_STS2, 6, 4)
	s_mul_i32 s2, ttmp9, s2
	s_delay_alu instid0(SALU_CYCLE_1)
	s_add_co_i32 s3, s3, s2
	s_cmp_eq_u32 s4, 0
	s_cselect_b32 s2, ttmp9, s3
	s_mov_b32 s3, 0
	v_mov_b32_e32 v1, s2
	s_add_nc_u64 s[4:5], s[0:1], s[2:3]
	s_mul_u64 s[6:7], s[2:3], 3
	s_delay_alu instid0(SALU_CYCLE_1) | instskip(SKIP_4) | instid1(SALU_CYCLE_1)
	s_add_nc_u64 s[4:5], s[4:5], s[6:7]
	global_load_u8 v21, v1, s[0:1] offset:1760
	s_load_b32 s4, s[4:5], 0x820
	s_wait_kmcnt 0x0
	s_ashr_i32 s5, s4, 31
	s_lshl_b64 s[10:11], s[4:5], 18
	s_lshl_b64 s[12:13], s[4:5], 16
	s_wait_loadcnt 0x0
	v_readfirstlane_b32 s2, v21
	s_and_b32 s2, s2, 0xff
	s_clause 0x1
	s_load_b64 s[6:7], s[0:1], s2 offset:0x0 scale_offset
	s_load_b64 s[8:9], s[0:1], s2 offset:0x370 scale_offset
	s_wait_kmcnt 0x0
	s_add_nc_u64 s[6:7], s[6:7], s[10:11]
	s_and_b32 s2, s8, 3
	s_and_b64 s[10:11], s[6:7], 15
	s_sub_nc_u64 s[8:9], s[8:9], s[12:13]
	s_or_b64 s[10:11], s[2:3], s[10:11]
	s_delay_alu instid0(SALU_CYCLE_1)
	s_cmp_eq_u64 s[10:11], 0
	s_cbranch_scc1 .LBB53_12
; %bb.1:
	v_cmp_lt_i64_e64 s2, s[8:9], 1
	s_and_b32 vcc_lo, exec_lo, s2
	s_cbranch_vccnz .LBB53_28
; %bb.2:
	s_load_b32 s2, s[0:1], 0xd4c
	v_min_i64 v[18:19], 0x10000, s[8:9]
	s_mov_b32 s11, 0
	s_mov_b64 s[12:13], 0
	s_wait_kmcnt 0x0
	s_and_b32 s2, s2, 0xffff
	s_delay_alu instid0(SALU_CYCLE_1) | instskip(SKIP_3) | instid1(VALU_DEP_3)
	v_dual_mov_b32 v11, 0 :: v_dual_add_nc_u32 v24, s2, v0
	v_mad_u32 v20, s2, 3, v0
	v_lshl_add_u32 v22, s2, 1, v0
	s_lshl_b32 s10, s2, 2
	v_dual_mov_b32 v10, v11 :: v_dual_mov_b32 v12, v11
	v_dual_mov_b32 v13, v11 :: v_dual_mov_b32 v14, v11
	;; [unrolled: 1-line block ×3, first 2 shown]
	v_mov_b32_e32 v17, v11
	s_delay_alu instid0(VALU_DEP_4) | instskip(NEXT) | instid1(VALU_DEP_4)
	v_mov_b64_e32 v[2:3], v[10:11]
	v_mov_b64_e32 v[4:5], v[12:13]
	s_delay_alu instid0(VALU_DEP_4) | instskip(NEXT) | instid1(VALU_DEP_4)
	v_mov_b64_e32 v[6:7], v[14:15]
	v_mov_b64_e32 v[8:9], v[16:17]
	s_branch .LBB53_4
.LBB53_3:                               ;   in Loop: Header=BB53_4 Depth=1
	s_or_b32 exec_lo, exec_lo, s2
	s_add_nc_u64 s[12:13], s[12:13], s[10:11]
	s_delay_alu instid0(SALU_CYCLE_1)
	v_cmp_lt_i64_e32 vcc_lo, s[12:13], v[18:19]
	s_cbranch_vccz .LBB53_13
.LBB53_4:                               ; =>This Inner Loop Header: Depth=1
	v_add_nc_u32_e32 v10, s12, v0
	s_delay_alu instid0(VALU_DEP_1) | instskip(SKIP_2) | instid1(SALU_CYCLE_1)
	v_cmp_gt_i64_e32 vcc_lo, s[8:9], v[10:11]
	v_cmp_gt_u32_e64 s2, 0x10000, v10
	s_and_b32 s5, s2, vcc_lo
	s_and_saveexec_b32 s2, s5
	s_cbranch_execz .LBB53_6
; %bb.5:                                ;   in Loop: Header=BB53_4 Depth=1
	v_lshl_add_u64 v[12:13], v[10:11], 2, s[6:7]
	global_load_b32 v1, v[12:13], off
	s_wait_loadcnt 0x0
	v_cvt_f64_f32_e64 v[12:13], |v1|
	s_delay_alu instid0(VALU_DEP_1)
	v_add_f64_e32 v[2:3], v[2:3], v[12:13]
.LBB53_6:                               ;   in Loop: Header=BB53_4 Depth=1
	s_or_b32 exec_lo, exec_lo, s2
	v_add_nc_u32_e32 v10, s12, v24
	s_delay_alu instid0(VALU_DEP_1) | instskip(SKIP_2) | instid1(SALU_CYCLE_1)
	v_cmp_gt_i64_e32 vcc_lo, s[8:9], v[10:11]
	v_cmp_gt_u32_e64 s2, 0x10000, v10
	s_and_b32 s5, s2, vcc_lo
	s_and_saveexec_b32 s2, s5
	s_cbranch_execz .LBB53_8
; %bb.7:                                ;   in Loop: Header=BB53_4 Depth=1
	v_lshl_add_u64 v[12:13], v[10:11], 2, s[6:7]
	global_load_b32 v1, v[12:13], off
	s_wait_loadcnt 0x0
	v_cvt_f64_f32_e64 v[12:13], |v1|
	s_delay_alu instid0(VALU_DEP_1)
	v_add_f64_e32 v[4:5], v[4:5], v[12:13]
.LBB53_8:                               ;   in Loop: Header=BB53_4 Depth=1
	s_or_b32 exec_lo, exec_lo, s2
	v_add_nc_u32_e32 v10, s12, v22
	s_delay_alu instid0(VALU_DEP_1) | instskip(SKIP_2) | instid1(SALU_CYCLE_1)
	v_cmp_gt_i64_e32 vcc_lo, s[8:9], v[10:11]
	v_cmp_gt_u32_e64 s2, 0x10000, v10
	s_and_b32 s5, s2, vcc_lo
	s_and_saveexec_b32 s2, s5
	s_cbranch_execz .LBB53_10
; %bb.9:                                ;   in Loop: Header=BB53_4 Depth=1
	v_lshl_add_u64 v[12:13], v[10:11], 2, s[6:7]
	global_load_b32 v1, v[12:13], off
	s_wait_loadcnt 0x0
	v_cvt_f64_f32_e64 v[12:13], |v1|
	s_delay_alu instid0(VALU_DEP_1)
	v_add_f64_e32 v[6:7], v[6:7], v[12:13]
.LBB53_10:                              ;   in Loop: Header=BB53_4 Depth=1
	s_or_b32 exec_lo, exec_lo, s2
	v_add_nc_u32_e32 v10, s12, v20
	s_delay_alu instid0(VALU_DEP_1) | instskip(SKIP_2) | instid1(SALU_CYCLE_1)
	v_cmp_gt_i64_e32 vcc_lo, s[8:9], v[10:11]
	v_cmp_gt_u32_e64 s2, 0x10000, v10
	s_and_b32 s5, s2, vcc_lo
	s_and_saveexec_b32 s2, s5
	s_cbranch_execz .LBB53_3
; %bb.11:                               ;   in Loop: Header=BB53_4 Depth=1
	v_lshl_add_u64 v[12:13], v[10:11], 2, s[6:7]
	global_load_b32 v1, v[12:13], off
	s_wait_loadcnt 0x0
	v_cvt_f64_f32_e64 v[12:13], |v1|
	s_delay_alu instid0(VALU_DEP_1)
	v_add_f64_e32 v[8:9], v[8:9], v[12:13]
	s_branch .LBB53_3
.LBB53_12:
	s_mov_b32 s3, -1
                                        ; implicit-def: $vgpr2_vgpr3_vgpr4_vgpr5_vgpr6_vgpr7_vgpr8_vgpr9
.LBB53_13:
	s_delay_alu instid0(SALU_CYCLE_1)
	s_and_not1_b32 vcc_lo, exec_lo, s3
	s_cbranch_vccnz .LBB53_19
.LBB53_14:
	v_min_i64 v[10:11], 0x10000, s[8:9]
	v_dual_mov_b32 v3, 0 :: v_dual_lshlrev_b32 v2, 2, v0
	s_mov_b32 s3, 0
	s_delay_alu instid0(VALU_DEP_1)
	v_dual_mov_b32 v4, v3 :: v_dual_mov_b32 v5, v3
	v_dual_mov_b32 v6, v3 :: v_dual_mov_b32 v7, v3
	;; [unrolled: 1-line block ×3, first 2 shown]
	v_cmp_lt_i64_e32 vcc_lo, v[2:3], v[10:11]
	v_mov_b32_e32 v2, v3
	s_and_saveexec_b32 s5, vcc_lo
	s_cbranch_execz .LBB53_18
; %bb.15:
	s_load_b32 s2, s[0:1], 0xd4c
	v_dual_mov_b32 v1, v3 :: v_dual_lshlrev_b32 v2, 4, v0
	v_mov_b64_e32 v[4:5], 0
	v_mov_b64_e32 v[6:7], 0
	;; [unrolled: 1-line block ×3, first 2 shown]
	s_delay_alu instid0(VALU_DEP_4) | instskip(SKIP_4) | instid1(VALU_DEP_3)
	v_add_nc_u64_e32 v[12:13], s[6:7], v[2:3]
	v_mov_b64_e32 v[2:3], 0
	v_mov_b64_e32 v[14:15], v[0:1]
	s_mov_b32 s7, s3
	s_mov_b32 s8, s3
	v_add_nc_u64_e32 v[12:13], 8, v[12:13]
	s_wait_kmcnt 0x0
	s_and_b32 s2, s2, 0xffff
	s_delay_alu instid0(SALU_CYCLE_1)
	s_lshl_b32 s6, s2, 4
.LBB53_16:                              ; =>This Inner Loop Header: Depth=1
	global_load_b128 v[16:19], v[12:13], off offset:-8
	v_add_nc_u64_e32 v[14:15], s[2:3], v[14:15]
	s_wait_xcnt 0x0
	v_add_nc_u64_e32 v[12:13], s[6:7], v[12:13]
	s_wait_loadcnt 0x0
	v_cvt_f64_f32_e64 v[22:23], |v16|
	v_cvt_f64_f32_e64 v[16:17], |v17|
	;; [unrolled: 1-line block ×4, first 2 shown]
	s_delay_alu instid0(VALU_DEP_4) | instskip(NEXT) | instid1(VALU_DEP_4)
	v_add_f64_e32 v[2:3], v[2:3], v[22:23]
	v_add_f64_e32 v[4:5], v[4:5], v[16:17]
	s_delay_alu instid0(VALU_DEP_4) | instskip(NEXT) | instid1(VALU_DEP_4)
	v_add_f64_e32 v[6:7], v[6:7], v[24:25]
	v_add_f64_e32 v[8:9], v[8:9], v[18:19]
	v_lshlrev_b64_e32 v[16:17], 2, v[14:15]
	s_delay_alu instid0(VALU_DEP_1) | instskip(SKIP_1) | instid1(SALU_CYCLE_1)
	v_cmp_ge_i64_e32 vcc_lo, v[16:17], v[10:11]
	s_or_b32 s8, vcc_lo, s8
	s_and_not1_b32 exec_lo, exec_lo, s8
	s_cbranch_execnz .LBB53_16
; %bb.17:
	s_or_b32 exec_lo, exec_lo, s8
.LBB53_18:
	s_delay_alu instid0(SALU_CYCLE_1)
	s_or_b32 exec_lo, exec_lo, s5
.LBB53_19:
	s_delay_alu instid0(VALU_DEP_1) | instskip(SKIP_3) | instid1(VALU_DEP_1)
	v_add_f64_e32 v[2:3], 0, v[2:3]
	s_mov_b32 s2, exec_lo
	s_barrier_signal -1
	s_barrier_wait -1
	v_dual_add_f64 v[2:3], v[4:5], v[2:3] :: v_dual_bitop2_b32 v10, 31, v0 bitop3:0x40
	s_delay_alu instid0(VALU_DEP_1) | instskip(NEXT) | instid1(VALU_DEP_1)
	v_add_f64_e32 v[2:3], v[6:7], v[2:3]
	v_add_f64_e32 v[2:3], v[8:9], v[2:3]
	v_mbcnt_lo_u32_b32 v9, -1, 0
	s_delay_alu instid0(VALU_DEP_1)
	v_lshl_or_b32 v1, v9, 2, 64
	v_cmp_gt_u32_e32 vcc_lo, 24, v9
	ds_bpermute_b32 v4, v1, v2
	ds_bpermute_b32 v5, v1, v3
	s_wait_dscnt 0x0
	v_add_f64_e32 v[2:3], v[2:3], v[4:5]
	v_cndmask_b32_e64 v4, 0, 8, vcc_lo
	v_cmp_gt_u32_e32 vcc_lo, 28, v9
	s_delay_alu instid0(VALU_DEP_2)
	v_add_lshl_u32 v6, v4, v9, 2
	ds_bpermute_b32 v4, v6, v2
	ds_bpermute_b32 v5, v6, v3
	s_wait_dscnt 0x0
	v_add_f64_e32 v[2:3], v[2:3], v[4:5]
	v_cndmask_b32_e64 v4, 0, 4, vcc_lo
	v_cmp_gt_u32_e32 vcc_lo, 30, v9
	s_delay_alu instid0(VALU_DEP_2)
	v_add_lshl_u32 v7, v4, v9, 2
	ds_bpermute_b32 v4, v7, v2
	ds_bpermute_b32 v5, v7, v3
	s_wait_dscnt 0x0
	v_add_f64_e32 v[2:3], v[2:3], v[4:5]
	v_cndmask_b32_e64 v4, 0, 2, vcc_lo
	v_cmp_ne_u32_e32 vcc_lo, 31, v9
	s_delay_alu instid0(VALU_DEP_2)
	v_add_lshl_u32 v8, v4, v9, 2
	ds_bpermute_b32 v4, v8, v2
	ds_bpermute_b32 v5, v8, v3
	s_wait_dscnt 0x0
	v_add_f64_e32 v[2:3], v[2:3], v[4:5]
	v_add_co_ci_u32_e64 v4, null, 0, v9, vcc_lo
	s_delay_alu instid0(VALU_DEP_1)
	v_lshlrev_b32_e32 v9, 2, v4
	ds_bpermute_b32 v4, v9, v2
	ds_bpermute_b32 v5, v9, v3
	v_cmpx_eq_u32_e32 0, v10
	s_cbranch_execz .LBB53_21
; %bb.20:
	s_wait_dscnt 0x0
	v_add_f64_e32 v[2:3], v[2:3], v[4:5]
	v_lshrrev_b32_e32 v4, 2, v0
	ds_store_b64 v4, v[2:3]
.LBB53_21:
	s_or_b32 exec_lo, exec_lo, s2
	s_wait_dscnt 0x0
	s_barrier_signal -1
	s_barrier_wait -1
	s_load_b32 s2, s[0:1], 0xd4c
	v_mov_b64_e32 v[2:3], 0
	s_wait_kmcnt 0x0
	s_bfe_u32 s2, s2, 0xb0005
	s_delay_alu instid0(SALU_CYCLE_1)
	v_cmp_gt_u32_e32 vcc_lo, s2, v0
	s_and_saveexec_b32 s2, vcc_lo
; %bb.22:
	v_lshlrev_b32_e32 v2, 3, v10
	ds_load_b64 v[2:3], v2
; %bb.23:
	s_or_b32 exec_lo, exec_lo, s2
	s_delay_alu instid0(SALU_CYCLE_1)
	s_mov_b32 s2, exec_lo
	v_cmpx_gt_u32_e32 32, v0
	s_cbranch_execz .LBB53_25
; %bb.24:
	s_wait_dscnt 0x0
	ds_bpermute_b32 v4, v1, v2
	ds_bpermute_b32 v5, v1, v3
	s_wait_dscnt 0x0
	v_add_f64_e32 v[2:3], v[2:3], v[4:5]
	ds_bpermute_b32 v4, v6, v2
	ds_bpermute_b32 v5, v6, v3
	s_wait_dscnt 0x0
	v_add_f64_e32 v[2:3], v[2:3], v[4:5]
	;; [unrolled: 4-line block ×5, first 2 shown]
.LBB53_25:
	s_or_b32 exec_lo, exec_lo, s2
	s_delay_alu instid0(SALU_CYCLE_1)
	s_mov_b32 s2, exec_lo
	v_cmpx_eq_u32_e32 0, v0
	s_cbranch_execz .LBB53_27
; %bb.26:
	s_clause 0x1
	s_load_b32 s2, s[0:1], 0xd20
	s_load_b96 s[8:10], s[0:1], 0xd30
	v_and_b32_e32 v0, 0xff, v21
	s_wait_kmcnt 0x0
	s_delay_alu instid0(VALU_DEP_1) | instskip(NEXT) | instid1(VALU_DEP_1)
	v_add_nc_u32_e32 v0, s2, v0
	v_mul_lo_u32 v0, v0, s10
	s_delay_alu instid0(VALU_DEP_1)
	v_add_nc_u32_e32 v0, s4, v0
	s_wait_dscnt 0x0
	global_store_b64 v0, v[2:3], s[8:9] scale_offset
.LBB53_27:
	s_endpgm
.LBB53_28:
	v_mov_b32_e32 v2, 0
	s_delay_alu instid0(VALU_DEP_1)
	v_dual_mov_b32 v3, v2 :: v_dual_mov_b32 v4, v2
	v_dual_mov_b32 v5, v2 :: v_dual_mov_b32 v6, v2
	;; [unrolled: 1-line block ×3, first 2 shown]
	v_mov_b32_e32 v9, v2
	s_and_not1_b32 vcc_lo, exec_lo, s3
	s_cbranch_vccz .LBB53_14
	s_branch .LBB53_19
	.section	.rodata,"a",@progbits
	.p2align	6, 0x0
	.amdhsa_kernel _ZN2at6native12_GLOBAL__N_125multi_tensor_apply_kernelINS1_18TensorListMetadataILi1EEENS0_13LpNormFunctorIfLNS0_8NormTypeE1EdLi1ELi1ELi0EEEJPdiEEEvT_T0_DpT1_
		.amdhsa_group_segment_fixed_size 4096
		.amdhsa_private_segment_fixed_size 0
		.amdhsa_kernarg_size 3648
		.amdhsa_user_sgpr_count 2
		.amdhsa_user_sgpr_dispatch_ptr 0
		.amdhsa_user_sgpr_queue_ptr 0
		.amdhsa_user_sgpr_kernarg_segment_ptr 1
		.amdhsa_user_sgpr_dispatch_id 0
		.amdhsa_user_sgpr_kernarg_preload_length 0
		.amdhsa_user_sgpr_kernarg_preload_offset 0
		.amdhsa_user_sgpr_private_segment_size 0
		.amdhsa_wavefront_size32 1
		.amdhsa_uses_dynamic_stack 0
		.amdhsa_enable_private_segment 0
		.amdhsa_system_sgpr_workgroup_id_x 1
		.amdhsa_system_sgpr_workgroup_id_y 0
		.amdhsa_system_sgpr_workgroup_id_z 0
		.amdhsa_system_sgpr_workgroup_info 0
		.amdhsa_system_vgpr_workitem_id 0
		.amdhsa_next_free_vgpr 26
		.amdhsa_next_free_sgpr 14
		.amdhsa_named_barrier_count 0
		.amdhsa_reserve_vcc 1
		.amdhsa_float_round_mode_32 0
		.amdhsa_float_round_mode_16_64 0
		.amdhsa_float_denorm_mode_32 3
		.amdhsa_float_denorm_mode_16_64 3
		.amdhsa_fp16_overflow 0
		.amdhsa_memory_ordered 1
		.amdhsa_forward_progress 1
		.amdhsa_inst_pref_size 13
		.amdhsa_round_robin_scheduling 0
		.amdhsa_exception_fp_ieee_invalid_op 0
		.amdhsa_exception_fp_denorm_src 0
		.amdhsa_exception_fp_ieee_div_zero 0
		.amdhsa_exception_fp_ieee_overflow 0
		.amdhsa_exception_fp_ieee_underflow 0
		.amdhsa_exception_fp_ieee_inexact 0
		.amdhsa_exception_int_div_zero 0
	.end_amdhsa_kernel
	.section	.text._ZN2at6native12_GLOBAL__N_125multi_tensor_apply_kernelINS1_18TensorListMetadataILi1EEENS0_13LpNormFunctorIfLNS0_8NormTypeE1EdLi1ELi1ELi0EEEJPdiEEEvT_T0_DpT1_,"axG",@progbits,_ZN2at6native12_GLOBAL__N_125multi_tensor_apply_kernelINS1_18TensorListMetadataILi1EEENS0_13LpNormFunctorIfLNS0_8NormTypeE1EdLi1ELi1ELi0EEEJPdiEEEvT_T0_DpT1_,comdat
.Lfunc_end53:
	.size	_ZN2at6native12_GLOBAL__N_125multi_tensor_apply_kernelINS1_18TensorListMetadataILi1EEENS0_13LpNormFunctorIfLNS0_8NormTypeE1EdLi1ELi1ELi0EEEJPdiEEEvT_T0_DpT1_, .Lfunc_end53-_ZN2at6native12_GLOBAL__N_125multi_tensor_apply_kernelINS1_18TensorListMetadataILi1EEENS0_13LpNormFunctorIfLNS0_8NormTypeE1EdLi1ELi1ELi0EEEJPdiEEEvT_T0_DpT1_
                                        ; -- End function
	.set _ZN2at6native12_GLOBAL__N_125multi_tensor_apply_kernelINS1_18TensorListMetadataILi1EEENS0_13LpNormFunctorIfLNS0_8NormTypeE1EdLi1ELi1ELi0EEEJPdiEEEvT_T0_DpT1_.num_vgpr, 26
	.set _ZN2at6native12_GLOBAL__N_125multi_tensor_apply_kernelINS1_18TensorListMetadataILi1EEENS0_13LpNormFunctorIfLNS0_8NormTypeE1EdLi1ELi1ELi0EEEJPdiEEEvT_T0_DpT1_.num_agpr, 0
	.set _ZN2at6native12_GLOBAL__N_125multi_tensor_apply_kernelINS1_18TensorListMetadataILi1EEENS0_13LpNormFunctorIfLNS0_8NormTypeE1EdLi1ELi1ELi0EEEJPdiEEEvT_T0_DpT1_.numbered_sgpr, 14
	.set _ZN2at6native12_GLOBAL__N_125multi_tensor_apply_kernelINS1_18TensorListMetadataILi1EEENS0_13LpNormFunctorIfLNS0_8NormTypeE1EdLi1ELi1ELi0EEEJPdiEEEvT_T0_DpT1_.num_named_barrier, 0
	.set _ZN2at6native12_GLOBAL__N_125multi_tensor_apply_kernelINS1_18TensorListMetadataILi1EEENS0_13LpNormFunctorIfLNS0_8NormTypeE1EdLi1ELi1ELi0EEEJPdiEEEvT_T0_DpT1_.private_seg_size, 0
	.set _ZN2at6native12_GLOBAL__N_125multi_tensor_apply_kernelINS1_18TensorListMetadataILi1EEENS0_13LpNormFunctorIfLNS0_8NormTypeE1EdLi1ELi1ELi0EEEJPdiEEEvT_T0_DpT1_.uses_vcc, 1
	.set _ZN2at6native12_GLOBAL__N_125multi_tensor_apply_kernelINS1_18TensorListMetadataILi1EEENS0_13LpNormFunctorIfLNS0_8NormTypeE1EdLi1ELi1ELi0EEEJPdiEEEvT_T0_DpT1_.uses_flat_scratch, 0
	.set _ZN2at6native12_GLOBAL__N_125multi_tensor_apply_kernelINS1_18TensorListMetadataILi1EEENS0_13LpNormFunctorIfLNS0_8NormTypeE1EdLi1ELi1ELi0EEEJPdiEEEvT_T0_DpT1_.has_dyn_sized_stack, 0
	.set _ZN2at6native12_GLOBAL__N_125multi_tensor_apply_kernelINS1_18TensorListMetadataILi1EEENS0_13LpNormFunctorIfLNS0_8NormTypeE1EdLi1ELi1ELi0EEEJPdiEEEvT_T0_DpT1_.has_recursion, 0
	.set _ZN2at6native12_GLOBAL__N_125multi_tensor_apply_kernelINS1_18TensorListMetadataILi1EEENS0_13LpNormFunctorIfLNS0_8NormTypeE1EdLi1ELi1ELi0EEEJPdiEEEvT_T0_DpT1_.has_indirect_call, 0
	.section	.AMDGPU.csdata,"",@progbits
; Kernel info:
; codeLenInByte = 1588
; TotalNumSgprs: 16
; NumVgprs: 26
; ScratchSize: 0
; MemoryBound: 0
; FloatMode: 240
; IeeeMode: 1
; LDSByteSize: 4096 bytes/workgroup (compile time only)
; SGPRBlocks: 0
; VGPRBlocks: 1
; NumSGPRsForWavesPerEU: 16
; NumVGPRsForWavesPerEU: 26
; NamedBarCnt: 0
; Occupancy: 16
; WaveLimiterHint : 0
; COMPUTE_PGM_RSRC2:SCRATCH_EN: 0
; COMPUTE_PGM_RSRC2:USER_SGPR: 2
; COMPUTE_PGM_RSRC2:TRAP_HANDLER: 0
; COMPUTE_PGM_RSRC2:TGID_X_EN: 1
; COMPUTE_PGM_RSRC2:TGID_Y_EN: 0
; COMPUTE_PGM_RSRC2:TGID_Z_EN: 0
; COMPUTE_PGM_RSRC2:TIDIG_COMP_CNT: 0
	.section	.text._ZN2at6native12_GLOBAL__N_125multi_tensor_apply_kernelINS1_18TensorListMetadataILi1EEENS0_13LpNormFunctorIfLNS0_8NormTypeE2EdLi1ELi1ELi0EEEJPdiEEEvT_T0_DpT1_,"axG",@progbits,_ZN2at6native12_GLOBAL__N_125multi_tensor_apply_kernelINS1_18TensorListMetadataILi1EEENS0_13LpNormFunctorIfLNS0_8NormTypeE2EdLi1ELi1ELi0EEEJPdiEEEvT_T0_DpT1_,comdat
	.globl	_ZN2at6native12_GLOBAL__N_125multi_tensor_apply_kernelINS1_18TensorListMetadataILi1EEENS0_13LpNormFunctorIfLNS0_8NormTypeE2EdLi1ELi1ELi0EEEJPdiEEEvT_T0_DpT1_ ; -- Begin function _ZN2at6native12_GLOBAL__N_125multi_tensor_apply_kernelINS1_18TensorListMetadataILi1EEENS0_13LpNormFunctorIfLNS0_8NormTypeE2EdLi1ELi1ELi0EEEJPdiEEEvT_T0_DpT1_
	.p2align	8
	.type	_ZN2at6native12_GLOBAL__N_125multi_tensor_apply_kernelINS1_18TensorListMetadataILi1EEENS0_13LpNormFunctorIfLNS0_8NormTypeE2EdLi1ELi1ELi0EEEJPdiEEEvT_T0_DpT1_,@function
_ZN2at6native12_GLOBAL__N_125multi_tensor_apply_kernelINS1_18TensorListMetadataILi1EEENS0_13LpNormFunctorIfLNS0_8NormTypeE2EdLi1ELi1ELi0EEEJPdiEEEvT_T0_DpT1_: ; @_ZN2at6native12_GLOBAL__N_125multi_tensor_apply_kernelINS1_18TensorListMetadataILi1EEENS0_13LpNormFunctorIfLNS0_8NormTypeE2EdLi1ELi1ELi0EEEJPdiEEEvT_T0_DpT1_
; %bb.0:
	s_bfe_u32 s2, ttmp6, 0x4000c
	s_and_b32 s3, ttmp6, 15
	s_add_co_i32 s2, s2, 1
	s_getreg_b32 s4, hwreg(HW_REG_IB_STS2, 6, 4)
	s_mul_i32 s2, ttmp9, s2
	s_delay_alu instid0(SALU_CYCLE_1)
	s_add_co_i32 s3, s3, s2
	s_cmp_eq_u32 s4, 0
	s_cselect_b32 s2, ttmp9, s3
	s_mov_b32 s3, 0
	v_mov_b32_e32 v1, s2
	s_add_nc_u64 s[4:5], s[0:1], s[2:3]
	s_mul_u64 s[6:7], s[2:3], 3
	s_delay_alu instid0(SALU_CYCLE_1) | instskip(SKIP_4) | instid1(SALU_CYCLE_1)
	s_add_nc_u64 s[4:5], s[4:5], s[6:7]
	global_load_u8 v21, v1, s[0:1] offset:1760
	s_load_b32 s4, s[4:5], 0x820
	s_wait_kmcnt 0x0
	s_ashr_i32 s5, s4, 31
	s_lshl_b64 s[10:11], s[4:5], 18
	s_lshl_b64 s[12:13], s[4:5], 16
	s_wait_loadcnt 0x0
	v_readfirstlane_b32 s2, v21
	s_and_b32 s2, s2, 0xff
	s_clause 0x1
	s_load_b64 s[6:7], s[0:1], s2 offset:0x0 scale_offset
	s_load_b64 s[8:9], s[0:1], s2 offset:0x370 scale_offset
	s_wait_kmcnt 0x0
	s_add_nc_u64 s[6:7], s[6:7], s[10:11]
	s_and_b32 s2, s8, 3
	s_and_b64 s[10:11], s[6:7], 15
	s_sub_nc_u64 s[8:9], s[8:9], s[12:13]
	s_or_b64 s[10:11], s[2:3], s[10:11]
	s_delay_alu instid0(SALU_CYCLE_1)
	s_cmp_eq_u64 s[10:11], 0
	s_cbranch_scc1 .LBB54_12
; %bb.1:
	v_cmp_lt_i64_e64 s2, s[8:9], 1
	s_and_b32 vcc_lo, exec_lo, s2
	s_cbranch_vccnz .LBB54_28
; %bb.2:
	s_load_b32 s2, s[0:1], 0xd4c
	v_min_i64 v[18:19], 0x10000, s[8:9]
	s_mov_b32 s11, 0
	s_mov_b64 s[12:13], 0
	s_wait_kmcnt 0x0
	s_and_b32 s2, s2, 0xffff
	s_delay_alu instid0(SALU_CYCLE_1) | instskip(SKIP_3) | instid1(VALU_DEP_3)
	v_dual_mov_b32 v11, 0 :: v_dual_add_nc_u32 v24, s2, v0
	v_mad_u32 v20, s2, 3, v0
	v_lshl_add_u32 v22, s2, 1, v0
	s_lshl_b32 s10, s2, 2
	v_dual_mov_b32 v10, v11 :: v_dual_mov_b32 v12, v11
	v_dual_mov_b32 v13, v11 :: v_dual_mov_b32 v14, v11
	v_dual_mov_b32 v15, v11 :: v_dual_mov_b32 v16, v11
	v_mov_b32_e32 v17, v11
	s_delay_alu instid0(VALU_DEP_4) | instskip(NEXT) | instid1(VALU_DEP_4)
	v_mov_b64_e32 v[2:3], v[10:11]
	v_mov_b64_e32 v[4:5], v[12:13]
	s_delay_alu instid0(VALU_DEP_4) | instskip(NEXT) | instid1(VALU_DEP_4)
	v_mov_b64_e32 v[6:7], v[14:15]
	v_mov_b64_e32 v[8:9], v[16:17]
	s_branch .LBB54_4
.LBB54_3:                               ;   in Loop: Header=BB54_4 Depth=1
	s_or_b32 exec_lo, exec_lo, s2
	s_add_nc_u64 s[12:13], s[12:13], s[10:11]
	s_delay_alu instid0(SALU_CYCLE_1)
	v_cmp_lt_i64_e32 vcc_lo, s[12:13], v[18:19]
	s_cbranch_vccz .LBB54_13
.LBB54_4:                               ; =>This Inner Loop Header: Depth=1
	v_add_nc_u32_e32 v10, s12, v0
	s_delay_alu instid0(VALU_DEP_1) | instskip(SKIP_2) | instid1(SALU_CYCLE_1)
	v_cmp_gt_i64_e32 vcc_lo, s[8:9], v[10:11]
	v_cmp_gt_u32_e64 s2, 0x10000, v10
	s_and_b32 s5, s2, vcc_lo
	s_and_saveexec_b32 s2, s5
	s_cbranch_execz .LBB54_6
; %bb.5:                                ;   in Loop: Header=BB54_4 Depth=1
	v_lshl_add_u64 v[12:13], v[10:11], 2, s[6:7]
	global_load_b32 v1, v[12:13], off
	s_wait_loadcnt 0x0
	v_cvt_f64_f32_e32 v[12:13], v1
	s_delay_alu instid0(VALU_DEP_1)
	v_fmac_f64_e32 v[2:3], v[12:13], v[12:13]
.LBB54_6:                               ;   in Loop: Header=BB54_4 Depth=1
	s_or_b32 exec_lo, exec_lo, s2
	v_add_nc_u32_e32 v10, s12, v24
	s_delay_alu instid0(VALU_DEP_1) | instskip(SKIP_2) | instid1(SALU_CYCLE_1)
	v_cmp_gt_i64_e32 vcc_lo, s[8:9], v[10:11]
	v_cmp_gt_u32_e64 s2, 0x10000, v10
	s_and_b32 s5, s2, vcc_lo
	s_and_saveexec_b32 s2, s5
	s_cbranch_execz .LBB54_8
; %bb.7:                                ;   in Loop: Header=BB54_4 Depth=1
	v_lshl_add_u64 v[12:13], v[10:11], 2, s[6:7]
	global_load_b32 v1, v[12:13], off
	s_wait_loadcnt 0x0
	v_cvt_f64_f32_e32 v[12:13], v1
	s_delay_alu instid0(VALU_DEP_1)
	v_fmac_f64_e32 v[4:5], v[12:13], v[12:13]
.LBB54_8:                               ;   in Loop: Header=BB54_4 Depth=1
	s_or_b32 exec_lo, exec_lo, s2
	v_add_nc_u32_e32 v10, s12, v22
	s_delay_alu instid0(VALU_DEP_1) | instskip(SKIP_2) | instid1(SALU_CYCLE_1)
	v_cmp_gt_i64_e32 vcc_lo, s[8:9], v[10:11]
	v_cmp_gt_u32_e64 s2, 0x10000, v10
	s_and_b32 s5, s2, vcc_lo
	s_and_saveexec_b32 s2, s5
	s_cbranch_execz .LBB54_10
; %bb.9:                                ;   in Loop: Header=BB54_4 Depth=1
	v_lshl_add_u64 v[12:13], v[10:11], 2, s[6:7]
	global_load_b32 v1, v[12:13], off
	s_wait_loadcnt 0x0
	v_cvt_f64_f32_e32 v[12:13], v1
	s_delay_alu instid0(VALU_DEP_1)
	v_fmac_f64_e32 v[6:7], v[12:13], v[12:13]
.LBB54_10:                              ;   in Loop: Header=BB54_4 Depth=1
	s_or_b32 exec_lo, exec_lo, s2
	v_add_nc_u32_e32 v10, s12, v20
	s_delay_alu instid0(VALU_DEP_1) | instskip(SKIP_2) | instid1(SALU_CYCLE_1)
	v_cmp_gt_i64_e32 vcc_lo, s[8:9], v[10:11]
	v_cmp_gt_u32_e64 s2, 0x10000, v10
	s_and_b32 s5, s2, vcc_lo
	s_and_saveexec_b32 s2, s5
	s_cbranch_execz .LBB54_3
; %bb.11:                               ;   in Loop: Header=BB54_4 Depth=1
	v_lshl_add_u64 v[12:13], v[10:11], 2, s[6:7]
	global_load_b32 v1, v[12:13], off
	s_wait_loadcnt 0x0
	v_cvt_f64_f32_e32 v[12:13], v1
	s_delay_alu instid0(VALU_DEP_1)
	v_fmac_f64_e32 v[8:9], v[12:13], v[12:13]
	s_branch .LBB54_3
.LBB54_12:
	s_mov_b32 s3, -1
                                        ; implicit-def: $vgpr2_vgpr3_vgpr4_vgpr5_vgpr6_vgpr7_vgpr8_vgpr9
.LBB54_13:
	s_delay_alu instid0(SALU_CYCLE_1)
	s_and_not1_b32 vcc_lo, exec_lo, s3
	s_cbranch_vccnz .LBB54_19
.LBB54_14:
	v_min_i64 v[10:11], 0x10000, s[8:9]
	v_dual_mov_b32 v3, 0 :: v_dual_lshlrev_b32 v2, 2, v0
	s_mov_b32 s3, 0
	s_delay_alu instid0(VALU_DEP_1)
	v_dual_mov_b32 v4, v3 :: v_dual_mov_b32 v5, v3
	v_dual_mov_b32 v6, v3 :: v_dual_mov_b32 v7, v3
	;; [unrolled: 1-line block ×3, first 2 shown]
	v_cmp_lt_i64_e32 vcc_lo, v[2:3], v[10:11]
	v_mov_b32_e32 v2, v3
	s_and_saveexec_b32 s5, vcc_lo
	s_cbranch_execz .LBB54_18
; %bb.15:
	s_load_b32 s2, s[0:1], 0xd4c
	v_dual_mov_b32 v1, v3 :: v_dual_lshlrev_b32 v2, 4, v0
	v_mov_b64_e32 v[4:5], 0
	v_mov_b64_e32 v[6:7], 0
	;; [unrolled: 1-line block ×3, first 2 shown]
	s_delay_alu instid0(VALU_DEP_4) | instskip(SKIP_4) | instid1(VALU_DEP_3)
	v_add_nc_u64_e32 v[12:13], s[6:7], v[2:3]
	v_mov_b64_e32 v[2:3], 0
	v_mov_b64_e32 v[14:15], v[0:1]
	s_mov_b32 s7, s3
	s_mov_b32 s8, s3
	v_add_nc_u64_e32 v[12:13], 8, v[12:13]
	s_wait_kmcnt 0x0
	s_and_b32 s2, s2, 0xffff
	s_delay_alu instid0(SALU_CYCLE_1)
	s_lshl_b32 s6, s2, 4
.LBB54_16:                              ; =>This Inner Loop Header: Depth=1
	global_load_b128 v[16:19], v[12:13], off offset:-8
	v_add_nc_u64_e32 v[14:15], s[2:3], v[14:15]
	s_wait_xcnt 0x0
	v_add_nc_u64_e32 v[12:13], s[6:7], v[12:13]
	s_wait_loadcnt 0x0
	v_cvt_f64_f32_e32 v[22:23], v16
	v_cvt_f64_f32_e32 v[16:17], v17
	;; [unrolled: 1-line block ×4, first 2 shown]
	s_delay_alu instid0(VALU_DEP_4) | instskip(NEXT) | instid1(VALU_DEP_4)
	v_fmac_f64_e32 v[2:3], v[22:23], v[22:23]
	v_fmac_f64_e32 v[4:5], v[16:17], v[16:17]
	s_delay_alu instid0(VALU_DEP_4) | instskip(NEXT) | instid1(VALU_DEP_4)
	v_fmac_f64_e32 v[6:7], v[24:25], v[24:25]
	v_fmac_f64_e32 v[8:9], v[18:19], v[18:19]
	v_lshlrev_b64_e32 v[16:17], 2, v[14:15]
	s_delay_alu instid0(VALU_DEP_1) | instskip(SKIP_1) | instid1(SALU_CYCLE_1)
	v_cmp_ge_i64_e32 vcc_lo, v[16:17], v[10:11]
	s_or_b32 s8, vcc_lo, s8
	s_and_not1_b32 exec_lo, exec_lo, s8
	s_cbranch_execnz .LBB54_16
; %bb.17:
	s_or_b32 exec_lo, exec_lo, s8
.LBB54_18:
	s_delay_alu instid0(SALU_CYCLE_1)
	s_or_b32 exec_lo, exec_lo, s5
.LBB54_19:
	s_delay_alu instid0(VALU_DEP_1) | instskip(SKIP_3) | instid1(VALU_DEP_1)
	v_add_f64_e32 v[2:3], 0, v[2:3]
	s_mov_b32 s2, exec_lo
	s_barrier_signal -1
	s_barrier_wait -1
	v_dual_add_f64 v[2:3], v[4:5], v[2:3] :: v_dual_bitop2_b32 v10, 31, v0 bitop3:0x40
	s_delay_alu instid0(VALU_DEP_1) | instskip(NEXT) | instid1(VALU_DEP_1)
	v_add_f64_e32 v[2:3], v[6:7], v[2:3]
	v_add_f64_e32 v[2:3], v[8:9], v[2:3]
	v_mbcnt_lo_u32_b32 v9, -1, 0
	s_delay_alu instid0(VALU_DEP_1)
	v_lshl_or_b32 v1, v9, 2, 64
	v_cmp_gt_u32_e32 vcc_lo, 24, v9
	ds_bpermute_b32 v4, v1, v2
	ds_bpermute_b32 v5, v1, v3
	s_wait_dscnt 0x0
	v_add_f64_e32 v[2:3], v[2:3], v[4:5]
	v_cndmask_b32_e64 v4, 0, 8, vcc_lo
	v_cmp_gt_u32_e32 vcc_lo, 28, v9
	s_delay_alu instid0(VALU_DEP_2)
	v_add_lshl_u32 v6, v4, v9, 2
	ds_bpermute_b32 v4, v6, v2
	ds_bpermute_b32 v5, v6, v3
	s_wait_dscnt 0x0
	v_add_f64_e32 v[2:3], v[2:3], v[4:5]
	v_cndmask_b32_e64 v4, 0, 4, vcc_lo
	v_cmp_gt_u32_e32 vcc_lo, 30, v9
	s_delay_alu instid0(VALU_DEP_2)
	v_add_lshl_u32 v7, v4, v9, 2
	ds_bpermute_b32 v4, v7, v2
	ds_bpermute_b32 v5, v7, v3
	s_wait_dscnt 0x0
	v_add_f64_e32 v[2:3], v[2:3], v[4:5]
	v_cndmask_b32_e64 v4, 0, 2, vcc_lo
	v_cmp_ne_u32_e32 vcc_lo, 31, v9
	s_delay_alu instid0(VALU_DEP_2)
	v_add_lshl_u32 v8, v4, v9, 2
	ds_bpermute_b32 v4, v8, v2
	ds_bpermute_b32 v5, v8, v3
	s_wait_dscnt 0x0
	v_add_f64_e32 v[2:3], v[2:3], v[4:5]
	v_add_co_ci_u32_e64 v4, null, 0, v9, vcc_lo
	s_delay_alu instid0(VALU_DEP_1)
	v_lshlrev_b32_e32 v9, 2, v4
	ds_bpermute_b32 v4, v9, v2
	ds_bpermute_b32 v5, v9, v3
	v_cmpx_eq_u32_e32 0, v10
	s_cbranch_execz .LBB54_21
; %bb.20:
	s_wait_dscnt 0x0
	v_add_f64_e32 v[2:3], v[2:3], v[4:5]
	v_lshrrev_b32_e32 v4, 2, v0
	ds_store_b64 v4, v[2:3]
.LBB54_21:
	s_or_b32 exec_lo, exec_lo, s2
	s_wait_dscnt 0x0
	s_barrier_signal -1
	s_barrier_wait -1
	s_load_b32 s2, s[0:1], 0xd4c
	v_mov_b64_e32 v[2:3], 0
	s_wait_kmcnt 0x0
	s_bfe_u32 s2, s2, 0xb0005
	s_delay_alu instid0(SALU_CYCLE_1)
	v_cmp_gt_u32_e32 vcc_lo, s2, v0
	s_and_saveexec_b32 s2, vcc_lo
; %bb.22:
	v_lshlrev_b32_e32 v2, 3, v10
	ds_load_b64 v[2:3], v2
; %bb.23:
	s_or_b32 exec_lo, exec_lo, s2
	s_delay_alu instid0(SALU_CYCLE_1)
	s_mov_b32 s2, exec_lo
	v_cmpx_gt_u32_e32 32, v0
	s_cbranch_execz .LBB54_25
; %bb.24:
	s_wait_dscnt 0x0
	ds_bpermute_b32 v4, v1, v2
	ds_bpermute_b32 v5, v1, v3
	s_wait_dscnt 0x0
	v_add_f64_e32 v[2:3], v[2:3], v[4:5]
	ds_bpermute_b32 v4, v6, v2
	ds_bpermute_b32 v5, v6, v3
	s_wait_dscnt 0x0
	v_add_f64_e32 v[2:3], v[2:3], v[4:5]
	;; [unrolled: 4-line block ×5, first 2 shown]
.LBB54_25:
	s_or_b32 exec_lo, exec_lo, s2
	s_delay_alu instid0(SALU_CYCLE_1)
	s_mov_b32 s2, exec_lo
	v_cmpx_eq_u32_e32 0, v0
	s_cbranch_execz .LBB54_27
; %bb.26:
	s_clause 0x1
	s_load_b32 s2, s[0:1], 0xd20
	s_load_b96 s[8:10], s[0:1], 0xd30
	v_and_b32_e32 v0, 0xff, v21
	s_wait_kmcnt 0x0
	s_delay_alu instid0(VALU_DEP_1) | instskip(NEXT) | instid1(VALU_DEP_1)
	v_add_nc_u32_e32 v0, s2, v0
	v_mul_lo_u32 v0, v0, s10
	s_delay_alu instid0(VALU_DEP_1)
	v_add_nc_u32_e32 v0, s4, v0
	s_wait_dscnt 0x0
	global_store_b64 v0, v[2:3], s[8:9] scale_offset
.LBB54_27:
	s_endpgm
.LBB54_28:
	v_mov_b32_e32 v2, 0
	s_delay_alu instid0(VALU_DEP_1)
	v_dual_mov_b32 v3, v2 :: v_dual_mov_b32 v4, v2
	v_dual_mov_b32 v5, v2 :: v_dual_mov_b32 v6, v2
	;; [unrolled: 1-line block ×3, first 2 shown]
	v_mov_b32_e32 v9, v2
	s_and_not1_b32 vcc_lo, exec_lo, s3
	s_cbranch_vccz .LBB54_14
	s_branch .LBB54_19
	.section	.rodata,"a",@progbits
	.p2align	6, 0x0
	.amdhsa_kernel _ZN2at6native12_GLOBAL__N_125multi_tensor_apply_kernelINS1_18TensorListMetadataILi1EEENS0_13LpNormFunctorIfLNS0_8NormTypeE2EdLi1ELi1ELi0EEEJPdiEEEvT_T0_DpT1_
		.amdhsa_group_segment_fixed_size 4096
		.amdhsa_private_segment_fixed_size 0
		.amdhsa_kernarg_size 3648
		.amdhsa_user_sgpr_count 2
		.amdhsa_user_sgpr_dispatch_ptr 0
		.amdhsa_user_sgpr_queue_ptr 0
		.amdhsa_user_sgpr_kernarg_segment_ptr 1
		.amdhsa_user_sgpr_dispatch_id 0
		.amdhsa_user_sgpr_kernarg_preload_length 0
		.amdhsa_user_sgpr_kernarg_preload_offset 0
		.amdhsa_user_sgpr_private_segment_size 0
		.amdhsa_wavefront_size32 1
		.amdhsa_uses_dynamic_stack 0
		.amdhsa_enable_private_segment 0
		.amdhsa_system_sgpr_workgroup_id_x 1
		.amdhsa_system_sgpr_workgroup_id_y 0
		.amdhsa_system_sgpr_workgroup_id_z 0
		.amdhsa_system_sgpr_workgroup_info 0
		.amdhsa_system_vgpr_workitem_id 0
		.amdhsa_next_free_vgpr 26
		.amdhsa_next_free_sgpr 14
		.amdhsa_named_barrier_count 0
		.amdhsa_reserve_vcc 1
		.amdhsa_float_round_mode_32 0
		.amdhsa_float_round_mode_16_64 0
		.amdhsa_float_denorm_mode_32 3
		.amdhsa_float_denorm_mode_16_64 3
		.amdhsa_fp16_overflow 0
		.amdhsa_memory_ordered 1
		.amdhsa_forward_progress 1
		.amdhsa_inst_pref_size 13
		.amdhsa_round_robin_scheduling 0
		.amdhsa_exception_fp_ieee_invalid_op 0
		.amdhsa_exception_fp_denorm_src 0
		.amdhsa_exception_fp_ieee_div_zero 0
		.amdhsa_exception_fp_ieee_overflow 0
		.amdhsa_exception_fp_ieee_underflow 0
		.amdhsa_exception_fp_ieee_inexact 0
		.amdhsa_exception_int_div_zero 0
	.end_amdhsa_kernel
	.section	.text._ZN2at6native12_GLOBAL__N_125multi_tensor_apply_kernelINS1_18TensorListMetadataILi1EEENS0_13LpNormFunctorIfLNS0_8NormTypeE2EdLi1ELi1ELi0EEEJPdiEEEvT_T0_DpT1_,"axG",@progbits,_ZN2at6native12_GLOBAL__N_125multi_tensor_apply_kernelINS1_18TensorListMetadataILi1EEENS0_13LpNormFunctorIfLNS0_8NormTypeE2EdLi1ELi1ELi0EEEJPdiEEEvT_T0_DpT1_,comdat
.Lfunc_end54:
	.size	_ZN2at6native12_GLOBAL__N_125multi_tensor_apply_kernelINS1_18TensorListMetadataILi1EEENS0_13LpNormFunctorIfLNS0_8NormTypeE2EdLi1ELi1ELi0EEEJPdiEEEvT_T0_DpT1_, .Lfunc_end54-_ZN2at6native12_GLOBAL__N_125multi_tensor_apply_kernelINS1_18TensorListMetadataILi1EEENS0_13LpNormFunctorIfLNS0_8NormTypeE2EdLi1ELi1ELi0EEEJPdiEEEvT_T0_DpT1_
                                        ; -- End function
	.set _ZN2at6native12_GLOBAL__N_125multi_tensor_apply_kernelINS1_18TensorListMetadataILi1EEENS0_13LpNormFunctorIfLNS0_8NormTypeE2EdLi1ELi1ELi0EEEJPdiEEEvT_T0_DpT1_.num_vgpr, 26
	.set _ZN2at6native12_GLOBAL__N_125multi_tensor_apply_kernelINS1_18TensorListMetadataILi1EEENS0_13LpNormFunctorIfLNS0_8NormTypeE2EdLi1ELi1ELi0EEEJPdiEEEvT_T0_DpT1_.num_agpr, 0
	.set _ZN2at6native12_GLOBAL__N_125multi_tensor_apply_kernelINS1_18TensorListMetadataILi1EEENS0_13LpNormFunctorIfLNS0_8NormTypeE2EdLi1ELi1ELi0EEEJPdiEEEvT_T0_DpT1_.numbered_sgpr, 14
	.set _ZN2at6native12_GLOBAL__N_125multi_tensor_apply_kernelINS1_18TensorListMetadataILi1EEENS0_13LpNormFunctorIfLNS0_8NormTypeE2EdLi1ELi1ELi0EEEJPdiEEEvT_T0_DpT1_.num_named_barrier, 0
	.set _ZN2at6native12_GLOBAL__N_125multi_tensor_apply_kernelINS1_18TensorListMetadataILi1EEENS0_13LpNormFunctorIfLNS0_8NormTypeE2EdLi1ELi1ELi0EEEJPdiEEEvT_T0_DpT1_.private_seg_size, 0
	.set _ZN2at6native12_GLOBAL__N_125multi_tensor_apply_kernelINS1_18TensorListMetadataILi1EEENS0_13LpNormFunctorIfLNS0_8NormTypeE2EdLi1ELi1ELi0EEEJPdiEEEvT_T0_DpT1_.uses_vcc, 1
	.set _ZN2at6native12_GLOBAL__N_125multi_tensor_apply_kernelINS1_18TensorListMetadataILi1EEENS0_13LpNormFunctorIfLNS0_8NormTypeE2EdLi1ELi1ELi0EEEJPdiEEEvT_T0_DpT1_.uses_flat_scratch, 0
	.set _ZN2at6native12_GLOBAL__N_125multi_tensor_apply_kernelINS1_18TensorListMetadataILi1EEENS0_13LpNormFunctorIfLNS0_8NormTypeE2EdLi1ELi1ELi0EEEJPdiEEEvT_T0_DpT1_.has_dyn_sized_stack, 0
	.set _ZN2at6native12_GLOBAL__N_125multi_tensor_apply_kernelINS1_18TensorListMetadataILi1EEENS0_13LpNormFunctorIfLNS0_8NormTypeE2EdLi1ELi1ELi0EEEJPdiEEEvT_T0_DpT1_.has_recursion, 0
	.set _ZN2at6native12_GLOBAL__N_125multi_tensor_apply_kernelINS1_18TensorListMetadataILi1EEENS0_13LpNormFunctorIfLNS0_8NormTypeE2EdLi1ELi1ELi0EEEJPdiEEEvT_T0_DpT1_.has_indirect_call, 0
	.section	.AMDGPU.csdata,"",@progbits
; Kernel info:
; codeLenInByte = 1556
; TotalNumSgprs: 16
; NumVgprs: 26
; ScratchSize: 0
; MemoryBound: 0
; FloatMode: 240
; IeeeMode: 1
; LDSByteSize: 4096 bytes/workgroup (compile time only)
; SGPRBlocks: 0
; VGPRBlocks: 1
; NumSGPRsForWavesPerEU: 16
; NumVGPRsForWavesPerEU: 26
; NamedBarCnt: 0
; Occupancy: 16
; WaveLimiterHint : 0
; COMPUTE_PGM_RSRC2:SCRATCH_EN: 0
; COMPUTE_PGM_RSRC2:USER_SGPR: 2
; COMPUTE_PGM_RSRC2:TRAP_HANDLER: 0
; COMPUTE_PGM_RSRC2:TGID_X_EN: 1
; COMPUTE_PGM_RSRC2:TGID_Y_EN: 0
; COMPUTE_PGM_RSRC2:TGID_Z_EN: 0
; COMPUTE_PGM_RSRC2:TIDIG_COMP_CNT: 0
	.section	.text._ZN2at6native12_GLOBAL__N_125multi_tensor_apply_kernelINS1_18TensorListMetadataILi1EEENS0_13LpNormFunctorIfLNS0_8NormTypeE3EdLi1ELi1ELi0EEEJPdiEEEvT_T0_DpT1_,"axG",@progbits,_ZN2at6native12_GLOBAL__N_125multi_tensor_apply_kernelINS1_18TensorListMetadataILi1EEENS0_13LpNormFunctorIfLNS0_8NormTypeE3EdLi1ELi1ELi0EEEJPdiEEEvT_T0_DpT1_,comdat
	.globl	_ZN2at6native12_GLOBAL__N_125multi_tensor_apply_kernelINS1_18TensorListMetadataILi1EEENS0_13LpNormFunctorIfLNS0_8NormTypeE3EdLi1ELi1ELi0EEEJPdiEEEvT_T0_DpT1_ ; -- Begin function _ZN2at6native12_GLOBAL__N_125multi_tensor_apply_kernelINS1_18TensorListMetadataILi1EEENS0_13LpNormFunctorIfLNS0_8NormTypeE3EdLi1ELi1ELi0EEEJPdiEEEvT_T0_DpT1_
	.p2align	8
	.type	_ZN2at6native12_GLOBAL__N_125multi_tensor_apply_kernelINS1_18TensorListMetadataILi1EEENS0_13LpNormFunctorIfLNS0_8NormTypeE3EdLi1ELi1ELi0EEEJPdiEEEvT_T0_DpT1_,@function
_ZN2at6native12_GLOBAL__N_125multi_tensor_apply_kernelINS1_18TensorListMetadataILi1EEENS0_13LpNormFunctorIfLNS0_8NormTypeE3EdLi1ELi1ELi0EEEJPdiEEEvT_T0_DpT1_: ; @_ZN2at6native12_GLOBAL__N_125multi_tensor_apply_kernelINS1_18TensorListMetadataILi1EEENS0_13LpNormFunctorIfLNS0_8NormTypeE3EdLi1ELi1ELi0EEEJPdiEEEvT_T0_DpT1_
; %bb.0:
	s_bfe_u32 s2, ttmp6, 0x4000c
	s_and_b32 s3, ttmp6, 15
	s_add_co_i32 s2, s2, 1
	s_getreg_b32 s4, hwreg(HW_REG_IB_STS2, 6, 4)
	s_mul_i32 s2, ttmp9, s2
	s_delay_alu instid0(SALU_CYCLE_1)
	s_add_co_i32 s3, s3, s2
	s_cmp_eq_u32 s4, 0
	s_cselect_b32 s2, ttmp9, s3
	s_mov_b32 s3, 0
	v_mov_b32_e32 v1, s2
	s_add_nc_u64 s[4:5], s[0:1], s[2:3]
	s_mul_u64 s[6:7], s[2:3], 3
	s_delay_alu instid0(SALU_CYCLE_1) | instskip(SKIP_4) | instid1(SALU_CYCLE_1)
	s_add_nc_u64 s[4:5], s[4:5], s[6:7]
	global_load_u8 v21, v1, s[0:1] offset:1760
	s_load_b32 s10, s[4:5], 0x820
	s_wait_kmcnt 0x0
	s_ashr_i32 s11, s10, 31
	s_lshl_b64 s[8:9], s[10:11], 18
	s_lshl_b64 s[12:13], s[10:11], 16
	s_wait_loadcnt 0x0
	v_readfirstlane_b32 s2, v21
	s_and_b32 s2, s2, 0xff
	s_clause 0x1
	s_load_b64 s[4:5], s[0:1], s2 offset:0x0 scale_offset
	s_load_b64 s[6:7], s[0:1], s2 offset:0x370 scale_offset
	s_wait_kmcnt 0x0
	s_add_nc_u64 s[4:5], s[4:5], s[8:9]
	s_and_b32 s2, s6, 3
	s_and_b64 s[8:9], s[4:5], 15
	s_sub_nc_u64 s[6:7], s[6:7], s[12:13]
	s_or_b64 s[8:9], s[2:3], s[8:9]
	s_delay_alu instid0(SALU_CYCLE_1)
	s_cmp_eq_u64 s[8:9], 0
	s_cbranch_scc1 .LBB55_12
; %bb.1:
	v_cmp_lt_i64_e64 s2, s[6:7], 1
	s_and_b32 vcc_lo, exec_lo, s2
	s_cbranch_vccnz .LBB55_28
; %bb.2:
	s_load_b32 s2, s[0:1], 0xd4c
	v_min_i64 v[18:19], 0x10000, s[6:7]
	s_mov_b32 s9, 0
	s_mov_b64 s[12:13], 0
	s_wait_kmcnt 0x0
	s_and_b32 s2, s2, 0xffff
	s_delay_alu instid0(SALU_CYCLE_1) | instskip(SKIP_3) | instid1(VALU_DEP_3)
	v_dual_mov_b32 v11, 0 :: v_dual_add_nc_u32 v24, s2, v0
	v_mad_u32 v20, s2, 3, v0
	v_lshl_add_u32 v22, s2, 1, v0
	s_lshl_b32 s8, s2, 2
	v_dual_mov_b32 v10, v11 :: v_dual_mov_b32 v12, v11
	v_dual_mov_b32 v13, v11 :: v_dual_mov_b32 v14, v11
	;; [unrolled: 1-line block ×3, first 2 shown]
	v_mov_b32_e32 v17, v11
	s_delay_alu instid0(VALU_DEP_4) | instskip(NEXT) | instid1(VALU_DEP_4)
	v_mov_b64_e32 v[2:3], v[10:11]
	v_mov_b64_e32 v[4:5], v[12:13]
	s_delay_alu instid0(VALU_DEP_4) | instskip(NEXT) | instid1(VALU_DEP_4)
	v_mov_b64_e32 v[6:7], v[14:15]
	v_mov_b64_e32 v[8:9], v[16:17]
	s_branch .LBB55_4
.LBB55_3:                               ;   in Loop: Header=BB55_4 Depth=1
	s_or_b32 exec_lo, exec_lo, s11
	s_add_nc_u64 s[12:13], s[12:13], s[8:9]
	s_delay_alu instid0(SALU_CYCLE_1)
	v_cmp_lt_i64_e32 vcc_lo, s[12:13], v[18:19]
	s_cbranch_vccz .LBB55_13
.LBB55_4:                               ; =>This Inner Loop Header: Depth=1
	v_add_nc_u32_e32 v10, s12, v0
	s_delay_alu instid0(VALU_DEP_1) | instskip(SKIP_2) | instid1(SALU_CYCLE_1)
	v_cmp_gt_i64_e32 vcc_lo, s[6:7], v[10:11]
	v_cmp_gt_u32_e64 s2, 0x10000, v10
	s_and_b32 s2, s2, vcc_lo
	s_and_saveexec_b32 s11, s2
	s_cbranch_execz .LBB55_6
; %bb.5:                                ;   in Loop: Header=BB55_4 Depth=1
	v_lshl_add_u64 v[12:13], v[10:11], 2, s[4:5]
	global_load_b32 v1, v[12:13], off
	s_wait_loadcnt 0x0
	v_cvt_f64_f32_e64 v[12:13], |v1|
	v_cmp_u_f32_e64 s2, v1, v1
	s_delay_alu instid0(VALU_DEP_2)
	v_cmp_lt_f64_e32 vcc_lo, v[2:3], v[12:13]
	s_or_b32 vcc_lo, s2, vcc_lo
	v_dual_cndmask_b32 v3, v3, v13 :: v_dual_cndmask_b32 v2, v2, v12
.LBB55_6:                               ;   in Loop: Header=BB55_4 Depth=1
	s_or_b32 exec_lo, exec_lo, s11
	v_add_nc_u32_e32 v10, s12, v24
	s_delay_alu instid0(VALU_DEP_1) | instskip(SKIP_2) | instid1(SALU_CYCLE_1)
	v_cmp_gt_i64_e32 vcc_lo, s[6:7], v[10:11]
	v_cmp_gt_u32_e64 s2, 0x10000, v10
	s_and_b32 s2, s2, vcc_lo
	s_and_saveexec_b32 s11, s2
	s_cbranch_execz .LBB55_8
; %bb.7:                                ;   in Loop: Header=BB55_4 Depth=1
	v_lshl_add_u64 v[12:13], v[10:11], 2, s[4:5]
	global_load_b32 v1, v[12:13], off
	s_wait_loadcnt 0x0
	v_cvt_f64_f32_e64 v[12:13], |v1|
	v_cmp_u_f32_e64 s2, v1, v1
	s_delay_alu instid0(VALU_DEP_2)
	v_cmp_lt_f64_e32 vcc_lo, v[4:5], v[12:13]
	s_or_b32 vcc_lo, s2, vcc_lo
	v_dual_cndmask_b32 v5, v5, v13 :: v_dual_cndmask_b32 v4, v4, v12
.LBB55_8:                               ;   in Loop: Header=BB55_4 Depth=1
	s_or_b32 exec_lo, exec_lo, s11
	v_add_nc_u32_e32 v10, s12, v22
	s_delay_alu instid0(VALU_DEP_1) | instskip(SKIP_2) | instid1(SALU_CYCLE_1)
	v_cmp_gt_i64_e32 vcc_lo, s[6:7], v[10:11]
	v_cmp_gt_u32_e64 s2, 0x10000, v10
	s_and_b32 s2, s2, vcc_lo
	s_and_saveexec_b32 s11, s2
	s_cbranch_execz .LBB55_10
; %bb.9:                                ;   in Loop: Header=BB55_4 Depth=1
	v_lshl_add_u64 v[12:13], v[10:11], 2, s[4:5]
	global_load_b32 v1, v[12:13], off
	s_wait_loadcnt 0x0
	v_cvt_f64_f32_e64 v[12:13], |v1|
	v_cmp_u_f32_e64 s2, v1, v1
	s_delay_alu instid0(VALU_DEP_2)
	v_cmp_lt_f64_e32 vcc_lo, v[6:7], v[12:13]
	s_or_b32 vcc_lo, s2, vcc_lo
	v_dual_cndmask_b32 v7, v7, v13 :: v_dual_cndmask_b32 v6, v6, v12
.LBB55_10:                              ;   in Loop: Header=BB55_4 Depth=1
	s_or_b32 exec_lo, exec_lo, s11
	v_add_nc_u32_e32 v10, s12, v20
	s_delay_alu instid0(VALU_DEP_1) | instskip(SKIP_2) | instid1(SALU_CYCLE_1)
	v_cmp_gt_i64_e32 vcc_lo, s[6:7], v[10:11]
	v_cmp_gt_u32_e64 s2, 0x10000, v10
	s_and_b32 s2, s2, vcc_lo
	s_and_saveexec_b32 s11, s2
	s_cbranch_execz .LBB55_3
; %bb.11:                               ;   in Loop: Header=BB55_4 Depth=1
	v_lshl_add_u64 v[12:13], v[10:11], 2, s[4:5]
	global_load_b32 v1, v[12:13], off
	s_wait_loadcnt 0x0
	v_cvt_f64_f32_e64 v[12:13], |v1|
	v_cmp_u_f32_e64 s2, v1, v1
	s_delay_alu instid0(VALU_DEP_2)
	v_cmp_lt_f64_e32 vcc_lo, v[8:9], v[12:13]
	s_or_b32 vcc_lo, s2, vcc_lo
	v_dual_cndmask_b32 v9, v9, v13 :: v_dual_cndmask_b32 v8, v8, v12
	s_branch .LBB55_3
.LBB55_12:
	s_mov_b32 s3, -1
                                        ; implicit-def: $vgpr2_vgpr3_vgpr4_vgpr5_vgpr6_vgpr7_vgpr8_vgpr9
.LBB55_13:
	s_delay_alu instid0(SALU_CYCLE_1)
	s_and_not1_b32 vcc_lo, exec_lo, s3
	s_cbranch_vccnz .LBB55_19
.LBB55_14:
	v_min_i64 v[10:11], 0x10000, s[6:7]
	v_dual_mov_b32 v3, 0 :: v_dual_lshlrev_b32 v2, 2, v0
	s_mov_b32 s13, 0
	s_delay_alu instid0(VALU_DEP_1)
	v_dual_mov_b32 v4, v3 :: v_dual_mov_b32 v5, v3
	v_dual_mov_b32 v6, v3 :: v_dual_mov_b32 v7, v3
	;; [unrolled: 1-line block ×3, first 2 shown]
	v_cmp_lt_i64_e32 vcc_lo, v[2:3], v[10:11]
	v_mov_b32_e32 v2, v3
	s_and_saveexec_b32 s11, vcc_lo
	s_cbranch_execz .LBB55_18
; %bb.15:
	s_load_b32 s2, s[0:1], 0xd4c
	v_dual_mov_b32 v1, v3 :: v_dual_lshlrev_b32 v2, 4, v0
	v_mov_b64_e32 v[4:5], 0
	v_mov_b64_e32 v[6:7], 0
	;; [unrolled: 1-line block ×3, first 2 shown]
	s_delay_alu instid0(VALU_DEP_4) | instskip(SKIP_4) | instid1(VALU_DEP_3)
	v_add_nc_u64_e32 v[12:13], s[4:5], v[2:3]
	v_mov_b64_e32 v[2:3], 0
	v_mov_b64_e32 v[14:15], v[0:1]
	s_mov_b32 s15, s13
	s_mov_b32 s16, s13
	v_add_nc_u64_e32 v[12:13], 8, v[12:13]
	s_wait_kmcnt 0x0
	s_and_b32 s12, s2, 0xffff
	s_delay_alu instid0(SALU_CYCLE_1)
	s_lshl_b32 s14, s12, 4
.LBB55_16:                              ; =>This Inner Loop Header: Depth=1
	global_load_b128 v[16:19], v[12:13], off offset:-8
	v_add_nc_u64_e32 v[14:15], s[12:13], v[14:15]
	s_wait_xcnt 0x0
	v_add_nc_u64_e32 v[12:13], s[14:15], v[12:13]
	s_delay_alu instid0(VALU_DEP_2) | instskip(NEXT) | instid1(VALU_DEP_1)
	v_lshlrev_b64_e32 v[30:31], 2, v[14:15]
	v_cmp_ge_i64_e64 s5, v[30:31], v[10:11]
	s_wait_loadcnt 0x0
	v_cvt_f64_f32_e64 v[22:23], |v16|
	v_cvt_f64_f32_e64 v[24:25], |v17|
	;; [unrolled: 1-line block ×4, first 2 shown]
	v_cmp_u_f32_e64 s6, v16, v16
	v_cmp_u_f32_e64 s7, v17, v17
	;; [unrolled: 1-line block ×4, first 2 shown]
	v_cmp_lt_f64_e32 vcc_lo, v[2:3], v[22:23]
	v_cmp_lt_f64_e64 s2, v[4:5], v[24:25]
	v_cmp_lt_f64_e64 s3, v[6:7], v[26:27]
	;; [unrolled: 1-line block ×3, first 2 shown]
	s_or_b32 vcc_lo, s6, vcc_lo
	s_or_b32 s2, s7, s2
	s_or_b32 s3, s8, s3
	;; [unrolled: 1-line block ×3, first 2 shown]
	v_dual_cndmask_b32 v3, v3, v23, vcc_lo :: v_dual_cndmask_b32 v5, v5, v25, s2
	v_dual_cndmask_b32 v7, v7, v27, s3 :: v_dual_cndmask_b32 v9, v9, v29, s4
	v_dual_cndmask_b32 v2, v2, v22, vcc_lo :: v_dual_cndmask_b32 v4, v4, v24, s2
	v_dual_cndmask_b32 v6, v6, v26, s3 :: v_dual_cndmask_b32 v8, v8, v28, s4
	s_or_b32 s16, s5, s16
	s_delay_alu instid0(SALU_CYCLE_1)
	s_and_not1_b32 exec_lo, exec_lo, s16
	s_cbranch_execnz .LBB55_16
; %bb.17:
	s_or_b32 exec_lo, exec_lo, s16
.LBB55_18:
	s_delay_alu instid0(SALU_CYCLE_1)
	s_or_b32 exec_lo, exec_lo, s11
.LBB55_19:
	s_delay_alu instid0(VALU_DEP_1) | instskip(SKIP_3) | instid1(VALU_DEP_1)
	v_cmp_nge_f64_e32 vcc_lo, 0, v[2:3]
	v_mbcnt_lo_u32_b32 v10, -1, 0
	s_barrier_signal -1
	s_barrier_wait -1
	v_lshl_or_b32 v1, v10, 2, 64
	v_cmp_gt_u32_e64 s3, 24, v10
	v_dual_cndmask_b32 v3, 0, v3 :: v_dual_cndmask_b32 v2, 0, v2
	v_cmp_u_f64_e32 vcc_lo, v[4:5], v[4:5]
	s_delay_alu instid0(VALU_DEP_2) | instskip(SKIP_3) | instid1(VALU_DEP_2)
	v_cmp_lt_f64_e64 s2, v[2:3], v[4:5]
	s_or_b32 vcc_lo, vcc_lo, s2
	v_dual_cndmask_b32 v3, v3, v5 :: v_dual_cndmask_b32 v2, v2, v4
	v_cmp_u_f64_e32 vcc_lo, v[6:7], v[6:7]
	v_cmp_lt_f64_e64 s2, v[2:3], v[6:7]
	s_or_b32 vcc_lo, vcc_lo, s2
	v_dual_cndmask_b32 v3, v3, v7 :: v_dual_cndmask_b32 v2, v2, v6
	v_cmp_u_f64_e32 vcc_lo, v[8:9], v[8:9]
	v_cndmask_b32_e64 v6, 0, 8, s3
	v_cmp_gt_u32_e64 s3, 28, v10
	s_delay_alu instid0(VALU_DEP_4) | instskip(NEXT) | instid1(VALU_DEP_3)
	v_cmp_lt_f64_e64 s2, v[2:3], v[8:9]
	v_add_lshl_u32 v6, v6, v10, 2
	s_delay_alu instid0(VALU_DEP_3) | instskip(SKIP_1) | instid1(VALU_DEP_2)
	v_cndmask_b32_e64 v7, 0, 4, s3
	v_cmp_gt_u32_e64 s3, 30, v10
	v_add_lshl_u32 v7, v7, v10, 2
	s_or_b32 vcc_lo, vcc_lo, s2
	v_dual_cndmask_b32 v3, v3, v9 :: v_dual_cndmask_b32 v2, v2, v8
	v_cndmask_b32_e64 v8, 0, 2, s3
	v_cmp_ne_u32_e64 s3, 31, v10
	ds_bpermute_b32 v5, v1, v3
	ds_bpermute_b32 v4, v1, v2
	v_add_lshl_u32 v8, v8, v10, 2
	v_add_co_ci_u32_e64 v9, null, 0, v10, s3
	s_mov_b32 s3, exec_lo
	v_and_b32_e32 v10, 31, v0
	s_wait_dscnt 0x0
	v_cmp_u_f64_e32 vcc_lo, v[4:5], v[4:5]
	v_cmp_lt_f64_e64 s2, v[2:3], v[4:5]
	s_or_b32 vcc_lo, vcc_lo, s2
	v_dual_cndmask_b32 v3, v3, v5 :: v_dual_cndmask_b32 v2, v2, v4
	ds_bpermute_b32 v5, v6, v3
	ds_bpermute_b32 v4, v6, v2
	s_wait_dscnt 0x0
	v_cmp_u_f64_e32 vcc_lo, v[4:5], v[4:5]
	v_cmp_lt_f64_e64 s2, v[2:3], v[4:5]
	s_or_b32 vcc_lo, vcc_lo, s2
	v_dual_cndmask_b32 v3, v3, v5 :: v_dual_cndmask_b32 v2, v2, v4
	ds_bpermute_b32 v5, v7, v3
	ds_bpermute_b32 v4, v7, v2
	;; [unrolled: 7-line block ×3, first 2 shown]
	s_wait_dscnt 0x0
	v_cmp_u_f64_e32 vcc_lo, v[4:5], v[4:5]
	v_cmp_lt_f64_e64 s2, v[2:3], v[4:5]
	s_or_b32 vcc_lo, vcc_lo, s2
	v_dual_cndmask_b32 v2, v2, v4 :: v_dual_lshlrev_b32 v9, 2, v9
	v_cndmask_b32_e32 v3, v3, v5, vcc_lo
	ds_bpermute_b32 v4, v9, v2
	ds_bpermute_b32 v5, v9, v3
	v_cmpx_eq_u32_e32 0, v10
	s_cbranch_execz .LBB55_21
; %bb.20:
	s_wait_dscnt 0x0
	v_cmp_u_f64_e32 vcc_lo, v[4:5], v[4:5]
	v_cmp_lt_f64_e64 s2, v[2:3], v[4:5]
	s_or_b32 vcc_lo, vcc_lo, s2
	s_delay_alu instid0(SALU_CYCLE_1)
	v_dual_lshrrev_b32 v11, 2, v0 :: v_dual_cndmask_b32 v3, v3, v5, vcc_lo
	v_cndmask_b32_e32 v2, v2, v4, vcc_lo
	ds_store_b64 v11, v[2:3]
.LBB55_21:
	s_or_b32 exec_lo, exec_lo, s3
	s_wait_dscnt 0x0
	s_barrier_signal -1
	s_barrier_wait -1
	s_load_b32 s2, s[0:1], 0xd4c
	v_mov_b64_e32 v[2:3], 0xffefffffffffffff
	s_wait_kmcnt 0x0
	s_bfe_u32 s2, s2, 0xb0005
	s_delay_alu instid0(SALU_CYCLE_1)
	v_cmp_gt_u32_e32 vcc_lo, s2, v0
	s_and_saveexec_b32 s2, vcc_lo
; %bb.22:
	v_lshlrev_b32_e32 v2, 3, v10
	ds_load_b64 v[2:3], v2
; %bb.23:
	s_or_b32 exec_lo, exec_lo, s2
	s_delay_alu instid0(SALU_CYCLE_1)
	s_mov_b32 s3, exec_lo
	v_cmpx_gt_u32_e32 32, v0
	s_cbranch_execz .LBB55_25
; %bb.24:
	s_wait_dscnt 0x0
	ds_bpermute_b32 v4, v1, v2
	ds_bpermute_b32 v5, v1, v3
	s_wait_dscnt 0x0
	v_cmp_u_f64_e32 vcc_lo, v[4:5], v[4:5]
	v_cmp_lt_f64_e64 s2, v[2:3], v[4:5]
	s_or_b32 vcc_lo, vcc_lo, s2
	v_dual_cndmask_b32 v3, v3, v5 :: v_dual_cndmask_b32 v2, v2, v4
	ds_bpermute_b32 v5, v6, v3
	ds_bpermute_b32 v4, v6, v2
	s_wait_dscnt 0x0
	v_cmp_u_f64_e32 vcc_lo, v[4:5], v[4:5]
	v_cmp_lt_f64_e64 s2, v[2:3], v[4:5]
	s_or_b32 vcc_lo, vcc_lo, s2
	v_dual_cndmask_b32 v3, v3, v5 :: v_dual_cndmask_b32 v2, v2, v4
	;; [unrolled: 7-line block ×5, first 2 shown]
.LBB55_25:
	s_or_b32 exec_lo, exec_lo, s3
	s_delay_alu instid0(SALU_CYCLE_1)
	s_mov_b32 s2, exec_lo
	v_cmpx_eq_u32_e32 0, v0
	s_cbranch_execz .LBB55_27
; %bb.26:
	s_clause 0x1
	s_load_b32 s2, s[0:1], 0xd20
	s_load_b96 s[4:6], s[0:1], 0xd30
	v_and_b32_e32 v0, 0xff, v21
	s_wait_kmcnt 0x0
	s_delay_alu instid0(VALU_DEP_1) | instskip(NEXT) | instid1(VALU_DEP_1)
	v_add_nc_u32_e32 v0, s2, v0
	v_mul_lo_u32 v0, v0, s6
	s_delay_alu instid0(VALU_DEP_1)
	v_add_nc_u32_e32 v0, s10, v0
	s_wait_dscnt 0x0
	global_store_b64 v0, v[2:3], s[4:5] scale_offset
.LBB55_27:
	s_endpgm
.LBB55_28:
	v_mov_b32_e32 v2, 0
	s_delay_alu instid0(VALU_DEP_1)
	v_dual_mov_b32 v3, v2 :: v_dual_mov_b32 v4, v2
	v_dual_mov_b32 v5, v2 :: v_dual_mov_b32 v6, v2
	v_dual_mov_b32 v7, v2 :: v_dual_mov_b32 v8, v2
	v_mov_b32_e32 v9, v2
	s_and_not1_b32 vcc_lo, exec_lo, s3
	s_cbranch_vccz .LBB55_14
	s_branch .LBB55_19
	.section	.rodata,"a",@progbits
	.p2align	6, 0x0
	.amdhsa_kernel _ZN2at6native12_GLOBAL__N_125multi_tensor_apply_kernelINS1_18TensorListMetadataILi1EEENS0_13LpNormFunctorIfLNS0_8NormTypeE3EdLi1ELi1ELi0EEEJPdiEEEvT_T0_DpT1_
		.amdhsa_group_segment_fixed_size 4096
		.amdhsa_private_segment_fixed_size 0
		.amdhsa_kernarg_size 3648
		.amdhsa_user_sgpr_count 2
		.amdhsa_user_sgpr_dispatch_ptr 0
		.amdhsa_user_sgpr_queue_ptr 0
		.amdhsa_user_sgpr_kernarg_segment_ptr 1
		.amdhsa_user_sgpr_dispatch_id 0
		.amdhsa_user_sgpr_kernarg_preload_length 0
		.amdhsa_user_sgpr_kernarg_preload_offset 0
		.amdhsa_user_sgpr_private_segment_size 0
		.amdhsa_wavefront_size32 1
		.amdhsa_uses_dynamic_stack 0
		.amdhsa_enable_private_segment 0
		.amdhsa_system_sgpr_workgroup_id_x 1
		.amdhsa_system_sgpr_workgroup_id_y 0
		.amdhsa_system_sgpr_workgroup_id_z 0
		.amdhsa_system_sgpr_workgroup_info 0
		.amdhsa_system_vgpr_workitem_id 0
		.amdhsa_next_free_vgpr 32
		.amdhsa_next_free_sgpr 17
		.amdhsa_named_barrier_count 0
		.amdhsa_reserve_vcc 1
		.amdhsa_float_round_mode_32 0
		.amdhsa_float_round_mode_16_64 0
		.amdhsa_float_denorm_mode_32 3
		.amdhsa_float_denorm_mode_16_64 3
		.amdhsa_fp16_overflow 0
		.amdhsa_memory_ordered 1
		.amdhsa_forward_progress 1
		.amdhsa_inst_pref_size 17
		.amdhsa_round_robin_scheduling 0
		.amdhsa_exception_fp_ieee_invalid_op 0
		.amdhsa_exception_fp_denorm_src 0
		.amdhsa_exception_fp_ieee_div_zero 0
		.amdhsa_exception_fp_ieee_overflow 0
		.amdhsa_exception_fp_ieee_underflow 0
		.amdhsa_exception_fp_ieee_inexact 0
		.amdhsa_exception_int_div_zero 0
	.end_amdhsa_kernel
	.section	.text._ZN2at6native12_GLOBAL__N_125multi_tensor_apply_kernelINS1_18TensorListMetadataILi1EEENS0_13LpNormFunctorIfLNS0_8NormTypeE3EdLi1ELi1ELi0EEEJPdiEEEvT_T0_DpT1_,"axG",@progbits,_ZN2at6native12_GLOBAL__N_125multi_tensor_apply_kernelINS1_18TensorListMetadataILi1EEENS0_13LpNormFunctorIfLNS0_8NormTypeE3EdLi1ELi1ELi0EEEJPdiEEEvT_T0_DpT1_,comdat
.Lfunc_end55:
	.size	_ZN2at6native12_GLOBAL__N_125multi_tensor_apply_kernelINS1_18TensorListMetadataILi1EEENS0_13LpNormFunctorIfLNS0_8NormTypeE3EdLi1ELi1ELi0EEEJPdiEEEvT_T0_DpT1_, .Lfunc_end55-_ZN2at6native12_GLOBAL__N_125multi_tensor_apply_kernelINS1_18TensorListMetadataILi1EEENS0_13LpNormFunctorIfLNS0_8NormTypeE3EdLi1ELi1ELi0EEEJPdiEEEvT_T0_DpT1_
                                        ; -- End function
	.set _ZN2at6native12_GLOBAL__N_125multi_tensor_apply_kernelINS1_18TensorListMetadataILi1EEENS0_13LpNormFunctorIfLNS0_8NormTypeE3EdLi1ELi1ELi0EEEJPdiEEEvT_T0_DpT1_.num_vgpr, 32
	.set _ZN2at6native12_GLOBAL__N_125multi_tensor_apply_kernelINS1_18TensorListMetadataILi1EEENS0_13LpNormFunctorIfLNS0_8NormTypeE3EdLi1ELi1ELi0EEEJPdiEEEvT_T0_DpT1_.num_agpr, 0
	.set _ZN2at6native12_GLOBAL__N_125multi_tensor_apply_kernelINS1_18TensorListMetadataILi1EEENS0_13LpNormFunctorIfLNS0_8NormTypeE3EdLi1ELi1ELi0EEEJPdiEEEvT_T0_DpT1_.numbered_sgpr, 17
	.set _ZN2at6native12_GLOBAL__N_125multi_tensor_apply_kernelINS1_18TensorListMetadataILi1EEENS0_13LpNormFunctorIfLNS0_8NormTypeE3EdLi1ELi1ELi0EEEJPdiEEEvT_T0_DpT1_.num_named_barrier, 0
	.set _ZN2at6native12_GLOBAL__N_125multi_tensor_apply_kernelINS1_18TensorListMetadataILi1EEENS0_13LpNormFunctorIfLNS0_8NormTypeE3EdLi1ELi1ELi0EEEJPdiEEEvT_T0_DpT1_.private_seg_size, 0
	.set _ZN2at6native12_GLOBAL__N_125multi_tensor_apply_kernelINS1_18TensorListMetadataILi1EEENS0_13LpNormFunctorIfLNS0_8NormTypeE3EdLi1ELi1ELi0EEEJPdiEEEvT_T0_DpT1_.uses_vcc, 1
	.set _ZN2at6native12_GLOBAL__N_125multi_tensor_apply_kernelINS1_18TensorListMetadataILi1EEENS0_13LpNormFunctorIfLNS0_8NormTypeE3EdLi1ELi1ELi0EEEJPdiEEEvT_T0_DpT1_.uses_flat_scratch, 0
	.set _ZN2at6native12_GLOBAL__N_125multi_tensor_apply_kernelINS1_18TensorListMetadataILi1EEENS0_13LpNormFunctorIfLNS0_8NormTypeE3EdLi1ELi1ELi0EEEJPdiEEEvT_T0_DpT1_.has_dyn_sized_stack, 0
	.set _ZN2at6native12_GLOBAL__N_125multi_tensor_apply_kernelINS1_18TensorListMetadataILi1EEENS0_13LpNormFunctorIfLNS0_8NormTypeE3EdLi1ELi1ELi0EEEJPdiEEEvT_T0_DpT1_.has_recursion, 0
	.set _ZN2at6native12_GLOBAL__N_125multi_tensor_apply_kernelINS1_18TensorListMetadataILi1EEENS0_13LpNormFunctorIfLNS0_8NormTypeE3EdLi1ELi1ELi0EEEJPdiEEEvT_T0_DpT1_.has_indirect_call, 0
	.section	.AMDGPU.csdata,"",@progbits
; Kernel info:
; codeLenInByte = 2060
; TotalNumSgprs: 19
; NumVgprs: 32
; ScratchSize: 0
; MemoryBound: 0
; FloatMode: 240
; IeeeMode: 1
; LDSByteSize: 4096 bytes/workgroup (compile time only)
; SGPRBlocks: 0
; VGPRBlocks: 1
; NumSGPRsForWavesPerEU: 19
; NumVGPRsForWavesPerEU: 32
; NamedBarCnt: 0
; Occupancy: 16
; WaveLimiterHint : 0
; COMPUTE_PGM_RSRC2:SCRATCH_EN: 0
; COMPUTE_PGM_RSRC2:USER_SGPR: 2
; COMPUTE_PGM_RSRC2:TRAP_HANDLER: 0
; COMPUTE_PGM_RSRC2:TGID_X_EN: 1
; COMPUTE_PGM_RSRC2:TGID_Y_EN: 0
; COMPUTE_PGM_RSRC2:TGID_Z_EN: 0
; COMPUTE_PGM_RSRC2:TIDIG_COMP_CNT: 0
	.section	.text._ZN2at6native14lpnorm_cleanupIfLNS0_8NormTypeE0EdLb1EdEEvPKT3_NS0_19TensorListAddressesEi,"axG",@progbits,_ZN2at6native14lpnorm_cleanupIfLNS0_8NormTypeE0EdLb1EdEEvPKT3_NS0_19TensorListAddressesEi,comdat
	.protected	_ZN2at6native14lpnorm_cleanupIfLNS0_8NormTypeE0EdLb1EdEEvPKT3_NS0_19TensorListAddressesEi ; -- Begin function _ZN2at6native14lpnorm_cleanupIfLNS0_8NormTypeE0EdLb1EdEEvPKT3_NS0_19TensorListAddressesEi
	.globl	_ZN2at6native14lpnorm_cleanupIfLNS0_8NormTypeE0EdLb1EdEEvPKT3_NS0_19TensorListAddressesEi
	.p2align	8
	.type	_ZN2at6native14lpnorm_cleanupIfLNS0_8NormTypeE0EdLb1EdEEvPKT3_NS0_19TensorListAddressesEi,@function
_ZN2at6native14lpnorm_cleanupIfLNS0_8NormTypeE0EdLb1EdEEvPKT3_NS0_19TensorListAddressesEi: ; @_ZN2at6native14lpnorm_cleanupIfLNS0_8NormTypeE0EdLb1EdEEvPKT3_NS0_19TensorListAddressesEi
; %bb.0:
	s_load_b32 s2, s[0:1], 0xc88
	s_bfe_u32 s3, ttmp6, 0x4000c
	s_and_b32 s4, ttmp6, 15
	s_add_co_i32 s3, s3, 1
	v_mov_b64_e32 v[2:3], 0
	s_mul_i32 s3, ttmp9, s3
	s_mov_b32 s5, 0
	s_add_co_i32 s4, s4, s3
	s_getreg_b32 s3, hwreg(HW_REG_IB_STS2, 6, 4)
	s_mov_b32 s9, exec_lo
	s_cmp_eq_u32 s3, 0
	s_cselect_b32 s8, ttmp9, s4
	s_wait_kmcnt 0x0
	v_cmpx_gt_u32_e64 s2, v0
	s_cbranch_execz .LBB56_4
; %bb.1:
	s_clause 0x1
	s_load_b64 s[6:7], s[0:1], 0x0
	s_load_b32 s4, s[0:1], 0xc9c
	v_dual_mov_b32 v1, 0 :: v_dual_lshlrev_b32 v2, 3, v0
	s_mul_i32 s10, s2, s8
	s_mov_b32 s11, s5
	s_ashr_i32 s3, s2, 31
	s_delay_alu instid0(VALU_DEP_1)
	v_mov_b32_e32 v3, v1
	s_lshl_b64 s[10:11], s[10:11], 3
	v_mov_b64_e32 v[6:7], v[0:1]
	s_wait_kmcnt 0x0
	s_add_nc_u64 s[6:7], s[6:7], s[10:11]
	s_and_b32 s4, s4, 0xffff
	v_add_nc_u64_e32 v[4:5], s[6:7], v[2:3]
	v_mov_b64_e32 v[2:3], 0
	s_lshl_b32 s6, s4, 3
	s_mov_b32 s7, s5
	s_mov_b32 s10, s5
.LBB56_2:                               ; =>This Inner Loop Header: Depth=1
	global_load_b64 v[8:9], v[4:5], off
	v_add_nc_u64_e32 v[6:7], s[4:5], v[6:7]
	s_wait_xcnt 0x0
	v_add_nc_u64_e32 v[4:5], s[6:7], v[4:5]
	s_delay_alu instid0(VALU_DEP_2)
	v_cmp_le_u64_e32 vcc_lo, s[2:3], v[6:7]
	s_or_b32 s10, vcc_lo, s10
	s_wait_loadcnt 0x0
	v_add_f64_e32 v[2:3], v[2:3], v[8:9]
	s_and_not1_b32 exec_lo, exec_lo, s10
	s_cbranch_execnz .LBB56_2
; %bb.3:
	s_or_b32 exec_lo, exec_lo, s10
.LBB56_4:
	s_delay_alu instid0(SALU_CYCLE_1) | instskip(SKIP_4) | instid1(VALU_DEP_2)
	s_or_b32 exec_lo, exec_lo, s9
	v_mbcnt_lo_u32_b32 v9, -1, 0
	v_and_b32_e32 v10, 31, v0
	s_mov_b32 s2, exec_lo
	s_barrier_signal -1
	v_lshl_or_b32 v1, v9, 2, 64
	v_cmp_gt_u32_e32 vcc_lo, 24, v9
	s_barrier_wait -1
	ds_bpermute_b32 v4, v1, v2
	ds_bpermute_b32 v5, v1, v3
	s_wait_dscnt 0x0
	v_add_f64_e32 v[2:3], v[2:3], v[4:5]
	v_cndmask_b32_e64 v4, 0, 8, vcc_lo
	v_cmp_gt_u32_e32 vcc_lo, 28, v9
	s_delay_alu instid0(VALU_DEP_2)
	v_add_lshl_u32 v6, v4, v9, 2
	ds_bpermute_b32 v4, v6, v2
	ds_bpermute_b32 v5, v6, v3
	s_wait_dscnt 0x0
	v_add_f64_e32 v[2:3], v[2:3], v[4:5]
	v_cndmask_b32_e64 v4, 0, 4, vcc_lo
	v_cmp_gt_u32_e32 vcc_lo, 30, v9
	s_delay_alu instid0(VALU_DEP_2)
	v_add_lshl_u32 v7, v4, v9, 2
	ds_bpermute_b32 v4, v7, v2
	ds_bpermute_b32 v5, v7, v3
	s_wait_dscnt 0x0
	v_add_f64_e32 v[2:3], v[2:3], v[4:5]
	v_cndmask_b32_e64 v4, 0, 2, vcc_lo
	v_cmp_ne_u32_e32 vcc_lo, 31, v9
	s_delay_alu instid0(VALU_DEP_2)
	v_add_lshl_u32 v8, v4, v9, 2
	ds_bpermute_b32 v4, v8, v2
	ds_bpermute_b32 v5, v8, v3
	s_wait_dscnt 0x0
	v_add_f64_e32 v[2:3], v[2:3], v[4:5]
	v_add_co_ci_u32_e64 v4, null, 0, v9, vcc_lo
	s_delay_alu instid0(VALU_DEP_1)
	v_lshlrev_b32_e32 v9, 2, v4
	ds_bpermute_b32 v4, v9, v2
	ds_bpermute_b32 v5, v9, v3
	v_cmpx_eq_u32_e32 0, v10
	s_cbranch_execz .LBB56_6
; %bb.5:
	s_wait_dscnt 0x0
	v_add_f64_e32 v[2:3], v[2:3], v[4:5]
	v_lshrrev_b32_e32 v4, 2, v0
	ds_store_b64 v4, v[2:3]
.LBB56_6:
	s_or_b32 exec_lo, exec_lo, s2
	s_wait_dscnt 0x0
	s_barrier_signal -1
	s_barrier_wait -1
	s_load_b32 s2, s[0:1], 0xc9c
	v_mov_b64_e32 v[2:3], 0
	s_wait_kmcnt 0x0
	s_bfe_u32 s2, s2, 0xb0005
	s_delay_alu instid0(SALU_CYCLE_1)
	v_cmp_gt_u32_e32 vcc_lo, s2, v0
	s_and_saveexec_b32 s2, vcc_lo
; %bb.7:
	v_lshlrev_b32_e32 v2, 3, v10
	ds_load_b64 v[2:3], v2
; %bb.8:
	s_or_b32 exec_lo, exec_lo, s2
	s_delay_alu instid0(SALU_CYCLE_1)
	s_mov_b32 s2, exec_lo
	v_cmpx_gt_u32_e32 32, v0
	s_cbranch_execz .LBB56_10
; %bb.9:
	s_wait_dscnt 0x0
	ds_bpermute_b32 v4, v1, v2
	ds_bpermute_b32 v5, v1, v3
	s_wait_dscnt 0x0
	v_add_f64_e32 v[2:3], v[2:3], v[4:5]
	ds_bpermute_b32 v4, v6, v2
	ds_bpermute_b32 v5, v6, v3
	s_wait_dscnt 0x0
	v_add_f64_e32 v[2:3], v[2:3], v[4:5]
	;; [unrolled: 4-line block ×5, first 2 shown]
.LBB56_10:
	s_or_b32 exec_lo, exec_lo, s2
	s_delay_alu instid0(SALU_CYCLE_1)
	s_mov_b32 s2, exec_lo
	v_cmpx_eq_u32_e32 0, v0
	s_cbranch_execz .LBB56_12
; %bb.11:
	s_load_b64 s[0:1], s[0:1], s8 offset:0x8 scale_offset
	v_mov_b32_e32 v0, 0
	s_wait_dscnt 0x0
	s_wait_kmcnt 0x0
	global_store_b64 v0, v[2:3], s[0:1]
.LBB56_12:
	s_endpgm
	.section	.rodata,"a",@progbits
	.p2align	6, 0x0
	.amdhsa_kernel _ZN2at6native14lpnorm_cleanupIfLNS0_8NormTypeE0EdLb1EdEEvPKT3_NS0_19TensorListAddressesEi
		.amdhsa_group_segment_fixed_size 4096
		.amdhsa_private_segment_fixed_size 0
		.amdhsa_kernarg_size 3472
		.amdhsa_user_sgpr_count 2
		.amdhsa_user_sgpr_dispatch_ptr 0
		.amdhsa_user_sgpr_queue_ptr 0
		.amdhsa_user_sgpr_kernarg_segment_ptr 1
		.amdhsa_user_sgpr_dispatch_id 0
		.amdhsa_user_sgpr_kernarg_preload_length 0
		.amdhsa_user_sgpr_kernarg_preload_offset 0
		.amdhsa_user_sgpr_private_segment_size 0
		.amdhsa_wavefront_size32 1
		.amdhsa_uses_dynamic_stack 0
		.amdhsa_enable_private_segment 0
		.amdhsa_system_sgpr_workgroup_id_x 1
		.amdhsa_system_sgpr_workgroup_id_y 0
		.amdhsa_system_sgpr_workgroup_id_z 0
		.amdhsa_system_sgpr_workgroup_info 0
		.amdhsa_system_vgpr_workitem_id 0
		.amdhsa_next_free_vgpr 11
		.amdhsa_next_free_sgpr 12
		.amdhsa_named_barrier_count 0
		.amdhsa_reserve_vcc 1
		.amdhsa_float_round_mode_32 0
		.amdhsa_float_round_mode_16_64 0
		.amdhsa_float_denorm_mode_32 3
		.amdhsa_float_denorm_mode_16_64 3
		.amdhsa_fp16_overflow 0
		.amdhsa_memory_ordered 1
		.amdhsa_forward_progress 1
		.amdhsa_inst_pref_size 6
		.amdhsa_round_robin_scheduling 0
		.amdhsa_exception_fp_ieee_invalid_op 0
		.amdhsa_exception_fp_denorm_src 0
		.amdhsa_exception_fp_ieee_div_zero 0
		.amdhsa_exception_fp_ieee_overflow 0
		.amdhsa_exception_fp_ieee_underflow 0
		.amdhsa_exception_fp_ieee_inexact 0
		.amdhsa_exception_int_div_zero 0
	.end_amdhsa_kernel
	.section	.text._ZN2at6native14lpnorm_cleanupIfLNS0_8NormTypeE0EdLb1EdEEvPKT3_NS0_19TensorListAddressesEi,"axG",@progbits,_ZN2at6native14lpnorm_cleanupIfLNS0_8NormTypeE0EdLb1EdEEvPKT3_NS0_19TensorListAddressesEi,comdat
.Lfunc_end56:
	.size	_ZN2at6native14lpnorm_cleanupIfLNS0_8NormTypeE0EdLb1EdEEvPKT3_NS0_19TensorListAddressesEi, .Lfunc_end56-_ZN2at6native14lpnorm_cleanupIfLNS0_8NormTypeE0EdLb1EdEEvPKT3_NS0_19TensorListAddressesEi
                                        ; -- End function
	.set _ZN2at6native14lpnorm_cleanupIfLNS0_8NormTypeE0EdLb1EdEEvPKT3_NS0_19TensorListAddressesEi.num_vgpr, 11
	.set _ZN2at6native14lpnorm_cleanupIfLNS0_8NormTypeE0EdLb1EdEEvPKT3_NS0_19TensorListAddressesEi.num_agpr, 0
	.set _ZN2at6native14lpnorm_cleanupIfLNS0_8NormTypeE0EdLb1EdEEvPKT3_NS0_19TensorListAddressesEi.numbered_sgpr, 12
	.set _ZN2at6native14lpnorm_cleanupIfLNS0_8NormTypeE0EdLb1EdEEvPKT3_NS0_19TensorListAddressesEi.num_named_barrier, 0
	.set _ZN2at6native14lpnorm_cleanupIfLNS0_8NormTypeE0EdLb1EdEEvPKT3_NS0_19TensorListAddressesEi.private_seg_size, 0
	.set _ZN2at6native14lpnorm_cleanupIfLNS0_8NormTypeE0EdLb1EdEEvPKT3_NS0_19TensorListAddressesEi.uses_vcc, 1
	.set _ZN2at6native14lpnorm_cleanupIfLNS0_8NormTypeE0EdLb1EdEEvPKT3_NS0_19TensorListAddressesEi.uses_flat_scratch, 0
	.set _ZN2at6native14lpnorm_cleanupIfLNS0_8NormTypeE0EdLb1EdEEvPKT3_NS0_19TensorListAddressesEi.has_dyn_sized_stack, 0
	.set _ZN2at6native14lpnorm_cleanupIfLNS0_8NormTypeE0EdLb1EdEEvPKT3_NS0_19TensorListAddressesEi.has_recursion, 0
	.set _ZN2at6native14lpnorm_cleanupIfLNS0_8NormTypeE0EdLb1EdEEvPKT3_NS0_19TensorListAddressesEi.has_indirect_call, 0
	.section	.AMDGPU.csdata,"",@progbits
; Kernel info:
; codeLenInByte = 756
; TotalNumSgprs: 14
; NumVgprs: 11
; ScratchSize: 0
; MemoryBound: 0
; FloatMode: 240
; IeeeMode: 1
; LDSByteSize: 4096 bytes/workgroup (compile time only)
; SGPRBlocks: 0
; VGPRBlocks: 0
; NumSGPRsForWavesPerEU: 14
; NumVGPRsForWavesPerEU: 11
; NamedBarCnt: 0
; Occupancy: 16
; WaveLimiterHint : 0
; COMPUTE_PGM_RSRC2:SCRATCH_EN: 0
; COMPUTE_PGM_RSRC2:USER_SGPR: 2
; COMPUTE_PGM_RSRC2:TRAP_HANDLER: 0
; COMPUTE_PGM_RSRC2:TGID_X_EN: 1
; COMPUTE_PGM_RSRC2:TGID_Y_EN: 0
; COMPUTE_PGM_RSRC2:TGID_Z_EN: 0
; COMPUTE_PGM_RSRC2:TIDIG_COMP_CNT: 0
	.section	.text._ZN2at6native14lpnorm_cleanupIfLNS0_8NormTypeE1EdLb1EdEEvPKT3_NS0_19TensorListAddressesEi,"axG",@progbits,_ZN2at6native14lpnorm_cleanupIfLNS0_8NormTypeE1EdLb1EdEEvPKT3_NS0_19TensorListAddressesEi,comdat
	.protected	_ZN2at6native14lpnorm_cleanupIfLNS0_8NormTypeE1EdLb1EdEEvPKT3_NS0_19TensorListAddressesEi ; -- Begin function _ZN2at6native14lpnorm_cleanupIfLNS0_8NormTypeE1EdLb1EdEEvPKT3_NS0_19TensorListAddressesEi
	.globl	_ZN2at6native14lpnorm_cleanupIfLNS0_8NormTypeE1EdLb1EdEEvPKT3_NS0_19TensorListAddressesEi
	.p2align	8
	.type	_ZN2at6native14lpnorm_cleanupIfLNS0_8NormTypeE1EdLb1EdEEvPKT3_NS0_19TensorListAddressesEi,@function
_ZN2at6native14lpnorm_cleanupIfLNS0_8NormTypeE1EdLb1EdEEvPKT3_NS0_19TensorListAddressesEi: ; @_ZN2at6native14lpnorm_cleanupIfLNS0_8NormTypeE1EdLb1EdEEvPKT3_NS0_19TensorListAddressesEi
; %bb.0:
	s_load_b32 s2, s[0:1], 0xc88
	s_bfe_u32 s3, ttmp6, 0x4000c
	s_and_b32 s4, ttmp6, 15
	s_add_co_i32 s3, s3, 1
	v_mov_b64_e32 v[2:3], 0
	s_mul_i32 s3, ttmp9, s3
	s_mov_b32 s5, 0
	s_add_co_i32 s4, s4, s3
	s_getreg_b32 s3, hwreg(HW_REG_IB_STS2, 6, 4)
	s_mov_b32 s9, exec_lo
	s_cmp_eq_u32 s3, 0
	s_cselect_b32 s8, ttmp9, s4
	s_wait_kmcnt 0x0
	v_cmpx_gt_u32_e64 s2, v0
	s_cbranch_execz .LBB57_4
; %bb.1:
	s_clause 0x1
	s_load_b64 s[6:7], s[0:1], 0x0
	s_load_b32 s4, s[0:1], 0xc9c
	v_dual_mov_b32 v1, 0 :: v_dual_lshlrev_b32 v2, 3, v0
	s_mul_i32 s10, s2, s8
	s_mov_b32 s11, s5
	s_ashr_i32 s3, s2, 31
	s_delay_alu instid0(VALU_DEP_1)
	v_mov_b32_e32 v3, v1
	s_lshl_b64 s[10:11], s[10:11], 3
	v_mov_b64_e32 v[6:7], v[0:1]
	s_wait_kmcnt 0x0
	s_add_nc_u64 s[6:7], s[6:7], s[10:11]
	s_and_b32 s4, s4, 0xffff
	v_add_nc_u64_e32 v[4:5], s[6:7], v[2:3]
	v_mov_b64_e32 v[2:3], 0
	s_lshl_b32 s6, s4, 3
	s_mov_b32 s7, s5
	s_mov_b32 s10, s5
.LBB57_2:                               ; =>This Inner Loop Header: Depth=1
	global_load_b64 v[8:9], v[4:5], off
	v_add_nc_u64_e32 v[6:7], s[4:5], v[6:7]
	s_wait_xcnt 0x0
	v_add_nc_u64_e32 v[4:5], s[6:7], v[4:5]
	s_delay_alu instid0(VALU_DEP_2)
	v_cmp_le_u64_e32 vcc_lo, s[2:3], v[6:7]
	s_or_b32 s10, vcc_lo, s10
	s_wait_loadcnt 0x0
	v_add_f64_e32 v[2:3], v[2:3], v[8:9]
	s_and_not1_b32 exec_lo, exec_lo, s10
	s_cbranch_execnz .LBB57_2
; %bb.3:
	s_or_b32 exec_lo, exec_lo, s10
.LBB57_4:
	s_delay_alu instid0(SALU_CYCLE_1) | instskip(SKIP_4) | instid1(VALU_DEP_2)
	s_or_b32 exec_lo, exec_lo, s9
	v_mbcnt_lo_u32_b32 v9, -1, 0
	v_and_b32_e32 v10, 31, v0
	s_mov_b32 s2, exec_lo
	s_barrier_signal -1
	v_lshl_or_b32 v1, v9, 2, 64
	v_cmp_gt_u32_e32 vcc_lo, 24, v9
	s_barrier_wait -1
	ds_bpermute_b32 v4, v1, v2
	ds_bpermute_b32 v5, v1, v3
	s_wait_dscnt 0x0
	v_add_f64_e32 v[2:3], v[2:3], v[4:5]
	v_cndmask_b32_e64 v4, 0, 8, vcc_lo
	v_cmp_gt_u32_e32 vcc_lo, 28, v9
	s_delay_alu instid0(VALU_DEP_2)
	v_add_lshl_u32 v6, v4, v9, 2
	ds_bpermute_b32 v4, v6, v2
	ds_bpermute_b32 v5, v6, v3
	s_wait_dscnt 0x0
	v_add_f64_e32 v[2:3], v[2:3], v[4:5]
	v_cndmask_b32_e64 v4, 0, 4, vcc_lo
	v_cmp_gt_u32_e32 vcc_lo, 30, v9
	s_delay_alu instid0(VALU_DEP_2)
	v_add_lshl_u32 v7, v4, v9, 2
	ds_bpermute_b32 v4, v7, v2
	ds_bpermute_b32 v5, v7, v3
	s_wait_dscnt 0x0
	v_add_f64_e32 v[2:3], v[2:3], v[4:5]
	v_cndmask_b32_e64 v4, 0, 2, vcc_lo
	v_cmp_ne_u32_e32 vcc_lo, 31, v9
	s_delay_alu instid0(VALU_DEP_2)
	v_add_lshl_u32 v8, v4, v9, 2
	ds_bpermute_b32 v4, v8, v2
	ds_bpermute_b32 v5, v8, v3
	s_wait_dscnt 0x0
	v_add_f64_e32 v[2:3], v[2:3], v[4:5]
	v_add_co_ci_u32_e64 v4, null, 0, v9, vcc_lo
	s_delay_alu instid0(VALU_DEP_1)
	v_lshlrev_b32_e32 v9, 2, v4
	ds_bpermute_b32 v4, v9, v2
	ds_bpermute_b32 v5, v9, v3
	v_cmpx_eq_u32_e32 0, v10
	s_cbranch_execz .LBB57_6
; %bb.5:
	s_wait_dscnt 0x0
	v_add_f64_e32 v[2:3], v[2:3], v[4:5]
	v_lshrrev_b32_e32 v4, 2, v0
	ds_store_b64 v4, v[2:3]
.LBB57_6:
	s_or_b32 exec_lo, exec_lo, s2
	s_wait_dscnt 0x0
	s_barrier_signal -1
	s_barrier_wait -1
	s_load_b32 s2, s[0:1], 0xc9c
	v_mov_b64_e32 v[2:3], 0
	s_wait_kmcnt 0x0
	s_bfe_u32 s2, s2, 0xb0005
	s_delay_alu instid0(SALU_CYCLE_1)
	v_cmp_gt_u32_e32 vcc_lo, s2, v0
	s_and_saveexec_b32 s2, vcc_lo
; %bb.7:
	v_lshlrev_b32_e32 v2, 3, v10
	ds_load_b64 v[2:3], v2
; %bb.8:
	s_or_b32 exec_lo, exec_lo, s2
	s_delay_alu instid0(SALU_CYCLE_1)
	s_mov_b32 s2, exec_lo
	v_cmpx_gt_u32_e32 32, v0
	s_cbranch_execz .LBB57_10
; %bb.9:
	s_wait_dscnt 0x0
	ds_bpermute_b32 v4, v1, v2
	ds_bpermute_b32 v5, v1, v3
	s_wait_dscnt 0x0
	v_add_f64_e32 v[2:3], v[2:3], v[4:5]
	ds_bpermute_b32 v4, v6, v2
	ds_bpermute_b32 v5, v6, v3
	s_wait_dscnt 0x0
	v_add_f64_e32 v[2:3], v[2:3], v[4:5]
	;; [unrolled: 4-line block ×5, first 2 shown]
.LBB57_10:
	s_or_b32 exec_lo, exec_lo, s2
	s_delay_alu instid0(SALU_CYCLE_1)
	s_mov_b32 s2, exec_lo
	v_cmpx_eq_u32_e32 0, v0
	s_cbranch_execz .LBB57_12
; %bb.11:
	s_load_b64 s[0:1], s[0:1], s8 offset:0x8 scale_offset
	v_mov_b32_e32 v0, 0
	s_wait_dscnt 0x0
	s_wait_kmcnt 0x0
	global_store_b64 v0, v[2:3], s[0:1]
.LBB57_12:
	s_endpgm
	.section	.rodata,"a",@progbits
	.p2align	6, 0x0
	.amdhsa_kernel _ZN2at6native14lpnorm_cleanupIfLNS0_8NormTypeE1EdLb1EdEEvPKT3_NS0_19TensorListAddressesEi
		.amdhsa_group_segment_fixed_size 4096
		.amdhsa_private_segment_fixed_size 0
		.amdhsa_kernarg_size 3472
		.amdhsa_user_sgpr_count 2
		.amdhsa_user_sgpr_dispatch_ptr 0
		.amdhsa_user_sgpr_queue_ptr 0
		.amdhsa_user_sgpr_kernarg_segment_ptr 1
		.amdhsa_user_sgpr_dispatch_id 0
		.amdhsa_user_sgpr_kernarg_preload_length 0
		.amdhsa_user_sgpr_kernarg_preload_offset 0
		.amdhsa_user_sgpr_private_segment_size 0
		.amdhsa_wavefront_size32 1
		.amdhsa_uses_dynamic_stack 0
		.amdhsa_enable_private_segment 0
		.amdhsa_system_sgpr_workgroup_id_x 1
		.amdhsa_system_sgpr_workgroup_id_y 0
		.amdhsa_system_sgpr_workgroup_id_z 0
		.amdhsa_system_sgpr_workgroup_info 0
		.amdhsa_system_vgpr_workitem_id 0
		.amdhsa_next_free_vgpr 11
		.amdhsa_next_free_sgpr 12
		.amdhsa_named_barrier_count 0
		.amdhsa_reserve_vcc 1
		.amdhsa_float_round_mode_32 0
		.amdhsa_float_round_mode_16_64 0
		.amdhsa_float_denorm_mode_32 3
		.amdhsa_float_denorm_mode_16_64 3
		.amdhsa_fp16_overflow 0
		.amdhsa_memory_ordered 1
		.amdhsa_forward_progress 1
		.amdhsa_inst_pref_size 6
		.amdhsa_round_robin_scheduling 0
		.amdhsa_exception_fp_ieee_invalid_op 0
		.amdhsa_exception_fp_denorm_src 0
		.amdhsa_exception_fp_ieee_div_zero 0
		.amdhsa_exception_fp_ieee_overflow 0
		.amdhsa_exception_fp_ieee_underflow 0
		.amdhsa_exception_fp_ieee_inexact 0
		.amdhsa_exception_int_div_zero 0
	.end_amdhsa_kernel
	.section	.text._ZN2at6native14lpnorm_cleanupIfLNS0_8NormTypeE1EdLb1EdEEvPKT3_NS0_19TensorListAddressesEi,"axG",@progbits,_ZN2at6native14lpnorm_cleanupIfLNS0_8NormTypeE1EdLb1EdEEvPKT3_NS0_19TensorListAddressesEi,comdat
.Lfunc_end57:
	.size	_ZN2at6native14lpnorm_cleanupIfLNS0_8NormTypeE1EdLb1EdEEvPKT3_NS0_19TensorListAddressesEi, .Lfunc_end57-_ZN2at6native14lpnorm_cleanupIfLNS0_8NormTypeE1EdLb1EdEEvPKT3_NS0_19TensorListAddressesEi
                                        ; -- End function
	.set _ZN2at6native14lpnorm_cleanupIfLNS0_8NormTypeE1EdLb1EdEEvPKT3_NS0_19TensorListAddressesEi.num_vgpr, 11
	.set _ZN2at6native14lpnorm_cleanupIfLNS0_8NormTypeE1EdLb1EdEEvPKT3_NS0_19TensorListAddressesEi.num_agpr, 0
	.set _ZN2at6native14lpnorm_cleanupIfLNS0_8NormTypeE1EdLb1EdEEvPKT3_NS0_19TensorListAddressesEi.numbered_sgpr, 12
	.set _ZN2at6native14lpnorm_cleanupIfLNS0_8NormTypeE1EdLb1EdEEvPKT3_NS0_19TensorListAddressesEi.num_named_barrier, 0
	.set _ZN2at6native14lpnorm_cleanupIfLNS0_8NormTypeE1EdLb1EdEEvPKT3_NS0_19TensorListAddressesEi.private_seg_size, 0
	.set _ZN2at6native14lpnorm_cleanupIfLNS0_8NormTypeE1EdLb1EdEEvPKT3_NS0_19TensorListAddressesEi.uses_vcc, 1
	.set _ZN2at6native14lpnorm_cleanupIfLNS0_8NormTypeE1EdLb1EdEEvPKT3_NS0_19TensorListAddressesEi.uses_flat_scratch, 0
	.set _ZN2at6native14lpnorm_cleanupIfLNS0_8NormTypeE1EdLb1EdEEvPKT3_NS0_19TensorListAddressesEi.has_dyn_sized_stack, 0
	.set _ZN2at6native14lpnorm_cleanupIfLNS0_8NormTypeE1EdLb1EdEEvPKT3_NS0_19TensorListAddressesEi.has_recursion, 0
	.set _ZN2at6native14lpnorm_cleanupIfLNS0_8NormTypeE1EdLb1EdEEvPKT3_NS0_19TensorListAddressesEi.has_indirect_call, 0
	.section	.AMDGPU.csdata,"",@progbits
; Kernel info:
; codeLenInByte = 756
; TotalNumSgprs: 14
; NumVgprs: 11
; ScratchSize: 0
; MemoryBound: 0
; FloatMode: 240
; IeeeMode: 1
; LDSByteSize: 4096 bytes/workgroup (compile time only)
; SGPRBlocks: 0
; VGPRBlocks: 0
; NumSGPRsForWavesPerEU: 14
; NumVGPRsForWavesPerEU: 11
; NamedBarCnt: 0
; Occupancy: 16
; WaveLimiterHint : 0
; COMPUTE_PGM_RSRC2:SCRATCH_EN: 0
; COMPUTE_PGM_RSRC2:USER_SGPR: 2
; COMPUTE_PGM_RSRC2:TRAP_HANDLER: 0
; COMPUTE_PGM_RSRC2:TGID_X_EN: 1
; COMPUTE_PGM_RSRC2:TGID_Y_EN: 0
; COMPUTE_PGM_RSRC2:TGID_Z_EN: 0
; COMPUTE_PGM_RSRC2:TIDIG_COMP_CNT: 0
	.section	.text._ZN2at6native14lpnorm_cleanupIfLNS0_8NormTypeE2EdLb1EdEEvPKT3_NS0_19TensorListAddressesEi,"axG",@progbits,_ZN2at6native14lpnorm_cleanupIfLNS0_8NormTypeE2EdLb1EdEEvPKT3_NS0_19TensorListAddressesEi,comdat
	.protected	_ZN2at6native14lpnorm_cleanupIfLNS0_8NormTypeE2EdLb1EdEEvPKT3_NS0_19TensorListAddressesEi ; -- Begin function _ZN2at6native14lpnorm_cleanupIfLNS0_8NormTypeE2EdLb1EdEEvPKT3_NS0_19TensorListAddressesEi
	.globl	_ZN2at6native14lpnorm_cleanupIfLNS0_8NormTypeE2EdLb1EdEEvPKT3_NS0_19TensorListAddressesEi
	.p2align	8
	.type	_ZN2at6native14lpnorm_cleanupIfLNS0_8NormTypeE2EdLb1EdEEvPKT3_NS0_19TensorListAddressesEi,@function
_ZN2at6native14lpnorm_cleanupIfLNS0_8NormTypeE2EdLb1EdEEvPKT3_NS0_19TensorListAddressesEi: ; @_ZN2at6native14lpnorm_cleanupIfLNS0_8NormTypeE2EdLb1EdEEvPKT3_NS0_19TensorListAddressesEi
; %bb.0:
	s_load_b32 s2, s[0:1], 0xc88
	s_bfe_u32 s3, ttmp6, 0x4000c
	s_and_b32 s4, ttmp6, 15
	s_add_co_i32 s3, s3, 1
	v_mov_b64_e32 v[2:3], 0
	s_mul_i32 s3, ttmp9, s3
	s_mov_b32 s5, 0
	s_add_co_i32 s4, s4, s3
	s_getreg_b32 s3, hwreg(HW_REG_IB_STS2, 6, 4)
	s_mov_b32 s9, exec_lo
	s_cmp_eq_u32 s3, 0
	s_cselect_b32 s8, ttmp9, s4
	s_wait_kmcnt 0x0
	v_cmpx_gt_u32_e64 s2, v0
	s_cbranch_execz .LBB58_4
; %bb.1:
	s_clause 0x1
	s_load_b64 s[6:7], s[0:1], 0x0
	s_load_b32 s4, s[0:1], 0xc9c
	v_dual_mov_b32 v1, 0 :: v_dual_lshlrev_b32 v2, 3, v0
	s_mul_i32 s10, s2, s8
	s_mov_b32 s11, s5
	s_ashr_i32 s3, s2, 31
	s_delay_alu instid0(VALU_DEP_1)
	v_mov_b32_e32 v3, v1
	s_lshl_b64 s[10:11], s[10:11], 3
	v_mov_b64_e32 v[6:7], v[0:1]
	s_wait_kmcnt 0x0
	s_add_nc_u64 s[6:7], s[6:7], s[10:11]
	s_and_b32 s4, s4, 0xffff
	v_add_nc_u64_e32 v[4:5], s[6:7], v[2:3]
	v_mov_b64_e32 v[2:3], 0
	s_lshl_b32 s6, s4, 3
	s_mov_b32 s7, s5
	s_mov_b32 s10, s5
.LBB58_2:                               ; =>This Inner Loop Header: Depth=1
	global_load_b64 v[8:9], v[4:5], off
	v_add_nc_u64_e32 v[6:7], s[4:5], v[6:7]
	s_wait_xcnt 0x0
	v_add_nc_u64_e32 v[4:5], s[6:7], v[4:5]
	s_delay_alu instid0(VALU_DEP_2)
	v_cmp_le_u64_e32 vcc_lo, s[2:3], v[6:7]
	s_or_b32 s10, vcc_lo, s10
	s_wait_loadcnt 0x0
	v_add_f64_e32 v[2:3], v[2:3], v[8:9]
	s_and_not1_b32 exec_lo, exec_lo, s10
	s_cbranch_execnz .LBB58_2
; %bb.3:
	s_or_b32 exec_lo, exec_lo, s10
.LBB58_4:
	s_delay_alu instid0(SALU_CYCLE_1) | instskip(SKIP_4) | instid1(VALU_DEP_2)
	s_or_b32 exec_lo, exec_lo, s9
	v_mbcnt_lo_u32_b32 v9, -1, 0
	v_and_b32_e32 v10, 31, v0
	s_mov_b32 s2, exec_lo
	s_barrier_signal -1
	v_lshl_or_b32 v1, v9, 2, 64
	v_cmp_gt_u32_e32 vcc_lo, 24, v9
	s_barrier_wait -1
	ds_bpermute_b32 v4, v1, v2
	ds_bpermute_b32 v5, v1, v3
	s_wait_dscnt 0x0
	v_add_f64_e32 v[2:3], v[2:3], v[4:5]
	v_cndmask_b32_e64 v4, 0, 8, vcc_lo
	v_cmp_gt_u32_e32 vcc_lo, 28, v9
	s_delay_alu instid0(VALU_DEP_2)
	v_add_lshl_u32 v6, v4, v9, 2
	ds_bpermute_b32 v4, v6, v2
	ds_bpermute_b32 v5, v6, v3
	s_wait_dscnt 0x0
	v_add_f64_e32 v[2:3], v[2:3], v[4:5]
	v_cndmask_b32_e64 v4, 0, 4, vcc_lo
	v_cmp_gt_u32_e32 vcc_lo, 30, v9
	s_delay_alu instid0(VALU_DEP_2)
	v_add_lshl_u32 v7, v4, v9, 2
	ds_bpermute_b32 v4, v7, v2
	ds_bpermute_b32 v5, v7, v3
	s_wait_dscnt 0x0
	v_add_f64_e32 v[2:3], v[2:3], v[4:5]
	v_cndmask_b32_e64 v4, 0, 2, vcc_lo
	v_cmp_ne_u32_e32 vcc_lo, 31, v9
	s_delay_alu instid0(VALU_DEP_2)
	v_add_lshl_u32 v8, v4, v9, 2
	ds_bpermute_b32 v4, v8, v2
	ds_bpermute_b32 v5, v8, v3
	s_wait_dscnt 0x0
	v_add_f64_e32 v[2:3], v[2:3], v[4:5]
	v_add_co_ci_u32_e64 v4, null, 0, v9, vcc_lo
	s_delay_alu instid0(VALU_DEP_1)
	v_lshlrev_b32_e32 v9, 2, v4
	ds_bpermute_b32 v4, v9, v2
	ds_bpermute_b32 v5, v9, v3
	v_cmpx_eq_u32_e32 0, v10
	s_cbranch_execz .LBB58_6
; %bb.5:
	s_wait_dscnt 0x0
	v_add_f64_e32 v[2:3], v[2:3], v[4:5]
	v_lshrrev_b32_e32 v4, 2, v0
	ds_store_b64 v4, v[2:3]
.LBB58_6:
	s_or_b32 exec_lo, exec_lo, s2
	s_wait_dscnt 0x0
	s_barrier_signal -1
	s_barrier_wait -1
	s_load_b32 s2, s[0:1], 0xc9c
	v_mov_b64_e32 v[2:3], 0
	s_wait_kmcnt 0x0
	s_bfe_u32 s2, s2, 0xb0005
	s_delay_alu instid0(SALU_CYCLE_1)
	v_cmp_gt_u32_e32 vcc_lo, s2, v0
	s_and_saveexec_b32 s2, vcc_lo
; %bb.7:
	v_lshlrev_b32_e32 v2, 3, v10
	ds_load_b64 v[2:3], v2
; %bb.8:
	s_or_b32 exec_lo, exec_lo, s2
	s_delay_alu instid0(SALU_CYCLE_1)
	s_mov_b32 s2, exec_lo
	v_cmpx_gt_u32_e32 32, v0
	s_cbranch_execz .LBB58_10
; %bb.9:
	s_wait_dscnt 0x0
	ds_bpermute_b32 v4, v1, v2
	ds_bpermute_b32 v5, v1, v3
	s_wait_dscnt 0x0
	v_add_f64_e32 v[2:3], v[2:3], v[4:5]
	ds_bpermute_b32 v4, v6, v2
	ds_bpermute_b32 v5, v6, v3
	s_wait_dscnt 0x0
	v_add_f64_e32 v[2:3], v[2:3], v[4:5]
	;; [unrolled: 4-line block ×5, first 2 shown]
.LBB58_10:
	s_or_b32 exec_lo, exec_lo, s2
	s_delay_alu instid0(SALU_CYCLE_1)
	s_mov_b32 s2, exec_lo
	v_cmpx_eq_u32_e32 0, v0
	s_cbranch_execz .LBB58_12
; %bb.11:
	s_wait_dscnt 0x0
	s_delay_alu instid0(VALU_DEP_2) | instskip(SKIP_2) | instid1(VALU_DEP_1)
	v_cmp_gt_f64_e32 vcc_lo, 0x10000000, v[2:3]
	s_load_b64 s[0:1], s[0:1], s8 offset:0x8 scale_offset
	v_cndmask_b32_e64 v0, 0, 0x100, vcc_lo
	v_ldexp_f64 v[0:1], v[2:3], v0
	s_delay_alu instid0(VALU_DEP_1) | instskip(SKIP_1) | instid1(TRANS32_DEP_1)
	v_rsq_f64_e32 v[2:3], v[0:1]
	v_nop
	v_mul_f64_e32 v[4:5], v[0:1], v[2:3]
	v_mul_f64_e32 v[2:3], 0.5, v[2:3]
	s_delay_alu instid0(VALU_DEP_1) | instskip(NEXT) | instid1(VALU_DEP_1)
	v_fma_f64 v[6:7], -v[2:3], v[4:5], 0.5
	v_fmac_f64_e32 v[4:5], v[4:5], v[6:7]
	v_fmac_f64_e32 v[2:3], v[2:3], v[6:7]
	s_delay_alu instid0(VALU_DEP_2) | instskip(NEXT) | instid1(VALU_DEP_1)
	v_fma_f64 v[6:7], -v[4:5], v[4:5], v[0:1]
	v_fmac_f64_e32 v[4:5], v[6:7], v[2:3]
	s_delay_alu instid0(VALU_DEP_1) | instskip(NEXT) | instid1(VALU_DEP_1)
	v_fma_f64 v[6:7], -v[4:5], v[4:5], v[0:1]
	v_fmac_f64_e32 v[4:5], v[6:7], v[2:3]
	v_cndmask_b32_e64 v2, 0, 0xffffff80, vcc_lo
	v_cmp_class_f64_e64 vcc_lo, v[0:1], 0x260
	s_delay_alu instid0(VALU_DEP_2) | instskip(NEXT) | instid1(VALU_DEP_1)
	v_ldexp_f64 v[2:3], v[4:5], v2
	v_dual_cndmask_b32 v1, v3, v1 :: v_dual_cndmask_b32 v0, v2, v0
	v_mov_b32_e32 v2, 0
	s_wait_kmcnt 0x0
	global_store_b64 v2, v[0:1], s[0:1]
.LBB58_12:
	s_endpgm
	.section	.rodata,"a",@progbits
	.p2align	6, 0x0
	.amdhsa_kernel _ZN2at6native14lpnorm_cleanupIfLNS0_8NormTypeE2EdLb1EdEEvPKT3_NS0_19TensorListAddressesEi
		.amdhsa_group_segment_fixed_size 4096
		.amdhsa_private_segment_fixed_size 0
		.amdhsa_kernarg_size 3472
		.amdhsa_user_sgpr_count 2
		.amdhsa_user_sgpr_dispatch_ptr 0
		.amdhsa_user_sgpr_queue_ptr 0
		.amdhsa_user_sgpr_kernarg_segment_ptr 1
		.amdhsa_user_sgpr_dispatch_id 0
		.amdhsa_user_sgpr_kernarg_preload_length 0
		.amdhsa_user_sgpr_kernarg_preload_offset 0
		.amdhsa_user_sgpr_private_segment_size 0
		.amdhsa_wavefront_size32 1
		.amdhsa_uses_dynamic_stack 0
		.amdhsa_enable_private_segment 0
		.amdhsa_system_sgpr_workgroup_id_x 1
		.amdhsa_system_sgpr_workgroup_id_y 0
		.amdhsa_system_sgpr_workgroup_id_z 0
		.amdhsa_system_sgpr_workgroup_info 0
		.amdhsa_system_vgpr_workitem_id 0
		.amdhsa_next_free_vgpr 11
		.amdhsa_next_free_sgpr 12
		.amdhsa_named_barrier_count 0
		.amdhsa_reserve_vcc 1
		.amdhsa_float_round_mode_32 0
		.amdhsa_float_round_mode_16_64 0
		.amdhsa_float_denorm_mode_32 3
		.amdhsa_float_denorm_mode_16_64 3
		.amdhsa_fp16_overflow 0
		.amdhsa_memory_ordered 1
		.amdhsa_forward_progress 1
		.amdhsa_inst_pref_size 8
		.amdhsa_round_robin_scheduling 0
		.amdhsa_exception_fp_ieee_invalid_op 0
		.amdhsa_exception_fp_denorm_src 0
		.amdhsa_exception_fp_ieee_div_zero 0
		.amdhsa_exception_fp_ieee_overflow 0
		.amdhsa_exception_fp_ieee_underflow 0
		.amdhsa_exception_fp_ieee_inexact 0
		.amdhsa_exception_int_div_zero 0
	.end_amdhsa_kernel
	.section	.text._ZN2at6native14lpnorm_cleanupIfLNS0_8NormTypeE2EdLb1EdEEvPKT3_NS0_19TensorListAddressesEi,"axG",@progbits,_ZN2at6native14lpnorm_cleanupIfLNS0_8NormTypeE2EdLb1EdEEvPKT3_NS0_19TensorListAddressesEi,comdat
.Lfunc_end58:
	.size	_ZN2at6native14lpnorm_cleanupIfLNS0_8NormTypeE2EdLb1EdEEvPKT3_NS0_19TensorListAddressesEi, .Lfunc_end58-_ZN2at6native14lpnorm_cleanupIfLNS0_8NormTypeE2EdLb1EdEEvPKT3_NS0_19TensorListAddressesEi
                                        ; -- End function
	.set _ZN2at6native14lpnorm_cleanupIfLNS0_8NormTypeE2EdLb1EdEEvPKT3_NS0_19TensorListAddressesEi.num_vgpr, 11
	.set _ZN2at6native14lpnorm_cleanupIfLNS0_8NormTypeE2EdLb1EdEEvPKT3_NS0_19TensorListAddressesEi.num_agpr, 0
	.set _ZN2at6native14lpnorm_cleanupIfLNS0_8NormTypeE2EdLb1EdEEvPKT3_NS0_19TensorListAddressesEi.numbered_sgpr, 12
	.set _ZN2at6native14lpnorm_cleanupIfLNS0_8NormTypeE2EdLb1EdEEvPKT3_NS0_19TensorListAddressesEi.num_named_barrier, 0
	.set _ZN2at6native14lpnorm_cleanupIfLNS0_8NormTypeE2EdLb1EdEEvPKT3_NS0_19TensorListAddressesEi.private_seg_size, 0
	.set _ZN2at6native14lpnorm_cleanupIfLNS0_8NormTypeE2EdLb1EdEEvPKT3_NS0_19TensorListAddressesEi.uses_vcc, 1
	.set _ZN2at6native14lpnorm_cleanupIfLNS0_8NormTypeE2EdLb1EdEEvPKT3_NS0_19TensorListAddressesEi.uses_flat_scratch, 0
	.set _ZN2at6native14lpnorm_cleanupIfLNS0_8NormTypeE2EdLb1EdEEvPKT3_NS0_19TensorListAddressesEi.has_dyn_sized_stack, 0
	.set _ZN2at6native14lpnorm_cleanupIfLNS0_8NormTypeE2EdLb1EdEEvPKT3_NS0_19TensorListAddressesEi.has_recursion, 0
	.set _ZN2at6native14lpnorm_cleanupIfLNS0_8NormTypeE2EdLb1EdEEvPKT3_NS0_19TensorListAddressesEi.has_indirect_call, 0
	.section	.AMDGPU.csdata,"",@progbits
; Kernel info:
; codeLenInByte = 904
; TotalNumSgprs: 14
; NumVgprs: 11
; ScratchSize: 0
; MemoryBound: 0
; FloatMode: 240
; IeeeMode: 1
; LDSByteSize: 4096 bytes/workgroup (compile time only)
; SGPRBlocks: 0
; VGPRBlocks: 0
; NumSGPRsForWavesPerEU: 14
; NumVGPRsForWavesPerEU: 11
; NamedBarCnt: 0
; Occupancy: 16
; WaveLimiterHint : 0
; COMPUTE_PGM_RSRC2:SCRATCH_EN: 0
; COMPUTE_PGM_RSRC2:USER_SGPR: 2
; COMPUTE_PGM_RSRC2:TRAP_HANDLER: 0
; COMPUTE_PGM_RSRC2:TGID_X_EN: 1
; COMPUTE_PGM_RSRC2:TGID_Y_EN: 0
; COMPUTE_PGM_RSRC2:TGID_Z_EN: 0
; COMPUTE_PGM_RSRC2:TIDIG_COMP_CNT: 0
	.section	.text._ZN2at6native14lpnorm_cleanupIfLNS0_8NormTypeE3EdLb1EdEEvPKT3_NS0_19TensorListAddressesEi,"axG",@progbits,_ZN2at6native14lpnorm_cleanupIfLNS0_8NormTypeE3EdLb1EdEEvPKT3_NS0_19TensorListAddressesEi,comdat
	.protected	_ZN2at6native14lpnorm_cleanupIfLNS0_8NormTypeE3EdLb1EdEEvPKT3_NS0_19TensorListAddressesEi ; -- Begin function _ZN2at6native14lpnorm_cleanupIfLNS0_8NormTypeE3EdLb1EdEEvPKT3_NS0_19TensorListAddressesEi
	.globl	_ZN2at6native14lpnorm_cleanupIfLNS0_8NormTypeE3EdLb1EdEEvPKT3_NS0_19TensorListAddressesEi
	.p2align	8
	.type	_ZN2at6native14lpnorm_cleanupIfLNS0_8NormTypeE3EdLb1EdEEvPKT3_NS0_19TensorListAddressesEi,@function
_ZN2at6native14lpnorm_cleanupIfLNS0_8NormTypeE3EdLb1EdEEvPKT3_NS0_19TensorListAddressesEi: ; @_ZN2at6native14lpnorm_cleanupIfLNS0_8NormTypeE3EdLb1EdEEvPKT3_NS0_19TensorListAddressesEi
; %bb.0:
	s_load_b32 s4, s[0:1], 0xc88
	s_bfe_u32 s2, ttmp6, 0x4000c
	s_and_b32 s3, ttmp6, 15
	s_add_co_i32 s2, s2, 1
	v_mov_b64_e32 v[2:3], 0
	s_mul_i32 s2, ttmp9, s2
	s_mov_b32 s7, 0
	s_add_co_i32 s3, s3, s2
	s_getreg_b32 s2, hwreg(HW_REG_IB_STS2, 6, 4)
	s_mov_b32 s11, exec_lo
	s_cmp_eq_u32 s2, 0
	s_cselect_b32 s10, ttmp9, s3
	s_wait_kmcnt 0x0
	v_cmpx_gt_u32_e64 s4, v0
	s_cbranch_execz .LBB59_4
; %bb.1:
	s_clause 0x1
	s_load_b64 s[2:3], s[0:1], 0x0
	s_load_b32 s6, s[0:1], 0xc9c
	v_dual_mov_b32 v1, 0 :: v_dual_lshlrev_b32 v2, 3, v0
	s_mul_i32 s8, s4, s10
	s_mov_b32 s9, s7
	s_ashr_i32 s5, s4, 31
	s_delay_alu instid0(VALU_DEP_1)
	v_mov_b32_e32 v3, v1
	s_lshl_b64 s[8:9], s[8:9], 3
	v_mov_b64_e32 v[6:7], v[0:1]
	s_mov_b32 s12, s7
	s_wait_kmcnt 0x0
	s_add_nc_u64 s[2:3], s[2:3], s[8:9]
	s_and_b32 s6, s6, 0xffff
	v_add_nc_u64_e32 v[4:5], s[2:3], v[2:3]
	v_mov_b64_e32 v[2:3], 0
	s_lshl_b32 s8, s6, 3
	s_mov_b32 s9, s7
.LBB59_2:                               ; =>This Inner Loop Header: Depth=1
	global_load_b64 v[8:9], v[4:5], off
	v_add_nc_u64_e32 v[6:7], s[6:7], v[6:7]
	s_wait_xcnt 0x0
	v_add_nc_u64_e32 v[4:5], s[8:9], v[4:5]
	s_delay_alu instid0(VALU_DEP_2)
	v_cmp_le_u64_e64 s3, s[4:5], v[6:7]
	s_wait_loadcnt 0x0
	v_cmp_u_f64_e32 vcc_lo, v[8:9], v[8:9]
	v_cmp_lt_f64_e64 s2, v[2:3], v[8:9]
	s_or_b32 vcc_lo, vcc_lo, s2
	s_or_b32 s12, s3, s12
	v_dual_cndmask_b32 v3, v3, v9 :: v_dual_cndmask_b32 v2, v2, v8
	s_and_not1_b32 exec_lo, exec_lo, s12
	s_cbranch_execnz .LBB59_2
; %bb.3:
	s_or_b32 exec_lo, exec_lo, s12
.LBB59_4:
	s_delay_alu instid0(SALU_CYCLE_1) | instskip(SKIP_3) | instid1(VALU_DEP_1)
	s_or_b32 exec_lo, exec_lo, s11
	v_mbcnt_lo_u32_b32 v9, -1, 0
	s_barrier_signal -1
	s_barrier_wait -1
	v_lshl_or_b32 v1, v9, 2, 64
	v_cmp_gt_u32_e64 s3, 24, v9
	v_and_b32_e32 v10, 31, v0
	ds_bpermute_b32 v4, v1, v2
	ds_bpermute_b32 v5, v1, v3
	v_cndmask_b32_e64 v6, 0, 8, s3
	v_cmp_gt_u32_e64 s3, 28, v9
	s_delay_alu instid0(VALU_DEP_2) | instskip(NEXT) | instid1(VALU_DEP_2)
	v_add_lshl_u32 v6, v6, v9, 2
	v_cndmask_b32_e64 v7, 0, 4, s3
	v_cmp_gt_u32_e64 s3, 30, v9
	s_delay_alu instid0(VALU_DEP_2) | instskip(NEXT) | instid1(VALU_DEP_2)
	v_add_lshl_u32 v7, v7, v9, 2
	v_cndmask_b32_e64 v8, 0, 2, s3
	v_cmp_ne_u32_e64 s3, 31, v9
	s_delay_alu instid0(VALU_DEP_2) | instskip(NEXT) | instid1(VALU_DEP_2)
	v_add_lshl_u32 v8, v8, v9, 2
	v_add_co_ci_u32_e64 v9, null, 0, v9, s3
	s_wait_dscnt 0x0
	v_cmp_u_f64_e32 vcc_lo, v[4:5], v[4:5]
	v_cmp_lt_f64_e64 s2, v[2:3], v[4:5]
	s_mov_b32 s3, exec_lo
	s_or_b32 vcc_lo, vcc_lo, s2
	v_dual_cndmask_b32 v3, v3, v5 :: v_dual_cndmask_b32 v2, v2, v4
	ds_bpermute_b32 v5, v6, v3
	ds_bpermute_b32 v4, v6, v2
	s_wait_dscnt 0x0
	v_cmp_u_f64_e32 vcc_lo, v[4:5], v[4:5]
	v_cmp_lt_f64_e64 s2, v[2:3], v[4:5]
	s_or_b32 vcc_lo, vcc_lo, s2
	v_dual_cndmask_b32 v3, v3, v5 :: v_dual_cndmask_b32 v2, v2, v4
	ds_bpermute_b32 v5, v7, v3
	ds_bpermute_b32 v4, v7, v2
	s_wait_dscnt 0x0
	v_cmp_u_f64_e32 vcc_lo, v[4:5], v[4:5]
	v_cmp_lt_f64_e64 s2, v[2:3], v[4:5]
	;; [unrolled: 7-line block ×3, first 2 shown]
	s_or_b32 vcc_lo, vcc_lo, s2
	v_dual_cndmask_b32 v2, v2, v4 :: v_dual_lshlrev_b32 v9, 2, v9
	v_cndmask_b32_e32 v3, v3, v5, vcc_lo
	ds_bpermute_b32 v4, v9, v2
	ds_bpermute_b32 v5, v9, v3
	v_cmpx_eq_u32_e32 0, v10
	s_cbranch_execz .LBB59_6
; %bb.5:
	s_wait_dscnt 0x0
	v_cmp_u_f64_e32 vcc_lo, v[4:5], v[4:5]
	v_cmp_lt_f64_e64 s2, v[2:3], v[4:5]
	s_or_b32 vcc_lo, vcc_lo, s2
	s_delay_alu instid0(SALU_CYCLE_1)
	v_dual_lshrrev_b32 v11, 2, v0 :: v_dual_cndmask_b32 v3, v3, v5, vcc_lo
	v_cndmask_b32_e32 v2, v2, v4, vcc_lo
	ds_store_b64 v11, v[2:3]
.LBB59_6:
	s_or_b32 exec_lo, exec_lo, s3
	s_wait_dscnt 0x0
	s_barrier_signal -1
	s_barrier_wait -1
	s_load_b32 s2, s[0:1], 0xc9c
	v_mov_b64_e32 v[2:3], 0xffefffffffffffff
	s_wait_kmcnt 0x0
	s_bfe_u32 s2, s2, 0xb0005
	s_delay_alu instid0(SALU_CYCLE_1)
	v_cmp_gt_u32_e32 vcc_lo, s2, v0
	s_and_saveexec_b32 s2, vcc_lo
; %bb.7:
	v_lshlrev_b32_e32 v2, 3, v10
	ds_load_b64 v[2:3], v2
; %bb.8:
	s_or_b32 exec_lo, exec_lo, s2
	s_delay_alu instid0(SALU_CYCLE_1)
	s_mov_b32 s3, exec_lo
	v_cmpx_gt_u32_e32 32, v0
	s_cbranch_execz .LBB59_10
; %bb.9:
	s_wait_dscnt 0x0
	ds_bpermute_b32 v4, v1, v2
	ds_bpermute_b32 v5, v1, v3
	s_wait_dscnt 0x0
	v_cmp_u_f64_e32 vcc_lo, v[4:5], v[4:5]
	v_cmp_lt_f64_e64 s2, v[2:3], v[4:5]
	s_or_b32 vcc_lo, vcc_lo, s2
	v_dual_cndmask_b32 v3, v3, v5 :: v_dual_cndmask_b32 v2, v2, v4
	ds_bpermute_b32 v5, v6, v3
	ds_bpermute_b32 v4, v6, v2
	s_wait_dscnt 0x0
	v_cmp_u_f64_e32 vcc_lo, v[4:5], v[4:5]
	v_cmp_lt_f64_e64 s2, v[2:3], v[4:5]
	s_or_b32 vcc_lo, vcc_lo, s2
	v_dual_cndmask_b32 v3, v3, v5 :: v_dual_cndmask_b32 v2, v2, v4
	;; [unrolled: 7-line block ×5, first 2 shown]
.LBB59_10:
	s_or_b32 exec_lo, exec_lo, s3
	s_delay_alu instid0(SALU_CYCLE_1)
	s_mov_b32 s2, exec_lo
	v_cmpx_eq_u32_e32 0, v0
	s_cbranch_execz .LBB59_12
; %bb.11:
	s_load_b64 s[0:1], s[0:1], s10 offset:0x8 scale_offset
	v_mov_b32_e32 v0, 0
	s_wait_dscnt 0x0
	s_wait_kmcnt 0x0
	global_store_b64 v0, v[2:3], s[0:1]
.LBB59_12:
	s_endpgm
	.section	.rodata,"a",@progbits
	.p2align	6, 0x0
	.amdhsa_kernel _ZN2at6native14lpnorm_cleanupIfLNS0_8NormTypeE3EdLb1EdEEvPKT3_NS0_19TensorListAddressesEi
		.amdhsa_group_segment_fixed_size 4096
		.amdhsa_private_segment_fixed_size 0
		.amdhsa_kernarg_size 3472
		.amdhsa_user_sgpr_count 2
		.amdhsa_user_sgpr_dispatch_ptr 0
		.amdhsa_user_sgpr_queue_ptr 0
		.amdhsa_user_sgpr_kernarg_segment_ptr 1
		.amdhsa_user_sgpr_dispatch_id 0
		.amdhsa_user_sgpr_kernarg_preload_length 0
		.amdhsa_user_sgpr_kernarg_preload_offset 0
		.amdhsa_user_sgpr_private_segment_size 0
		.amdhsa_wavefront_size32 1
		.amdhsa_uses_dynamic_stack 0
		.amdhsa_enable_private_segment 0
		.amdhsa_system_sgpr_workgroup_id_x 1
		.amdhsa_system_sgpr_workgroup_id_y 0
		.amdhsa_system_sgpr_workgroup_id_z 0
		.amdhsa_system_sgpr_workgroup_info 0
		.amdhsa_system_vgpr_workitem_id 0
		.amdhsa_next_free_vgpr 12
		.amdhsa_next_free_sgpr 13
		.amdhsa_named_barrier_count 0
		.amdhsa_reserve_vcc 1
		.amdhsa_float_round_mode_32 0
		.amdhsa_float_round_mode_16_64 0
		.amdhsa_float_denorm_mode_32 3
		.amdhsa_float_denorm_mode_16_64 3
		.amdhsa_fp16_overflow 0
		.amdhsa_memory_ordered 1
		.amdhsa_forward_progress 1
		.amdhsa_inst_pref_size 8
		.amdhsa_round_robin_scheduling 0
		.amdhsa_exception_fp_ieee_invalid_op 0
		.amdhsa_exception_fp_denorm_src 0
		.amdhsa_exception_fp_ieee_div_zero 0
		.amdhsa_exception_fp_ieee_overflow 0
		.amdhsa_exception_fp_ieee_underflow 0
		.amdhsa_exception_fp_ieee_inexact 0
		.amdhsa_exception_int_div_zero 0
	.end_amdhsa_kernel
	.section	.text._ZN2at6native14lpnorm_cleanupIfLNS0_8NormTypeE3EdLb1EdEEvPKT3_NS0_19TensorListAddressesEi,"axG",@progbits,_ZN2at6native14lpnorm_cleanupIfLNS0_8NormTypeE3EdLb1EdEEvPKT3_NS0_19TensorListAddressesEi,comdat
.Lfunc_end59:
	.size	_ZN2at6native14lpnorm_cleanupIfLNS0_8NormTypeE3EdLb1EdEEvPKT3_NS0_19TensorListAddressesEi, .Lfunc_end59-_ZN2at6native14lpnorm_cleanupIfLNS0_8NormTypeE3EdLb1EdEEvPKT3_NS0_19TensorListAddressesEi
                                        ; -- End function
	.set _ZN2at6native14lpnorm_cleanupIfLNS0_8NormTypeE3EdLb1EdEEvPKT3_NS0_19TensorListAddressesEi.num_vgpr, 12
	.set _ZN2at6native14lpnorm_cleanupIfLNS0_8NormTypeE3EdLb1EdEEvPKT3_NS0_19TensorListAddressesEi.num_agpr, 0
	.set _ZN2at6native14lpnorm_cleanupIfLNS0_8NormTypeE3EdLb1EdEEvPKT3_NS0_19TensorListAddressesEi.numbered_sgpr, 13
	.set _ZN2at6native14lpnorm_cleanupIfLNS0_8NormTypeE3EdLb1EdEEvPKT3_NS0_19TensorListAddressesEi.num_named_barrier, 0
	.set _ZN2at6native14lpnorm_cleanupIfLNS0_8NormTypeE3EdLb1EdEEvPKT3_NS0_19TensorListAddressesEi.private_seg_size, 0
	.set _ZN2at6native14lpnorm_cleanupIfLNS0_8NormTypeE3EdLb1EdEEvPKT3_NS0_19TensorListAddressesEi.uses_vcc, 1
	.set _ZN2at6native14lpnorm_cleanupIfLNS0_8NormTypeE3EdLb1EdEEvPKT3_NS0_19TensorListAddressesEi.uses_flat_scratch, 0
	.set _ZN2at6native14lpnorm_cleanupIfLNS0_8NormTypeE3EdLb1EdEEvPKT3_NS0_19TensorListAddressesEi.has_dyn_sized_stack, 0
	.set _ZN2at6native14lpnorm_cleanupIfLNS0_8NormTypeE3EdLb1EdEEvPKT3_NS0_19TensorListAddressesEi.has_recursion, 0
	.set _ZN2at6native14lpnorm_cleanupIfLNS0_8NormTypeE3EdLb1EdEEvPKT3_NS0_19TensorListAddressesEi.has_indirect_call, 0
	.section	.AMDGPU.csdata,"",@progbits
; Kernel info:
; codeLenInByte = 1008
; TotalNumSgprs: 15
; NumVgprs: 12
; ScratchSize: 0
; MemoryBound: 0
; FloatMode: 240
; IeeeMode: 1
; LDSByteSize: 4096 bytes/workgroup (compile time only)
; SGPRBlocks: 0
; VGPRBlocks: 0
; NumSGPRsForWavesPerEU: 15
; NumVGPRsForWavesPerEU: 12
; NamedBarCnt: 0
; Occupancy: 16
; WaveLimiterHint : 0
; COMPUTE_PGM_RSRC2:SCRATCH_EN: 0
; COMPUTE_PGM_RSRC2:USER_SGPR: 2
; COMPUTE_PGM_RSRC2:TRAP_HANDLER: 0
; COMPUTE_PGM_RSRC2:TGID_X_EN: 1
; COMPUTE_PGM_RSRC2:TGID_Y_EN: 0
; COMPUTE_PGM_RSRC2:TGID_Z_EN: 0
; COMPUTE_PGM_RSRC2:TIDIG_COMP_CNT: 0
	.section	.text._ZN2at6native12_GLOBAL__N_125multi_tensor_apply_kernelINS1_18TensorListMetadataILi1EEENS0_13LpNormFunctorIfLNS0_8NormTypeE0EfLi1ELi1ELi0EEEJPfiEEEvT_T0_DpT1_,"axG",@progbits,_ZN2at6native12_GLOBAL__N_125multi_tensor_apply_kernelINS1_18TensorListMetadataILi1EEENS0_13LpNormFunctorIfLNS0_8NormTypeE0EfLi1ELi1ELi0EEEJPfiEEEvT_T0_DpT1_,comdat
	.globl	_ZN2at6native12_GLOBAL__N_125multi_tensor_apply_kernelINS1_18TensorListMetadataILi1EEENS0_13LpNormFunctorIfLNS0_8NormTypeE0EfLi1ELi1ELi0EEEJPfiEEEvT_T0_DpT1_ ; -- Begin function _ZN2at6native12_GLOBAL__N_125multi_tensor_apply_kernelINS1_18TensorListMetadataILi1EEENS0_13LpNormFunctorIfLNS0_8NormTypeE0EfLi1ELi1ELi0EEEJPfiEEEvT_T0_DpT1_
	.p2align	8
	.type	_ZN2at6native12_GLOBAL__N_125multi_tensor_apply_kernelINS1_18TensorListMetadataILi1EEENS0_13LpNormFunctorIfLNS0_8NormTypeE0EfLi1ELi1ELi0EEEJPfiEEEvT_T0_DpT1_,@function
_ZN2at6native12_GLOBAL__N_125multi_tensor_apply_kernelINS1_18TensorListMetadataILi1EEENS0_13LpNormFunctorIfLNS0_8NormTypeE0EfLi1ELi1ELi0EEEJPfiEEEvT_T0_DpT1_: ; @_ZN2at6native12_GLOBAL__N_125multi_tensor_apply_kernelINS1_18TensorListMetadataILi1EEENS0_13LpNormFunctorIfLNS0_8NormTypeE0EfLi1ELi1ELi0EEEJPfiEEEvT_T0_DpT1_
; %bb.0:
	s_bfe_u32 s2, ttmp6, 0x4000c
	s_and_b32 s3, ttmp6, 15
	s_add_co_i32 s2, s2, 1
	s_getreg_b32 s4, hwreg(HW_REG_IB_STS2, 6, 4)
	s_mul_i32 s2, ttmp9, s2
	s_delay_alu instid0(SALU_CYCLE_1)
	s_add_co_i32 s3, s3, s2
	s_cmp_eq_u32 s4, 0
	s_cselect_b32 s2, ttmp9, s3
	s_mov_b32 s3, 0
	v_mov_b32_e32 v1, s2
	s_add_nc_u64 s[4:5], s[0:1], s[2:3]
	s_mul_u64 s[6:7], s[2:3], 3
	s_delay_alu instid0(SALU_CYCLE_1) | instskip(SKIP_4) | instid1(SALU_CYCLE_1)
	s_add_nc_u64 s[4:5], s[4:5], s[6:7]
	global_load_u8 v13, v1, s[0:1] offset:1760
	s_load_b32 s4, s[4:5], 0x820
	s_wait_kmcnt 0x0
	s_ashr_i32 s5, s4, 31
	s_lshl_b64 s[10:11], s[4:5], 18
	s_lshl_b64 s[12:13], s[4:5], 16
	s_wait_loadcnt 0x0
	v_readfirstlane_b32 s2, v13
	s_and_b32 s2, s2, 0xff
	s_clause 0x1
	s_load_b64 s[6:7], s[0:1], s2 offset:0x0 scale_offset
	s_load_b64 s[8:9], s[0:1], s2 offset:0x370 scale_offset
	s_wait_kmcnt 0x0
	s_add_nc_u64 s[6:7], s[6:7], s[10:11]
	s_and_b32 s2, s8, 3
	s_and_b64 s[10:11], s[6:7], 15
	s_sub_nc_u64 s[8:9], s[8:9], s[12:13]
	s_or_b64 s[10:11], s[2:3], s[10:11]
	s_delay_alu instid0(SALU_CYCLE_1)
	s_cmp_eq_u64 s[10:11], 0
	s_cbranch_scc1 .LBB60_12
; %bb.1:
	v_cmp_lt_i64_e64 s2, s[8:9], 1
	s_and_b32 vcc_lo, exec_lo, s2
	s_cbranch_vccnz .LBB60_28
; %bb.2:
	s_load_b32 s2, s[0:1], 0xd4c
	v_min_i64 v[10:11], 0x10000, s[8:9]
	s_mov_b32 s11, 0
	s_mov_b64 s[12:13], 0
	s_wait_kmcnt 0x0
	s_and_b32 s2, s2, 0xffff
	s_delay_alu instid0(SALU_CYCLE_1) | instskip(SKIP_3) | instid1(VALU_DEP_3)
	v_dual_mov_b32 v7, 0 :: v_dual_add_nc_u32 v16, s2, v0
	v_mad_u32 v12, s2, 3, v0
	v_lshl_add_u32 v14, s2, 1, v0
	s_lshl_b32 s10, s2, 2
	v_dual_mov_b32 v6, v7 :: v_dual_mov_b32 v8, v7
	v_mov_b32_e32 v9, v7
	s_delay_alu instid0(VALU_DEP_2) | instskip(NEXT) | instid1(VALU_DEP_2)
	v_mov_b64_e32 v[2:3], v[6:7]
	v_mov_b64_e32 v[4:5], v[8:9]
	s_branch .LBB60_4
.LBB60_3:                               ;   in Loop: Header=BB60_4 Depth=1
	s_or_b32 exec_lo, exec_lo, s2
	s_add_nc_u64 s[12:13], s[12:13], s[10:11]
	s_delay_alu instid0(SALU_CYCLE_1)
	v_cmp_lt_i64_e32 vcc_lo, s[12:13], v[10:11]
	s_cbranch_vccz .LBB60_13
.LBB60_4:                               ; =>This Inner Loop Header: Depth=1
	v_add_nc_u32_e32 v6, s12, v0
	s_delay_alu instid0(VALU_DEP_1) | instskip(SKIP_2) | instid1(SALU_CYCLE_1)
	v_cmp_gt_i64_e32 vcc_lo, s[8:9], v[6:7]
	v_cmp_gt_u32_e64 s2, 0x10000, v6
	s_and_b32 s5, s2, vcc_lo
	s_and_saveexec_b32 s2, s5
	s_cbranch_execz .LBB60_6
; %bb.5:                                ;   in Loop: Header=BB60_4 Depth=1
	v_lshl_add_u64 v[8:9], v[6:7], 2, s[6:7]
	global_load_b32 v1, v[8:9], off
	s_wait_loadcnt 0x0
	v_cmp_neq_f32_e32 vcc_lo, 0, v1
	v_cndmask_b32_e64 v1, 0, 1.0, vcc_lo
	s_delay_alu instid0(VALU_DEP_1)
	v_add_f32_e32 v2, v2, v1
.LBB60_6:                               ;   in Loop: Header=BB60_4 Depth=1
	s_or_b32 exec_lo, exec_lo, s2
	v_add_nc_u32_e32 v6, s12, v16
	s_delay_alu instid0(VALU_DEP_1) | instskip(SKIP_2) | instid1(SALU_CYCLE_1)
	v_cmp_gt_i64_e32 vcc_lo, s[8:9], v[6:7]
	v_cmp_gt_u32_e64 s2, 0x10000, v6
	s_and_b32 s5, s2, vcc_lo
	s_and_saveexec_b32 s2, s5
	s_cbranch_execz .LBB60_8
; %bb.7:                                ;   in Loop: Header=BB60_4 Depth=1
	v_lshl_add_u64 v[8:9], v[6:7], 2, s[6:7]
	global_load_b32 v1, v[8:9], off
	s_wait_loadcnt 0x0
	v_cmp_neq_f32_e32 vcc_lo, 0, v1
	v_cndmask_b32_e64 v1, 0, 1.0, vcc_lo
	s_delay_alu instid0(VALU_DEP_1)
	v_add_f32_e32 v3, v3, v1
.LBB60_8:                               ;   in Loop: Header=BB60_4 Depth=1
	s_or_b32 exec_lo, exec_lo, s2
	v_add_nc_u32_e32 v6, s12, v14
	s_delay_alu instid0(VALU_DEP_1) | instskip(SKIP_2) | instid1(SALU_CYCLE_1)
	v_cmp_gt_i64_e32 vcc_lo, s[8:9], v[6:7]
	v_cmp_gt_u32_e64 s2, 0x10000, v6
	s_and_b32 s5, s2, vcc_lo
	s_and_saveexec_b32 s2, s5
	s_cbranch_execz .LBB60_10
; %bb.9:                                ;   in Loop: Header=BB60_4 Depth=1
	v_lshl_add_u64 v[8:9], v[6:7], 2, s[6:7]
	global_load_b32 v1, v[8:9], off
	s_wait_loadcnt 0x0
	v_cmp_neq_f32_e32 vcc_lo, 0, v1
	v_cndmask_b32_e64 v1, 0, 1.0, vcc_lo
	s_delay_alu instid0(VALU_DEP_1)
	v_add_f32_e32 v4, v4, v1
.LBB60_10:                              ;   in Loop: Header=BB60_4 Depth=1
	s_or_b32 exec_lo, exec_lo, s2
	v_add_nc_u32_e32 v6, s12, v12
	s_delay_alu instid0(VALU_DEP_1) | instskip(SKIP_2) | instid1(SALU_CYCLE_1)
	v_cmp_gt_i64_e32 vcc_lo, s[8:9], v[6:7]
	v_cmp_gt_u32_e64 s2, 0x10000, v6
	s_and_b32 s5, s2, vcc_lo
	s_and_saveexec_b32 s2, s5
	s_cbranch_execz .LBB60_3
; %bb.11:                               ;   in Loop: Header=BB60_4 Depth=1
	v_lshl_add_u64 v[8:9], v[6:7], 2, s[6:7]
	global_load_b32 v1, v[8:9], off
	s_wait_loadcnt 0x0
	v_cmp_neq_f32_e32 vcc_lo, 0, v1
	v_cndmask_b32_e64 v1, 0, 1.0, vcc_lo
	s_delay_alu instid0(VALU_DEP_1)
	v_add_f32_e32 v5, v5, v1
	s_branch .LBB60_3
.LBB60_12:
	s_mov_b32 s3, -1
                                        ; implicit-def: $vgpr2_vgpr3_vgpr4_vgpr5
.LBB60_13:
	s_delay_alu instid0(SALU_CYCLE_1)
	s_and_not1_b32 vcc_lo, exec_lo, s3
	s_cbranch_vccnz .LBB60_19
.LBB60_14:
	v_min_i64 v[6:7], 0x10000, s[8:9]
	v_dual_mov_b32 v2, 0 :: v_dual_lshlrev_b32 v4, 2, v0
	s_mov_b32 s9, 0
	s_delay_alu instid0(VALU_DEP_1) | instskip(NEXT) | instid1(VALU_DEP_1)
	v_dual_mov_b32 v5, v2 :: v_dual_mov_b32 v3, v2
	v_cmp_lt_i64_e32 vcc_lo, v[4:5], v[6:7]
	v_mov_b32_e32 v4, v2
	s_and_saveexec_b32 s3, vcc_lo
	s_cbranch_execz .LBB60_18
; %bb.15:
	s_load_b32 s2, s[0:1], 0xd4c
	v_dual_mov_b32 v5, v2 :: v_dual_lshlrev_b32 v4, 4, v0
	v_dual_mov_b32 v1, v2 :: v_dual_mov_b32 v3, v2
	s_mov_b32 s5, s9
	s_delay_alu instid0(VALU_DEP_2) | instskip(NEXT) | instid1(VALU_DEP_2)
	v_add_nc_u64_e32 v[8:9], s[6:7], v[4:5]
	v_mov_b64_e32 v[10:11], v[0:1]
	v_mov_b32_e32 v4, v2
	s_mov_b32 s7, s9
	s_delay_alu instid0(VALU_DEP_3) | instskip(SKIP_2) | instid1(SALU_CYCLE_1)
	v_add_nc_u64_e32 v[8:9], 8, v[8:9]
	s_wait_kmcnt 0x0
	s_and_b32 s8, s2, 0xffff
	s_lshl_b32 s6, s8, 4
.LBB60_16:                              ; =>This Inner Loop Header: Depth=1
	global_load_b128 v[14:17], v[8:9], off offset:-8
	v_add_nc_u64_e32 v[10:11], s[8:9], v[10:11]
	s_wait_xcnt 0x0
	v_add_nc_u64_e32 v[8:9], s[6:7], v[8:9]
	s_delay_alu instid0(VALU_DEP_2) | instskip(NEXT) | instid1(VALU_DEP_1)
	v_lshlrev_b64_e32 v[18:19], 2, v[10:11]
	v_cmp_ge_i64_e32 vcc_lo, v[18:19], v[6:7]
	s_or_b32 s5, vcc_lo, s5
	s_wait_loadcnt 0x0
	v_cmp_eq_f32_e64 s2, 0, v15
	s_delay_alu instid0(VALU_DEP_1) | instskip(SKIP_1) | instid1(VALU_DEP_1)
	v_cndmask_b32_e64 v15, 1.0, 0, s2
	v_cmp_eq_f32_e64 s2, 0, v17
	v_cndmask_b32_e64 v17, 1.0, 0, s2
	v_cmp_eq_f32_e64 s2, 0, v16
	s_delay_alu instid0(VALU_DEP_1) | instskip(SKIP_1) | instid1(VALU_DEP_2)
	v_cndmask_b32_e64 v16, 1.0, 0, s2
	v_cmp_eq_f32_e64 s2, 0, v14
	v_pk_add_f32 v[4:5], v[4:5], v[16:17]
	s_delay_alu instid0(VALU_DEP_2) | instskip(NEXT) | instid1(VALU_DEP_1)
	v_cndmask_b32_e64 v14, 1.0, 0, s2
	v_pk_add_f32 v[2:3], v[2:3], v[14:15]
	s_and_not1_b32 exec_lo, exec_lo, s5
	s_cbranch_execnz .LBB60_16
; %bb.17:
	s_or_b32 exec_lo, exec_lo, s5
.LBB60_18:
	s_delay_alu instid0(SALU_CYCLE_1)
	s_or_b32 exec_lo, exec_lo, s3
.LBB60_19:
	v_add_f32_e32 v1, 0, v2
	v_mbcnt_lo_u32_b32 v6, -1, 0
	s_mov_b32 s2, exec_lo
	s_barrier_signal -1
	s_delay_alu instid0(VALU_DEP_2) | instskip(NEXT) | instid1(VALU_DEP_2)
	v_add_f32_e32 v1, v3, v1
	v_cmp_gt_u32_e32 vcc_lo, 24, v6
	s_barrier_wait -1
	s_delay_alu instid0(VALU_DEP_2) | instskip(SKIP_1) | instid1(VALU_DEP_2)
	v_add_f32_e32 v2, v4, v1
	v_lshl_or_b32 v1, v6, 2, 64
	v_add_f32_e32 v3, v5, v2
	v_cndmask_b32_e64 v2, 0, 8, vcc_lo
	v_cmp_gt_u32_e32 vcc_lo, 28, v6
	ds_bpermute_b32 v4, v1, v3
	v_add_lshl_u32 v2, v2, v6, 2
	s_wait_dscnt 0x0
	v_add_f32_e32 v4, v3, v4
	v_cndmask_b32_e64 v3, 0, 4, vcc_lo
	v_cmp_gt_u32_e32 vcc_lo, 30, v6
	ds_bpermute_b32 v5, v2, v4
	v_add_lshl_u32 v3, v3, v6, 2
	s_wait_dscnt 0x0
	v_add_f32_e32 v5, v4, v5
	v_cndmask_b32_e64 v4, 0, 2, vcc_lo
	v_cmp_ne_u32_e32 vcc_lo, 31, v6
	ds_bpermute_b32 v7, v3, v5
	v_add_lshl_u32 v4, v4, v6, 2
	v_add_co_ci_u32_e64 v8, null, 0, v6, vcc_lo
	s_wait_dscnt 0x0
	v_add_f32_e32 v5, v5, v7
	ds_bpermute_b32 v7, v4, v5
	s_wait_dscnt 0x0
	v_dual_add_f32 v6, v5, v7 :: v_dual_lshlrev_b32 v5, 2, v8
	v_and_b32_e32 v7, 31, v0
	ds_bpermute_b32 v8, v5, v6
	v_cmpx_eq_u32_e32 0, v7
	s_cbranch_execz .LBB60_21
; %bb.20:
	v_lshrrev_b32_e32 v9, 3, v0
	s_wait_dscnt 0x0
	v_add_f32_e32 v6, v6, v8
	ds_store_b32 v9, v6
.LBB60_21:
	s_or_b32 exec_lo, exec_lo, s2
	s_wait_dscnt 0x0
	s_barrier_signal -1
	s_barrier_wait -1
	s_load_b32 s2, s[0:1], 0xd4c
	v_mov_b32_e32 v6, 0
	s_wait_kmcnt 0x0
	s_bfe_u32 s2, s2, 0xb0005
	s_delay_alu instid0(SALU_CYCLE_1)
	v_cmp_gt_u32_e32 vcc_lo, s2, v0
	s_and_saveexec_b32 s2, vcc_lo
; %bb.22:
	v_lshlrev_b32_e32 v6, 2, v7
	ds_load_b32 v6, v6
; %bb.23:
	s_or_b32 exec_lo, exec_lo, s2
	s_delay_alu instid0(SALU_CYCLE_1)
	s_mov_b32 s2, exec_lo
	v_cmpx_gt_u32_e32 32, v0
	s_cbranch_execz .LBB60_25
; %bb.24:
	s_wait_dscnt 0x0
	ds_bpermute_b32 v1, v1, v6
	s_wait_dscnt 0x0
	v_add_f32_e32 v1, v6, v1
	ds_bpermute_b32 v2, v2, v1
	s_wait_dscnt 0x0
	v_add_f32_e32 v1, v1, v2
	;; [unrolled: 3-line block ×5, first 2 shown]
.LBB60_25:
	s_or_b32 exec_lo, exec_lo, s2
	s_delay_alu instid0(SALU_CYCLE_1)
	s_mov_b32 s2, exec_lo
	v_cmpx_eq_u32_e32 0, v0
	s_cbranch_execz .LBB60_27
; %bb.26:
	s_clause 0x1
	s_load_b32 s2, s[0:1], 0xd20
	s_load_b96 s[8:10], s[0:1], 0xd30
	v_and_b32_e32 v0, 0xff, v13
	s_wait_kmcnt 0x0
	s_delay_alu instid0(VALU_DEP_1) | instskip(NEXT) | instid1(VALU_DEP_1)
	v_add_nc_u32_e32 v0, s2, v0
	v_mul_lo_u32 v0, v0, s10
	s_delay_alu instid0(VALU_DEP_1)
	v_add_nc_u32_e32 v0, s4, v0
	s_wait_dscnt 0x0
	global_store_b32 v0, v6, s[8:9] scale_offset
.LBB60_27:
	s_endpgm
.LBB60_28:
	v_mov_b32_e32 v2, 0
	s_delay_alu instid0(VALU_DEP_1)
	v_dual_mov_b32 v3, v2 :: v_dual_mov_b32 v4, v2
	v_mov_b32_e32 v5, v2
	s_and_not1_b32 vcc_lo, exec_lo, s3
	s_cbranch_vccz .LBB60_14
	s_branch .LBB60_19
	.section	.rodata,"a",@progbits
	.p2align	6, 0x0
	.amdhsa_kernel _ZN2at6native12_GLOBAL__N_125multi_tensor_apply_kernelINS1_18TensorListMetadataILi1EEENS0_13LpNormFunctorIfLNS0_8NormTypeE0EfLi1ELi1ELi0EEEJPfiEEEvT_T0_DpT1_
		.amdhsa_group_segment_fixed_size 2048
		.amdhsa_private_segment_fixed_size 0
		.amdhsa_kernarg_size 3648
		.amdhsa_user_sgpr_count 2
		.amdhsa_user_sgpr_dispatch_ptr 0
		.amdhsa_user_sgpr_queue_ptr 0
		.amdhsa_user_sgpr_kernarg_segment_ptr 1
		.amdhsa_user_sgpr_dispatch_id 0
		.amdhsa_user_sgpr_kernarg_preload_length 0
		.amdhsa_user_sgpr_kernarg_preload_offset 0
		.amdhsa_user_sgpr_private_segment_size 0
		.amdhsa_wavefront_size32 1
		.amdhsa_uses_dynamic_stack 0
		.amdhsa_enable_private_segment 0
		.amdhsa_system_sgpr_workgroup_id_x 1
		.amdhsa_system_sgpr_workgroup_id_y 0
		.amdhsa_system_sgpr_workgroup_id_z 0
		.amdhsa_system_sgpr_workgroup_info 0
		.amdhsa_system_vgpr_workitem_id 0
		.amdhsa_next_free_vgpr 20
		.amdhsa_next_free_sgpr 14
		.amdhsa_named_barrier_count 0
		.amdhsa_reserve_vcc 1
		.amdhsa_float_round_mode_32 0
		.amdhsa_float_round_mode_16_64 0
		.amdhsa_float_denorm_mode_32 3
		.amdhsa_float_denorm_mode_16_64 3
		.amdhsa_fp16_overflow 0
		.amdhsa_memory_ordered 1
		.amdhsa_forward_progress 1
		.amdhsa_inst_pref_size 12
		.amdhsa_round_robin_scheduling 0
		.amdhsa_exception_fp_ieee_invalid_op 0
		.amdhsa_exception_fp_denorm_src 0
		.amdhsa_exception_fp_ieee_div_zero 0
		.amdhsa_exception_fp_ieee_overflow 0
		.amdhsa_exception_fp_ieee_underflow 0
		.amdhsa_exception_fp_ieee_inexact 0
		.amdhsa_exception_int_div_zero 0
	.end_amdhsa_kernel
	.section	.text._ZN2at6native12_GLOBAL__N_125multi_tensor_apply_kernelINS1_18TensorListMetadataILi1EEENS0_13LpNormFunctorIfLNS0_8NormTypeE0EfLi1ELi1ELi0EEEJPfiEEEvT_T0_DpT1_,"axG",@progbits,_ZN2at6native12_GLOBAL__N_125multi_tensor_apply_kernelINS1_18TensorListMetadataILi1EEENS0_13LpNormFunctorIfLNS0_8NormTypeE0EfLi1ELi1ELi0EEEJPfiEEEvT_T0_DpT1_,comdat
.Lfunc_end60:
	.size	_ZN2at6native12_GLOBAL__N_125multi_tensor_apply_kernelINS1_18TensorListMetadataILi1EEENS0_13LpNormFunctorIfLNS0_8NormTypeE0EfLi1ELi1ELi0EEEJPfiEEEvT_T0_DpT1_, .Lfunc_end60-_ZN2at6native12_GLOBAL__N_125multi_tensor_apply_kernelINS1_18TensorListMetadataILi1EEENS0_13LpNormFunctorIfLNS0_8NormTypeE0EfLi1ELi1ELi0EEEJPfiEEEvT_T0_DpT1_
                                        ; -- End function
	.set _ZN2at6native12_GLOBAL__N_125multi_tensor_apply_kernelINS1_18TensorListMetadataILi1EEENS0_13LpNormFunctorIfLNS0_8NormTypeE0EfLi1ELi1ELi0EEEJPfiEEEvT_T0_DpT1_.num_vgpr, 20
	.set _ZN2at6native12_GLOBAL__N_125multi_tensor_apply_kernelINS1_18TensorListMetadataILi1EEENS0_13LpNormFunctorIfLNS0_8NormTypeE0EfLi1ELi1ELi0EEEJPfiEEEvT_T0_DpT1_.num_agpr, 0
	.set _ZN2at6native12_GLOBAL__N_125multi_tensor_apply_kernelINS1_18TensorListMetadataILi1EEENS0_13LpNormFunctorIfLNS0_8NormTypeE0EfLi1ELi1ELi0EEEJPfiEEEvT_T0_DpT1_.numbered_sgpr, 14
	.set _ZN2at6native12_GLOBAL__N_125multi_tensor_apply_kernelINS1_18TensorListMetadataILi1EEENS0_13LpNormFunctorIfLNS0_8NormTypeE0EfLi1ELi1ELi0EEEJPfiEEEvT_T0_DpT1_.num_named_barrier, 0
	.set _ZN2at6native12_GLOBAL__N_125multi_tensor_apply_kernelINS1_18TensorListMetadataILi1EEENS0_13LpNormFunctorIfLNS0_8NormTypeE0EfLi1ELi1ELi0EEEJPfiEEEvT_T0_DpT1_.private_seg_size, 0
	.set _ZN2at6native12_GLOBAL__N_125multi_tensor_apply_kernelINS1_18TensorListMetadataILi1EEENS0_13LpNormFunctorIfLNS0_8NormTypeE0EfLi1ELi1ELi0EEEJPfiEEEvT_T0_DpT1_.uses_vcc, 1
	.set _ZN2at6native12_GLOBAL__N_125multi_tensor_apply_kernelINS1_18TensorListMetadataILi1EEENS0_13LpNormFunctorIfLNS0_8NormTypeE0EfLi1ELi1ELi0EEEJPfiEEEvT_T0_DpT1_.uses_flat_scratch, 0
	.set _ZN2at6native12_GLOBAL__N_125multi_tensor_apply_kernelINS1_18TensorListMetadataILi1EEENS0_13LpNormFunctorIfLNS0_8NormTypeE0EfLi1ELi1ELi0EEEJPfiEEEvT_T0_DpT1_.has_dyn_sized_stack, 0
	.set _ZN2at6native12_GLOBAL__N_125multi_tensor_apply_kernelINS1_18TensorListMetadataILi1EEENS0_13LpNormFunctorIfLNS0_8NormTypeE0EfLi1ELi1ELi0EEEJPfiEEEvT_T0_DpT1_.has_recursion, 0
	.set _ZN2at6native12_GLOBAL__N_125multi_tensor_apply_kernelINS1_18TensorListMetadataILi1EEENS0_13LpNormFunctorIfLNS0_8NormTypeE0EfLi1ELi1ELi0EEEJPfiEEEvT_T0_DpT1_.has_indirect_call, 0
	.section	.AMDGPU.csdata,"",@progbits
; Kernel info:
; codeLenInByte = 1484
; TotalNumSgprs: 16
; NumVgprs: 20
; ScratchSize: 0
; MemoryBound: 0
; FloatMode: 240
; IeeeMode: 1
; LDSByteSize: 2048 bytes/workgroup (compile time only)
; SGPRBlocks: 0
; VGPRBlocks: 1
; NumSGPRsForWavesPerEU: 16
; NumVGPRsForWavesPerEU: 20
; NamedBarCnt: 0
; Occupancy: 16
; WaveLimiterHint : 0
; COMPUTE_PGM_RSRC2:SCRATCH_EN: 0
; COMPUTE_PGM_RSRC2:USER_SGPR: 2
; COMPUTE_PGM_RSRC2:TRAP_HANDLER: 0
; COMPUTE_PGM_RSRC2:TGID_X_EN: 1
; COMPUTE_PGM_RSRC2:TGID_Y_EN: 0
; COMPUTE_PGM_RSRC2:TGID_Z_EN: 0
; COMPUTE_PGM_RSRC2:TIDIG_COMP_CNT: 0
	.section	.text._ZN2at6native12_GLOBAL__N_125multi_tensor_apply_kernelINS1_18TensorListMetadataILi1EEENS0_13LpNormFunctorIfLNS0_8NormTypeE1EfLi1ELi1ELi0EEEJPfiEEEvT_T0_DpT1_,"axG",@progbits,_ZN2at6native12_GLOBAL__N_125multi_tensor_apply_kernelINS1_18TensorListMetadataILi1EEENS0_13LpNormFunctorIfLNS0_8NormTypeE1EfLi1ELi1ELi0EEEJPfiEEEvT_T0_DpT1_,comdat
	.globl	_ZN2at6native12_GLOBAL__N_125multi_tensor_apply_kernelINS1_18TensorListMetadataILi1EEENS0_13LpNormFunctorIfLNS0_8NormTypeE1EfLi1ELi1ELi0EEEJPfiEEEvT_T0_DpT1_ ; -- Begin function _ZN2at6native12_GLOBAL__N_125multi_tensor_apply_kernelINS1_18TensorListMetadataILi1EEENS0_13LpNormFunctorIfLNS0_8NormTypeE1EfLi1ELi1ELi0EEEJPfiEEEvT_T0_DpT1_
	.p2align	8
	.type	_ZN2at6native12_GLOBAL__N_125multi_tensor_apply_kernelINS1_18TensorListMetadataILi1EEENS0_13LpNormFunctorIfLNS0_8NormTypeE1EfLi1ELi1ELi0EEEJPfiEEEvT_T0_DpT1_,@function
_ZN2at6native12_GLOBAL__N_125multi_tensor_apply_kernelINS1_18TensorListMetadataILi1EEENS0_13LpNormFunctorIfLNS0_8NormTypeE1EfLi1ELi1ELi0EEEJPfiEEEvT_T0_DpT1_: ; @_ZN2at6native12_GLOBAL__N_125multi_tensor_apply_kernelINS1_18TensorListMetadataILi1EEENS0_13LpNormFunctorIfLNS0_8NormTypeE1EfLi1ELi1ELi0EEEJPfiEEEvT_T0_DpT1_
; %bb.0:
	s_bfe_u32 s2, ttmp6, 0x4000c
	s_and_b32 s3, ttmp6, 15
	s_add_co_i32 s2, s2, 1
	s_getreg_b32 s4, hwreg(HW_REG_IB_STS2, 6, 4)
	s_mul_i32 s2, ttmp9, s2
	s_delay_alu instid0(SALU_CYCLE_1)
	s_add_co_i32 s3, s3, s2
	s_cmp_eq_u32 s4, 0
	s_cselect_b32 s2, ttmp9, s3
	s_mov_b32 s3, 0
	v_mov_b32_e32 v1, s2
	s_add_nc_u64 s[4:5], s[0:1], s[2:3]
	s_mul_u64 s[6:7], s[2:3], 3
	s_delay_alu instid0(SALU_CYCLE_1) | instskip(SKIP_4) | instid1(SALU_CYCLE_1)
	s_add_nc_u64 s[4:5], s[4:5], s[6:7]
	global_load_u8 v13, v1, s[0:1] offset:1760
	s_load_b32 s4, s[4:5], 0x820
	s_wait_kmcnt 0x0
	s_ashr_i32 s5, s4, 31
	s_lshl_b64 s[10:11], s[4:5], 18
	s_lshl_b64 s[12:13], s[4:5], 16
	s_wait_loadcnt 0x0
	v_readfirstlane_b32 s2, v13
	s_and_b32 s2, s2, 0xff
	s_clause 0x1
	s_load_b64 s[6:7], s[0:1], s2 offset:0x0 scale_offset
	s_load_b64 s[8:9], s[0:1], s2 offset:0x370 scale_offset
	s_wait_kmcnt 0x0
	s_add_nc_u64 s[6:7], s[6:7], s[10:11]
	s_and_b32 s2, s8, 3
	s_and_b64 s[10:11], s[6:7], 15
	s_sub_nc_u64 s[8:9], s[8:9], s[12:13]
	s_or_b64 s[10:11], s[2:3], s[10:11]
	s_delay_alu instid0(SALU_CYCLE_1)
	s_cmp_eq_u64 s[10:11], 0
	s_cbranch_scc1 .LBB61_12
; %bb.1:
	v_cmp_lt_i64_e64 s2, s[8:9], 1
	s_and_b32 vcc_lo, exec_lo, s2
	s_cbranch_vccnz .LBB61_28
; %bb.2:
	s_load_b32 s2, s[0:1], 0xd4c
	v_min_i64 v[10:11], 0x10000, s[8:9]
	s_mov_b32 s11, 0
	s_mov_b64 s[12:13], 0
	s_wait_kmcnt 0x0
	s_and_b32 s2, s2, 0xffff
	s_delay_alu instid0(SALU_CYCLE_1) | instskip(SKIP_3) | instid1(VALU_DEP_3)
	v_dual_mov_b32 v7, 0 :: v_dual_add_nc_u32 v16, s2, v0
	v_mad_u32 v12, s2, 3, v0
	v_lshl_add_u32 v14, s2, 1, v0
	s_lshl_b32 s10, s2, 2
	v_dual_mov_b32 v6, v7 :: v_dual_mov_b32 v8, v7
	v_mov_b32_e32 v9, v7
	s_delay_alu instid0(VALU_DEP_2) | instskip(NEXT) | instid1(VALU_DEP_2)
	v_mov_b64_e32 v[2:3], v[6:7]
	v_mov_b64_e32 v[4:5], v[8:9]
	s_branch .LBB61_4
.LBB61_3:                               ;   in Loop: Header=BB61_4 Depth=1
	s_or_b32 exec_lo, exec_lo, s2
	s_add_nc_u64 s[12:13], s[12:13], s[10:11]
	s_delay_alu instid0(SALU_CYCLE_1)
	v_cmp_lt_i64_e32 vcc_lo, s[12:13], v[10:11]
	s_cbranch_vccz .LBB61_13
.LBB61_4:                               ; =>This Inner Loop Header: Depth=1
	v_add_nc_u32_e32 v6, s12, v0
	s_delay_alu instid0(VALU_DEP_1) | instskip(SKIP_2) | instid1(SALU_CYCLE_1)
	v_cmp_gt_i64_e32 vcc_lo, s[8:9], v[6:7]
	v_cmp_gt_u32_e64 s2, 0x10000, v6
	s_and_b32 s5, s2, vcc_lo
	s_and_saveexec_b32 s2, s5
	s_cbranch_execz .LBB61_6
; %bb.5:                                ;   in Loop: Header=BB61_4 Depth=1
	v_lshl_add_u64 v[8:9], v[6:7], 2, s[6:7]
	global_load_b32 v1, v[8:9], off
	s_wait_loadcnt 0x0
	v_add_f32_e64 v2, v2, |v1|
.LBB61_6:                               ;   in Loop: Header=BB61_4 Depth=1
	s_or_b32 exec_lo, exec_lo, s2
	v_add_nc_u32_e32 v6, s12, v16
	s_delay_alu instid0(VALU_DEP_1) | instskip(SKIP_2) | instid1(SALU_CYCLE_1)
	v_cmp_gt_i64_e32 vcc_lo, s[8:9], v[6:7]
	v_cmp_gt_u32_e64 s2, 0x10000, v6
	s_and_b32 s5, s2, vcc_lo
	s_and_saveexec_b32 s2, s5
	s_cbranch_execz .LBB61_8
; %bb.7:                                ;   in Loop: Header=BB61_4 Depth=1
	v_lshl_add_u64 v[8:9], v[6:7], 2, s[6:7]
	global_load_b32 v1, v[8:9], off
	s_wait_loadcnt 0x0
	v_add_f32_e64 v3, v3, |v1|
.LBB61_8:                               ;   in Loop: Header=BB61_4 Depth=1
	s_or_b32 exec_lo, exec_lo, s2
	v_add_nc_u32_e32 v6, s12, v14
	s_delay_alu instid0(VALU_DEP_1) | instskip(SKIP_2) | instid1(SALU_CYCLE_1)
	v_cmp_gt_i64_e32 vcc_lo, s[8:9], v[6:7]
	v_cmp_gt_u32_e64 s2, 0x10000, v6
	s_and_b32 s5, s2, vcc_lo
	s_and_saveexec_b32 s2, s5
	s_cbranch_execz .LBB61_10
; %bb.9:                                ;   in Loop: Header=BB61_4 Depth=1
	v_lshl_add_u64 v[8:9], v[6:7], 2, s[6:7]
	global_load_b32 v1, v[8:9], off
	s_wait_loadcnt 0x0
	v_add_f32_e64 v4, v4, |v1|
.LBB61_10:                              ;   in Loop: Header=BB61_4 Depth=1
	s_or_b32 exec_lo, exec_lo, s2
	v_add_nc_u32_e32 v6, s12, v12
	s_delay_alu instid0(VALU_DEP_1) | instskip(SKIP_2) | instid1(SALU_CYCLE_1)
	v_cmp_gt_i64_e32 vcc_lo, s[8:9], v[6:7]
	v_cmp_gt_u32_e64 s2, 0x10000, v6
	s_and_b32 s5, s2, vcc_lo
	s_and_saveexec_b32 s2, s5
	s_cbranch_execz .LBB61_3
; %bb.11:                               ;   in Loop: Header=BB61_4 Depth=1
	v_lshl_add_u64 v[8:9], v[6:7], 2, s[6:7]
	global_load_b32 v1, v[8:9], off
	s_wait_loadcnt 0x0
	v_add_f32_e64 v5, v5, |v1|
	s_branch .LBB61_3
.LBB61_12:
	s_mov_b32 s3, -1
                                        ; implicit-def: $vgpr2_vgpr3_vgpr4_vgpr5
.LBB61_13:
	s_delay_alu instid0(SALU_CYCLE_1)
	s_and_not1_b32 vcc_lo, exec_lo, s3
	s_cbranch_vccnz .LBB61_19
.LBB61_14:
	v_min_i64 v[6:7], 0x10000, s[8:9]
	v_dual_mov_b32 v2, 0 :: v_dual_lshlrev_b32 v4, 2, v0
	s_mov_b32 s3, 0
	s_delay_alu instid0(VALU_DEP_1) | instskip(NEXT) | instid1(VALU_DEP_1)
	v_dual_mov_b32 v5, v2 :: v_dual_mov_b32 v3, v2
	v_cmp_lt_i64_e32 vcc_lo, v[4:5], v[6:7]
	v_mov_b32_e32 v4, v2
	s_and_saveexec_b32 s5, vcc_lo
	s_cbranch_execz .LBB61_18
; %bb.15:
	s_load_b32 s2, s[0:1], 0xd4c
	v_dual_mov_b32 v5, v2 :: v_dual_lshlrev_b32 v4, 4, v0
	v_dual_mov_b32 v1, v2 :: v_dual_mov_b32 v3, v2
	s_mov_b32 s8, s3
	s_delay_alu instid0(VALU_DEP_2) | instskip(NEXT) | instid1(VALU_DEP_2)
	v_add_nc_u64_e32 v[8:9], s[6:7], v[4:5]
	v_mov_b64_e32 v[10:11], v[0:1]
	v_mov_b32_e32 v4, v2
	s_mov_b32 s7, s3
	s_delay_alu instid0(VALU_DEP_3) | instskip(SKIP_2) | instid1(SALU_CYCLE_1)
	v_add_nc_u64_e32 v[8:9], 8, v[8:9]
	s_wait_kmcnt 0x0
	s_and_b32 s2, s2, 0xffff
	s_lshl_b32 s6, s2, 4
.LBB61_16:                              ; =>This Inner Loop Header: Depth=1
	global_load_b128 v[14:17], v[8:9], off offset:-8
	v_add_nc_u64_e32 v[10:11], s[2:3], v[10:11]
	s_wait_xcnt 0x0
	v_add_nc_u64_e32 v[8:9], s[6:7], v[8:9]
	s_delay_alu instid0(VALU_DEP_2) | instskip(NEXT) | instid1(VALU_DEP_1)
	v_lshlrev_b64_e32 v[18:19], 2, v[10:11]
	v_cmp_ge_i64_e32 vcc_lo, v[18:19], v[6:7]
	s_or_b32 s8, vcc_lo, s8
	s_wait_loadcnt 0x0
	v_and_b32_e32 v15, 0x7fffffff, v15
	v_and_b32_e32 v17, 0x7fffffff, v17
	;; [unrolled: 1-line block ×4, first 2 shown]
	s_delay_alu instid0(VALU_DEP_2) | instskip(NEXT) | instid1(VALU_DEP_2)
	v_pk_add_f32 v[4:5], v[4:5], v[16:17]
	v_pk_add_f32 v[2:3], v[2:3], v[14:15]
	s_and_not1_b32 exec_lo, exec_lo, s8
	s_cbranch_execnz .LBB61_16
; %bb.17:
	s_or_b32 exec_lo, exec_lo, s8
.LBB61_18:
	s_delay_alu instid0(SALU_CYCLE_1)
	s_or_b32 exec_lo, exec_lo, s5
.LBB61_19:
	v_add_f32_e32 v1, 0, v2
	v_mbcnt_lo_u32_b32 v6, -1, 0
	s_mov_b32 s2, exec_lo
	s_barrier_signal -1
	s_delay_alu instid0(VALU_DEP_2) | instskip(NEXT) | instid1(VALU_DEP_2)
	v_add_f32_e32 v1, v3, v1
	v_cmp_gt_u32_e32 vcc_lo, 24, v6
	s_barrier_wait -1
	s_delay_alu instid0(VALU_DEP_2) | instskip(SKIP_1) | instid1(VALU_DEP_2)
	v_add_f32_e32 v2, v4, v1
	v_lshl_or_b32 v1, v6, 2, 64
	v_add_f32_e32 v3, v5, v2
	v_cndmask_b32_e64 v2, 0, 8, vcc_lo
	v_cmp_gt_u32_e32 vcc_lo, 28, v6
	ds_bpermute_b32 v4, v1, v3
	v_add_lshl_u32 v2, v2, v6, 2
	s_wait_dscnt 0x0
	v_add_f32_e32 v4, v3, v4
	v_cndmask_b32_e64 v3, 0, 4, vcc_lo
	v_cmp_gt_u32_e32 vcc_lo, 30, v6
	ds_bpermute_b32 v5, v2, v4
	v_add_lshl_u32 v3, v3, v6, 2
	s_wait_dscnt 0x0
	v_add_f32_e32 v5, v4, v5
	v_cndmask_b32_e64 v4, 0, 2, vcc_lo
	v_cmp_ne_u32_e32 vcc_lo, 31, v6
	ds_bpermute_b32 v7, v3, v5
	v_add_lshl_u32 v4, v4, v6, 2
	v_add_co_ci_u32_e64 v8, null, 0, v6, vcc_lo
	s_wait_dscnt 0x0
	v_add_f32_e32 v5, v5, v7
	ds_bpermute_b32 v7, v4, v5
	s_wait_dscnt 0x0
	v_dual_add_f32 v6, v5, v7 :: v_dual_lshlrev_b32 v5, 2, v8
	v_and_b32_e32 v7, 31, v0
	ds_bpermute_b32 v8, v5, v6
	v_cmpx_eq_u32_e32 0, v7
	s_cbranch_execz .LBB61_21
; %bb.20:
	v_lshrrev_b32_e32 v9, 3, v0
	s_wait_dscnt 0x0
	v_add_f32_e32 v6, v6, v8
	ds_store_b32 v9, v6
.LBB61_21:
	s_or_b32 exec_lo, exec_lo, s2
	s_wait_dscnt 0x0
	s_barrier_signal -1
	s_barrier_wait -1
	s_load_b32 s2, s[0:1], 0xd4c
	v_mov_b32_e32 v6, 0
	s_wait_kmcnt 0x0
	s_bfe_u32 s2, s2, 0xb0005
	s_delay_alu instid0(SALU_CYCLE_1)
	v_cmp_gt_u32_e32 vcc_lo, s2, v0
	s_and_saveexec_b32 s2, vcc_lo
; %bb.22:
	v_lshlrev_b32_e32 v6, 2, v7
	ds_load_b32 v6, v6
; %bb.23:
	s_or_b32 exec_lo, exec_lo, s2
	s_delay_alu instid0(SALU_CYCLE_1)
	s_mov_b32 s2, exec_lo
	v_cmpx_gt_u32_e32 32, v0
	s_cbranch_execz .LBB61_25
; %bb.24:
	s_wait_dscnt 0x0
	ds_bpermute_b32 v1, v1, v6
	s_wait_dscnt 0x0
	v_add_f32_e32 v1, v6, v1
	ds_bpermute_b32 v2, v2, v1
	s_wait_dscnt 0x0
	v_add_f32_e32 v1, v1, v2
	;; [unrolled: 3-line block ×5, first 2 shown]
.LBB61_25:
	s_or_b32 exec_lo, exec_lo, s2
	s_delay_alu instid0(SALU_CYCLE_1)
	s_mov_b32 s2, exec_lo
	v_cmpx_eq_u32_e32 0, v0
	s_cbranch_execz .LBB61_27
; %bb.26:
	s_clause 0x1
	s_load_b32 s2, s[0:1], 0xd20
	s_load_b96 s[8:10], s[0:1], 0xd30
	v_and_b32_e32 v0, 0xff, v13
	s_wait_kmcnt 0x0
	s_delay_alu instid0(VALU_DEP_1) | instskip(NEXT) | instid1(VALU_DEP_1)
	v_add_nc_u32_e32 v0, s2, v0
	v_mul_lo_u32 v0, v0, s10
	s_delay_alu instid0(VALU_DEP_1)
	v_add_nc_u32_e32 v0, s4, v0
	s_wait_dscnt 0x0
	global_store_b32 v0, v6, s[8:9] scale_offset
.LBB61_27:
	s_endpgm
.LBB61_28:
	v_mov_b32_e32 v2, 0
	s_delay_alu instid0(VALU_DEP_1)
	v_dual_mov_b32 v3, v2 :: v_dual_mov_b32 v4, v2
	v_mov_b32_e32 v5, v2
	s_and_not1_b32 vcc_lo, exec_lo, s3
	s_cbranch_vccz .LBB61_14
	s_branch .LBB61_19
	.section	.rodata,"a",@progbits
	.p2align	6, 0x0
	.amdhsa_kernel _ZN2at6native12_GLOBAL__N_125multi_tensor_apply_kernelINS1_18TensorListMetadataILi1EEENS0_13LpNormFunctorIfLNS0_8NormTypeE1EfLi1ELi1ELi0EEEJPfiEEEvT_T0_DpT1_
		.amdhsa_group_segment_fixed_size 2048
		.amdhsa_private_segment_fixed_size 0
		.amdhsa_kernarg_size 3648
		.amdhsa_user_sgpr_count 2
		.amdhsa_user_sgpr_dispatch_ptr 0
		.amdhsa_user_sgpr_queue_ptr 0
		.amdhsa_user_sgpr_kernarg_segment_ptr 1
		.amdhsa_user_sgpr_dispatch_id 0
		.amdhsa_user_sgpr_kernarg_preload_length 0
		.amdhsa_user_sgpr_kernarg_preload_offset 0
		.amdhsa_user_sgpr_private_segment_size 0
		.amdhsa_wavefront_size32 1
		.amdhsa_uses_dynamic_stack 0
		.amdhsa_enable_private_segment 0
		.amdhsa_system_sgpr_workgroup_id_x 1
		.amdhsa_system_sgpr_workgroup_id_y 0
		.amdhsa_system_sgpr_workgroup_id_z 0
		.amdhsa_system_sgpr_workgroup_info 0
		.amdhsa_system_vgpr_workitem_id 0
		.amdhsa_next_free_vgpr 20
		.amdhsa_next_free_sgpr 14
		.amdhsa_named_barrier_count 0
		.amdhsa_reserve_vcc 1
		.amdhsa_float_round_mode_32 0
		.amdhsa_float_round_mode_16_64 0
		.amdhsa_float_denorm_mode_32 3
		.amdhsa_float_denorm_mode_16_64 3
		.amdhsa_fp16_overflow 0
		.amdhsa_memory_ordered 1
		.amdhsa_forward_progress 1
		.amdhsa_inst_pref_size 11
		.amdhsa_round_robin_scheduling 0
		.amdhsa_exception_fp_ieee_invalid_op 0
		.amdhsa_exception_fp_denorm_src 0
		.amdhsa_exception_fp_ieee_div_zero 0
		.amdhsa_exception_fp_ieee_overflow 0
		.amdhsa_exception_fp_ieee_underflow 0
		.amdhsa_exception_fp_ieee_inexact 0
		.amdhsa_exception_int_div_zero 0
	.end_amdhsa_kernel
	.section	.text._ZN2at6native12_GLOBAL__N_125multi_tensor_apply_kernelINS1_18TensorListMetadataILi1EEENS0_13LpNormFunctorIfLNS0_8NormTypeE1EfLi1ELi1ELi0EEEJPfiEEEvT_T0_DpT1_,"axG",@progbits,_ZN2at6native12_GLOBAL__N_125multi_tensor_apply_kernelINS1_18TensorListMetadataILi1EEENS0_13LpNormFunctorIfLNS0_8NormTypeE1EfLi1ELi1ELi0EEEJPfiEEEvT_T0_DpT1_,comdat
.Lfunc_end61:
	.size	_ZN2at6native12_GLOBAL__N_125multi_tensor_apply_kernelINS1_18TensorListMetadataILi1EEENS0_13LpNormFunctorIfLNS0_8NormTypeE1EfLi1ELi1ELi0EEEJPfiEEEvT_T0_DpT1_, .Lfunc_end61-_ZN2at6native12_GLOBAL__N_125multi_tensor_apply_kernelINS1_18TensorListMetadataILi1EEENS0_13LpNormFunctorIfLNS0_8NormTypeE1EfLi1ELi1ELi0EEEJPfiEEEvT_T0_DpT1_
                                        ; -- End function
	.set _ZN2at6native12_GLOBAL__N_125multi_tensor_apply_kernelINS1_18TensorListMetadataILi1EEENS0_13LpNormFunctorIfLNS0_8NormTypeE1EfLi1ELi1ELi0EEEJPfiEEEvT_T0_DpT1_.num_vgpr, 20
	.set _ZN2at6native12_GLOBAL__N_125multi_tensor_apply_kernelINS1_18TensorListMetadataILi1EEENS0_13LpNormFunctorIfLNS0_8NormTypeE1EfLi1ELi1ELi0EEEJPfiEEEvT_T0_DpT1_.num_agpr, 0
	.set _ZN2at6native12_GLOBAL__N_125multi_tensor_apply_kernelINS1_18TensorListMetadataILi1EEENS0_13LpNormFunctorIfLNS0_8NormTypeE1EfLi1ELi1ELi0EEEJPfiEEEvT_T0_DpT1_.numbered_sgpr, 14
	.set _ZN2at6native12_GLOBAL__N_125multi_tensor_apply_kernelINS1_18TensorListMetadataILi1EEENS0_13LpNormFunctorIfLNS0_8NormTypeE1EfLi1ELi1ELi0EEEJPfiEEEvT_T0_DpT1_.num_named_barrier, 0
	.set _ZN2at6native12_GLOBAL__N_125multi_tensor_apply_kernelINS1_18TensorListMetadataILi1EEENS0_13LpNormFunctorIfLNS0_8NormTypeE1EfLi1ELi1ELi0EEEJPfiEEEvT_T0_DpT1_.private_seg_size, 0
	.set _ZN2at6native12_GLOBAL__N_125multi_tensor_apply_kernelINS1_18TensorListMetadataILi1EEENS0_13LpNormFunctorIfLNS0_8NormTypeE1EfLi1ELi1ELi0EEEJPfiEEEvT_T0_DpT1_.uses_vcc, 1
	.set _ZN2at6native12_GLOBAL__N_125multi_tensor_apply_kernelINS1_18TensorListMetadataILi1EEENS0_13LpNormFunctorIfLNS0_8NormTypeE1EfLi1ELi1ELi0EEEJPfiEEEvT_T0_DpT1_.uses_flat_scratch, 0
	.set _ZN2at6native12_GLOBAL__N_125multi_tensor_apply_kernelINS1_18TensorListMetadataILi1EEENS0_13LpNormFunctorIfLNS0_8NormTypeE1EfLi1ELi1ELi0EEEJPfiEEEvT_T0_DpT1_.has_dyn_sized_stack, 0
	.set _ZN2at6native12_GLOBAL__N_125multi_tensor_apply_kernelINS1_18TensorListMetadataILi1EEENS0_13LpNormFunctorIfLNS0_8NormTypeE1EfLi1ELi1ELi0EEEJPfiEEEvT_T0_DpT1_.has_recursion, 0
	.set _ZN2at6native12_GLOBAL__N_125multi_tensor_apply_kernelINS1_18TensorListMetadataILi1EEENS0_13LpNormFunctorIfLNS0_8NormTypeE1EfLi1ELi1ELi0EEEJPfiEEEvT_T0_DpT1_.has_indirect_call, 0
	.section	.AMDGPU.csdata,"",@progbits
; Kernel info:
; codeLenInByte = 1396
; TotalNumSgprs: 16
; NumVgprs: 20
; ScratchSize: 0
; MemoryBound: 0
; FloatMode: 240
; IeeeMode: 1
; LDSByteSize: 2048 bytes/workgroup (compile time only)
; SGPRBlocks: 0
; VGPRBlocks: 1
; NumSGPRsForWavesPerEU: 16
; NumVGPRsForWavesPerEU: 20
; NamedBarCnt: 0
; Occupancy: 16
; WaveLimiterHint : 0
; COMPUTE_PGM_RSRC2:SCRATCH_EN: 0
; COMPUTE_PGM_RSRC2:USER_SGPR: 2
; COMPUTE_PGM_RSRC2:TRAP_HANDLER: 0
; COMPUTE_PGM_RSRC2:TGID_X_EN: 1
; COMPUTE_PGM_RSRC2:TGID_Y_EN: 0
; COMPUTE_PGM_RSRC2:TGID_Z_EN: 0
; COMPUTE_PGM_RSRC2:TIDIG_COMP_CNT: 0
	.section	.text._ZN2at6native12_GLOBAL__N_125multi_tensor_apply_kernelINS1_18TensorListMetadataILi1EEENS0_13LpNormFunctorIfLNS0_8NormTypeE2EfLi1ELi1ELi0EEEJPfiEEEvT_T0_DpT1_,"axG",@progbits,_ZN2at6native12_GLOBAL__N_125multi_tensor_apply_kernelINS1_18TensorListMetadataILi1EEENS0_13LpNormFunctorIfLNS0_8NormTypeE2EfLi1ELi1ELi0EEEJPfiEEEvT_T0_DpT1_,comdat
	.globl	_ZN2at6native12_GLOBAL__N_125multi_tensor_apply_kernelINS1_18TensorListMetadataILi1EEENS0_13LpNormFunctorIfLNS0_8NormTypeE2EfLi1ELi1ELi0EEEJPfiEEEvT_T0_DpT1_ ; -- Begin function _ZN2at6native12_GLOBAL__N_125multi_tensor_apply_kernelINS1_18TensorListMetadataILi1EEENS0_13LpNormFunctorIfLNS0_8NormTypeE2EfLi1ELi1ELi0EEEJPfiEEEvT_T0_DpT1_
	.p2align	8
	.type	_ZN2at6native12_GLOBAL__N_125multi_tensor_apply_kernelINS1_18TensorListMetadataILi1EEENS0_13LpNormFunctorIfLNS0_8NormTypeE2EfLi1ELi1ELi0EEEJPfiEEEvT_T0_DpT1_,@function
_ZN2at6native12_GLOBAL__N_125multi_tensor_apply_kernelINS1_18TensorListMetadataILi1EEENS0_13LpNormFunctorIfLNS0_8NormTypeE2EfLi1ELi1ELi0EEEJPfiEEEvT_T0_DpT1_: ; @_ZN2at6native12_GLOBAL__N_125multi_tensor_apply_kernelINS1_18TensorListMetadataILi1EEENS0_13LpNormFunctorIfLNS0_8NormTypeE2EfLi1ELi1ELi0EEEJPfiEEEvT_T0_DpT1_
; %bb.0:
	s_bfe_u32 s2, ttmp6, 0x4000c
	s_and_b32 s3, ttmp6, 15
	s_add_co_i32 s2, s2, 1
	s_getreg_b32 s4, hwreg(HW_REG_IB_STS2, 6, 4)
	s_mul_i32 s2, ttmp9, s2
	s_delay_alu instid0(SALU_CYCLE_1)
	s_add_co_i32 s3, s3, s2
	s_cmp_eq_u32 s4, 0
	s_cselect_b32 s2, ttmp9, s3
	s_mov_b32 s3, 0
	v_mov_b32_e32 v1, s2
	s_add_nc_u64 s[4:5], s[0:1], s[2:3]
	s_mul_u64 s[6:7], s[2:3], 3
	s_delay_alu instid0(SALU_CYCLE_1) | instskip(SKIP_4) | instid1(SALU_CYCLE_1)
	s_add_nc_u64 s[4:5], s[4:5], s[6:7]
	global_load_u8 v13, v1, s[0:1] offset:1760
	s_load_b32 s4, s[4:5], 0x820
	s_wait_kmcnt 0x0
	s_ashr_i32 s5, s4, 31
	s_lshl_b64 s[10:11], s[4:5], 18
	s_lshl_b64 s[12:13], s[4:5], 16
	s_wait_loadcnt 0x0
	v_readfirstlane_b32 s2, v13
	s_and_b32 s2, s2, 0xff
	s_clause 0x1
	s_load_b64 s[6:7], s[0:1], s2 offset:0x0 scale_offset
	s_load_b64 s[8:9], s[0:1], s2 offset:0x370 scale_offset
	s_wait_kmcnt 0x0
	s_add_nc_u64 s[6:7], s[6:7], s[10:11]
	s_and_b32 s2, s8, 3
	s_and_b64 s[10:11], s[6:7], 15
	s_sub_nc_u64 s[8:9], s[8:9], s[12:13]
	s_or_b64 s[10:11], s[2:3], s[10:11]
	s_delay_alu instid0(SALU_CYCLE_1)
	s_cmp_eq_u64 s[10:11], 0
	s_cbranch_scc1 .LBB62_12
; %bb.1:
	v_cmp_lt_i64_e64 s2, s[8:9], 1
	s_and_b32 vcc_lo, exec_lo, s2
	s_cbranch_vccnz .LBB62_28
; %bb.2:
	s_load_b32 s2, s[0:1], 0xd4c
	v_min_i64 v[10:11], 0x10000, s[8:9]
	s_mov_b32 s11, 0
	s_mov_b64 s[12:13], 0
	s_wait_kmcnt 0x0
	s_and_b32 s2, s2, 0xffff
	s_delay_alu instid0(SALU_CYCLE_1) | instskip(SKIP_3) | instid1(VALU_DEP_3)
	v_dual_mov_b32 v7, 0 :: v_dual_add_nc_u32 v16, s2, v0
	v_mad_u32 v12, s2, 3, v0
	v_lshl_add_u32 v14, s2, 1, v0
	s_lshl_b32 s10, s2, 2
	v_dual_mov_b32 v6, v7 :: v_dual_mov_b32 v8, v7
	v_mov_b32_e32 v9, v7
	s_delay_alu instid0(VALU_DEP_2) | instskip(NEXT) | instid1(VALU_DEP_2)
	v_mov_b64_e32 v[2:3], v[6:7]
	v_mov_b64_e32 v[4:5], v[8:9]
	s_branch .LBB62_4
.LBB62_3:                               ;   in Loop: Header=BB62_4 Depth=1
	s_or_b32 exec_lo, exec_lo, s2
	s_add_nc_u64 s[12:13], s[12:13], s[10:11]
	s_delay_alu instid0(SALU_CYCLE_1)
	v_cmp_lt_i64_e32 vcc_lo, s[12:13], v[10:11]
	s_cbranch_vccz .LBB62_13
.LBB62_4:                               ; =>This Inner Loop Header: Depth=1
	v_add_nc_u32_e32 v6, s12, v0
	s_delay_alu instid0(VALU_DEP_1) | instskip(SKIP_2) | instid1(SALU_CYCLE_1)
	v_cmp_gt_i64_e32 vcc_lo, s[8:9], v[6:7]
	v_cmp_gt_u32_e64 s2, 0x10000, v6
	s_and_b32 s5, s2, vcc_lo
	s_and_saveexec_b32 s2, s5
	s_cbranch_execz .LBB62_6
; %bb.5:                                ;   in Loop: Header=BB62_4 Depth=1
	v_lshl_add_u64 v[8:9], v[6:7], 2, s[6:7]
	global_load_b32 v1, v[8:9], off
	s_wait_loadcnt 0x0
	v_fma_f32 v2, v1, v1, v2
.LBB62_6:                               ;   in Loop: Header=BB62_4 Depth=1
	s_or_b32 exec_lo, exec_lo, s2
	v_add_nc_u32_e32 v6, s12, v16
	s_delay_alu instid0(VALU_DEP_1) | instskip(SKIP_2) | instid1(SALU_CYCLE_1)
	v_cmp_gt_i64_e32 vcc_lo, s[8:9], v[6:7]
	v_cmp_gt_u32_e64 s2, 0x10000, v6
	s_and_b32 s5, s2, vcc_lo
	s_and_saveexec_b32 s2, s5
	s_cbranch_execz .LBB62_8
; %bb.7:                                ;   in Loop: Header=BB62_4 Depth=1
	v_lshl_add_u64 v[8:9], v[6:7], 2, s[6:7]
	global_load_b32 v1, v[8:9], off
	s_wait_loadcnt 0x0
	v_fma_f32 v3, v1, v1, v3
.LBB62_8:                               ;   in Loop: Header=BB62_4 Depth=1
	s_or_b32 exec_lo, exec_lo, s2
	v_add_nc_u32_e32 v6, s12, v14
	s_delay_alu instid0(VALU_DEP_1) | instskip(SKIP_2) | instid1(SALU_CYCLE_1)
	v_cmp_gt_i64_e32 vcc_lo, s[8:9], v[6:7]
	v_cmp_gt_u32_e64 s2, 0x10000, v6
	s_and_b32 s5, s2, vcc_lo
	s_and_saveexec_b32 s2, s5
	s_cbranch_execz .LBB62_10
; %bb.9:                                ;   in Loop: Header=BB62_4 Depth=1
	v_lshl_add_u64 v[8:9], v[6:7], 2, s[6:7]
	global_load_b32 v1, v[8:9], off
	s_wait_loadcnt 0x0
	v_fma_f32 v4, v1, v1, v4
.LBB62_10:                              ;   in Loop: Header=BB62_4 Depth=1
	s_or_b32 exec_lo, exec_lo, s2
	v_add_nc_u32_e32 v6, s12, v12
	s_delay_alu instid0(VALU_DEP_1) | instskip(SKIP_2) | instid1(SALU_CYCLE_1)
	v_cmp_gt_i64_e32 vcc_lo, s[8:9], v[6:7]
	v_cmp_gt_u32_e64 s2, 0x10000, v6
	s_and_b32 s5, s2, vcc_lo
	s_and_saveexec_b32 s2, s5
	s_cbranch_execz .LBB62_3
; %bb.11:                               ;   in Loop: Header=BB62_4 Depth=1
	v_lshl_add_u64 v[8:9], v[6:7], 2, s[6:7]
	global_load_b32 v1, v[8:9], off
	s_wait_loadcnt 0x0
	v_fma_f32 v5, v1, v1, v5
	s_branch .LBB62_3
.LBB62_12:
	s_mov_b32 s3, -1
                                        ; implicit-def: $vgpr2_vgpr3_vgpr4_vgpr5
.LBB62_13:
	s_delay_alu instid0(SALU_CYCLE_1)
	s_and_not1_b32 vcc_lo, exec_lo, s3
	s_cbranch_vccnz .LBB62_19
.LBB62_14:
	v_min_i64 v[6:7], 0x10000, s[8:9]
	v_dual_mov_b32 v2, 0 :: v_dual_lshlrev_b32 v4, 2, v0
	s_mov_b32 s3, 0
	s_delay_alu instid0(VALU_DEP_1) | instskip(NEXT) | instid1(VALU_DEP_1)
	v_dual_mov_b32 v5, v2 :: v_dual_mov_b32 v3, v2
	v_cmp_lt_i64_e32 vcc_lo, v[4:5], v[6:7]
	v_mov_b32_e32 v4, v2
	s_and_saveexec_b32 s5, vcc_lo
	s_cbranch_execz .LBB62_18
; %bb.15:
	s_load_b32 s2, s[0:1], 0xd4c
	v_dual_mov_b32 v5, v2 :: v_dual_lshlrev_b32 v4, 4, v0
	v_dual_mov_b32 v1, v2 :: v_dual_mov_b32 v3, v2
	s_mov_b32 s8, s3
	s_delay_alu instid0(VALU_DEP_2) | instskip(NEXT) | instid1(VALU_DEP_2)
	v_add_nc_u64_e32 v[8:9], s[6:7], v[4:5]
	v_mov_b64_e32 v[10:11], v[0:1]
	v_mov_b32_e32 v4, v2
	s_mov_b32 s7, s3
	s_delay_alu instid0(VALU_DEP_3) | instskip(SKIP_2) | instid1(SALU_CYCLE_1)
	v_add_nc_u64_e32 v[8:9], 8, v[8:9]
	s_wait_kmcnt 0x0
	s_and_b32 s2, s2, 0xffff
	s_lshl_b32 s6, s2, 4
.LBB62_16:                              ; =>This Inner Loop Header: Depth=1
	global_load_b128 v[14:17], v[8:9], off offset:-8
	v_add_nc_u64_e32 v[10:11], s[2:3], v[10:11]
	s_wait_xcnt 0x0
	v_add_nc_u64_e32 v[8:9], s[6:7], v[8:9]
	s_delay_alu instid0(VALU_DEP_2) | instskip(NEXT) | instid1(VALU_DEP_1)
	v_lshlrev_b64_e32 v[18:19], 2, v[10:11]
	v_cmp_ge_i64_e32 vcc_lo, v[18:19], v[6:7]
	s_or_b32 s8, vcc_lo, s8
	s_wait_loadcnt 0x0
	v_pk_fma_f32 v[4:5], v[16:17], v[16:17], v[4:5]
	v_pk_fma_f32 v[2:3], v[14:15], v[14:15], v[2:3]
	s_and_not1_b32 exec_lo, exec_lo, s8
	s_cbranch_execnz .LBB62_16
; %bb.17:
	s_or_b32 exec_lo, exec_lo, s8
.LBB62_18:
	s_delay_alu instid0(SALU_CYCLE_1)
	s_or_b32 exec_lo, exec_lo, s5
.LBB62_19:
	v_add_f32_e32 v1, 0, v2
	v_mbcnt_lo_u32_b32 v6, -1, 0
	s_mov_b32 s2, exec_lo
	s_barrier_signal -1
	s_delay_alu instid0(VALU_DEP_2) | instskip(NEXT) | instid1(VALU_DEP_2)
	v_add_f32_e32 v1, v3, v1
	v_cmp_gt_u32_e32 vcc_lo, 24, v6
	s_barrier_wait -1
	s_delay_alu instid0(VALU_DEP_2) | instskip(SKIP_1) | instid1(VALU_DEP_2)
	v_add_f32_e32 v2, v4, v1
	v_lshl_or_b32 v1, v6, 2, 64
	v_add_f32_e32 v3, v5, v2
	v_cndmask_b32_e64 v2, 0, 8, vcc_lo
	v_cmp_gt_u32_e32 vcc_lo, 28, v6
	ds_bpermute_b32 v4, v1, v3
	v_add_lshl_u32 v2, v2, v6, 2
	s_wait_dscnt 0x0
	v_add_f32_e32 v4, v3, v4
	v_cndmask_b32_e64 v3, 0, 4, vcc_lo
	v_cmp_gt_u32_e32 vcc_lo, 30, v6
	ds_bpermute_b32 v5, v2, v4
	v_add_lshl_u32 v3, v3, v6, 2
	s_wait_dscnt 0x0
	v_add_f32_e32 v5, v4, v5
	v_cndmask_b32_e64 v4, 0, 2, vcc_lo
	v_cmp_ne_u32_e32 vcc_lo, 31, v6
	ds_bpermute_b32 v7, v3, v5
	v_add_lshl_u32 v4, v4, v6, 2
	v_add_co_ci_u32_e64 v8, null, 0, v6, vcc_lo
	s_wait_dscnt 0x0
	v_add_f32_e32 v5, v5, v7
	ds_bpermute_b32 v7, v4, v5
	s_wait_dscnt 0x0
	v_dual_add_f32 v6, v5, v7 :: v_dual_lshlrev_b32 v5, 2, v8
	v_and_b32_e32 v7, 31, v0
	ds_bpermute_b32 v8, v5, v6
	v_cmpx_eq_u32_e32 0, v7
	s_cbranch_execz .LBB62_21
; %bb.20:
	v_lshrrev_b32_e32 v9, 3, v0
	s_wait_dscnt 0x0
	v_add_f32_e32 v6, v6, v8
	ds_store_b32 v9, v6
.LBB62_21:
	s_or_b32 exec_lo, exec_lo, s2
	s_wait_dscnt 0x0
	s_barrier_signal -1
	s_barrier_wait -1
	s_load_b32 s2, s[0:1], 0xd4c
	v_mov_b32_e32 v6, 0
	s_wait_kmcnt 0x0
	s_bfe_u32 s2, s2, 0xb0005
	s_delay_alu instid0(SALU_CYCLE_1)
	v_cmp_gt_u32_e32 vcc_lo, s2, v0
	s_and_saveexec_b32 s2, vcc_lo
; %bb.22:
	v_lshlrev_b32_e32 v6, 2, v7
	ds_load_b32 v6, v6
; %bb.23:
	s_or_b32 exec_lo, exec_lo, s2
	s_delay_alu instid0(SALU_CYCLE_1)
	s_mov_b32 s2, exec_lo
	v_cmpx_gt_u32_e32 32, v0
	s_cbranch_execz .LBB62_25
; %bb.24:
	s_wait_dscnt 0x0
	ds_bpermute_b32 v1, v1, v6
	s_wait_dscnt 0x0
	v_add_f32_e32 v1, v6, v1
	ds_bpermute_b32 v2, v2, v1
	s_wait_dscnt 0x0
	v_add_f32_e32 v1, v1, v2
	;; [unrolled: 3-line block ×5, first 2 shown]
.LBB62_25:
	s_or_b32 exec_lo, exec_lo, s2
	s_delay_alu instid0(SALU_CYCLE_1)
	s_mov_b32 s2, exec_lo
	v_cmpx_eq_u32_e32 0, v0
	s_cbranch_execz .LBB62_27
; %bb.26:
	s_clause 0x1
	s_load_b32 s2, s[0:1], 0xd20
	s_load_b96 s[8:10], s[0:1], 0xd30
	v_and_b32_e32 v0, 0xff, v13
	s_wait_kmcnt 0x0
	s_delay_alu instid0(VALU_DEP_1) | instskip(NEXT) | instid1(VALU_DEP_1)
	v_add_nc_u32_e32 v0, s2, v0
	v_mul_lo_u32 v0, v0, s10
	s_delay_alu instid0(VALU_DEP_1)
	v_add_nc_u32_e32 v0, s4, v0
	s_wait_dscnt 0x0
	global_store_b32 v0, v6, s[8:9] scale_offset
.LBB62_27:
	s_endpgm
.LBB62_28:
	v_mov_b32_e32 v2, 0
	s_delay_alu instid0(VALU_DEP_1)
	v_dual_mov_b32 v3, v2 :: v_dual_mov_b32 v4, v2
	v_mov_b32_e32 v5, v2
	s_and_not1_b32 vcc_lo, exec_lo, s3
	s_cbranch_vccz .LBB62_14
	s_branch .LBB62_19
	.section	.rodata,"a",@progbits
	.p2align	6, 0x0
	.amdhsa_kernel _ZN2at6native12_GLOBAL__N_125multi_tensor_apply_kernelINS1_18TensorListMetadataILi1EEENS0_13LpNormFunctorIfLNS0_8NormTypeE2EfLi1ELi1ELi0EEEJPfiEEEvT_T0_DpT1_
		.amdhsa_group_segment_fixed_size 2048
		.amdhsa_private_segment_fixed_size 0
		.amdhsa_kernarg_size 3648
		.amdhsa_user_sgpr_count 2
		.amdhsa_user_sgpr_dispatch_ptr 0
		.amdhsa_user_sgpr_queue_ptr 0
		.amdhsa_user_sgpr_kernarg_segment_ptr 1
		.amdhsa_user_sgpr_dispatch_id 0
		.amdhsa_user_sgpr_kernarg_preload_length 0
		.amdhsa_user_sgpr_kernarg_preload_offset 0
		.amdhsa_user_sgpr_private_segment_size 0
		.amdhsa_wavefront_size32 1
		.amdhsa_uses_dynamic_stack 0
		.amdhsa_enable_private_segment 0
		.amdhsa_system_sgpr_workgroup_id_x 1
		.amdhsa_system_sgpr_workgroup_id_y 0
		.amdhsa_system_sgpr_workgroup_id_z 0
		.amdhsa_system_sgpr_workgroup_info 0
		.amdhsa_system_vgpr_workitem_id 0
		.amdhsa_next_free_vgpr 20
		.amdhsa_next_free_sgpr 14
		.amdhsa_named_barrier_count 0
		.amdhsa_reserve_vcc 1
		.amdhsa_float_round_mode_32 0
		.amdhsa_float_round_mode_16_64 0
		.amdhsa_float_denorm_mode_32 3
		.amdhsa_float_denorm_mode_16_64 3
		.amdhsa_fp16_overflow 0
		.amdhsa_memory_ordered 1
		.amdhsa_forward_progress 1
		.amdhsa_inst_pref_size 11
		.amdhsa_round_robin_scheduling 0
		.amdhsa_exception_fp_ieee_invalid_op 0
		.amdhsa_exception_fp_denorm_src 0
		.amdhsa_exception_fp_ieee_div_zero 0
		.amdhsa_exception_fp_ieee_overflow 0
		.amdhsa_exception_fp_ieee_underflow 0
		.amdhsa_exception_fp_ieee_inexact 0
		.amdhsa_exception_int_div_zero 0
	.end_amdhsa_kernel
	.section	.text._ZN2at6native12_GLOBAL__N_125multi_tensor_apply_kernelINS1_18TensorListMetadataILi1EEENS0_13LpNormFunctorIfLNS0_8NormTypeE2EfLi1ELi1ELi0EEEJPfiEEEvT_T0_DpT1_,"axG",@progbits,_ZN2at6native12_GLOBAL__N_125multi_tensor_apply_kernelINS1_18TensorListMetadataILi1EEENS0_13LpNormFunctorIfLNS0_8NormTypeE2EfLi1ELi1ELi0EEEJPfiEEEvT_T0_DpT1_,comdat
.Lfunc_end62:
	.size	_ZN2at6native12_GLOBAL__N_125multi_tensor_apply_kernelINS1_18TensorListMetadataILi1EEENS0_13LpNormFunctorIfLNS0_8NormTypeE2EfLi1ELi1ELi0EEEJPfiEEEvT_T0_DpT1_, .Lfunc_end62-_ZN2at6native12_GLOBAL__N_125multi_tensor_apply_kernelINS1_18TensorListMetadataILi1EEENS0_13LpNormFunctorIfLNS0_8NormTypeE2EfLi1ELi1ELi0EEEJPfiEEEvT_T0_DpT1_
                                        ; -- End function
	.set _ZN2at6native12_GLOBAL__N_125multi_tensor_apply_kernelINS1_18TensorListMetadataILi1EEENS0_13LpNormFunctorIfLNS0_8NormTypeE2EfLi1ELi1ELi0EEEJPfiEEEvT_T0_DpT1_.num_vgpr, 20
	.set _ZN2at6native12_GLOBAL__N_125multi_tensor_apply_kernelINS1_18TensorListMetadataILi1EEENS0_13LpNormFunctorIfLNS0_8NormTypeE2EfLi1ELi1ELi0EEEJPfiEEEvT_T0_DpT1_.num_agpr, 0
	.set _ZN2at6native12_GLOBAL__N_125multi_tensor_apply_kernelINS1_18TensorListMetadataILi1EEENS0_13LpNormFunctorIfLNS0_8NormTypeE2EfLi1ELi1ELi0EEEJPfiEEEvT_T0_DpT1_.numbered_sgpr, 14
	.set _ZN2at6native12_GLOBAL__N_125multi_tensor_apply_kernelINS1_18TensorListMetadataILi1EEENS0_13LpNormFunctorIfLNS0_8NormTypeE2EfLi1ELi1ELi0EEEJPfiEEEvT_T0_DpT1_.num_named_barrier, 0
	.set _ZN2at6native12_GLOBAL__N_125multi_tensor_apply_kernelINS1_18TensorListMetadataILi1EEENS0_13LpNormFunctorIfLNS0_8NormTypeE2EfLi1ELi1ELi0EEEJPfiEEEvT_T0_DpT1_.private_seg_size, 0
	.set _ZN2at6native12_GLOBAL__N_125multi_tensor_apply_kernelINS1_18TensorListMetadataILi1EEENS0_13LpNormFunctorIfLNS0_8NormTypeE2EfLi1ELi1ELi0EEEJPfiEEEvT_T0_DpT1_.uses_vcc, 1
	.set _ZN2at6native12_GLOBAL__N_125multi_tensor_apply_kernelINS1_18TensorListMetadataILi1EEENS0_13LpNormFunctorIfLNS0_8NormTypeE2EfLi1ELi1ELi0EEEJPfiEEEvT_T0_DpT1_.uses_flat_scratch, 0
	.set _ZN2at6native12_GLOBAL__N_125multi_tensor_apply_kernelINS1_18TensorListMetadataILi1EEENS0_13LpNormFunctorIfLNS0_8NormTypeE2EfLi1ELi1ELi0EEEJPfiEEEvT_T0_DpT1_.has_dyn_sized_stack, 0
	.set _ZN2at6native12_GLOBAL__N_125multi_tensor_apply_kernelINS1_18TensorListMetadataILi1EEENS0_13LpNormFunctorIfLNS0_8NormTypeE2EfLi1ELi1ELi0EEEJPfiEEEvT_T0_DpT1_.has_recursion, 0
	.set _ZN2at6native12_GLOBAL__N_125multi_tensor_apply_kernelINS1_18TensorListMetadataILi1EEENS0_13LpNormFunctorIfLNS0_8NormTypeE2EfLi1ELi1ELi0EEEJPfiEEEvT_T0_DpT1_.has_indirect_call, 0
	.section	.AMDGPU.csdata,"",@progbits
; Kernel info:
; codeLenInByte = 1360
; TotalNumSgprs: 16
; NumVgprs: 20
; ScratchSize: 0
; MemoryBound: 0
; FloatMode: 240
; IeeeMode: 1
; LDSByteSize: 2048 bytes/workgroup (compile time only)
; SGPRBlocks: 0
; VGPRBlocks: 1
; NumSGPRsForWavesPerEU: 16
; NumVGPRsForWavesPerEU: 20
; NamedBarCnt: 0
; Occupancy: 16
; WaveLimiterHint : 0
; COMPUTE_PGM_RSRC2:SCRATCH_EN: 0
; COMPUTE_PGM_RSRC2:USER_SGPR: 2
; COMPUTE_PGM_RSRC2:TRAP_HANDLER: 0
; COMPUTE_PGM_RSRC2:TGID_X_EN: 1
; COMPUTE_PGM_RSRC2:TGID_Y_EN: 0
; COMPUTE_PGM_RSRC2:TGID_Z_EN: 0
; COMPUTE_PGM_RSRC2:TIDIG_COMP_CNT: 0
	.section	.text._ZN2at6native12_GLOBAL__N_125multi_tensor_apply_kernelINS1_18TensorListMetadataILi1EEENS0_13LpNormFunctorIfLNS0_8NormTypeE3EfLi1ELi1ELi0EEEJPfiEEEvT_T0_DpT1_,"axG",@progbits,_ZN2at6native12_GLOBAL__N_125multi_tensor_apply_kernelINS1_18TensorListMetadataILi1EEENS0_13LpNormFunctorIfLNS0_8NormTypeE3EfLi1ELi1ELi0EEEJPfiEEEvT_T0_DpT1_,comdat
	.globl	_ZN2at6native12_GLOBAL__N_125multi_tensor_apply_kernelINS1_18TensorListMetadataILi1EEENS0_13LpNormFunctorIfLNS0_8NormTypeE3EfLi1ELi1ELi0EEEJPfiEEEvT_T0_DpT1_ ; -- Begin function _ZN2at6native12_GLOBAL__N_125multi_tensor_apply_kernelINS1_18TensorListMetadataILi1EEENS0_13LpNormFunctorIfLNS0_8NormTypeE3EfLi1ELi1ELi0EEEJPfiEEEvT_T0_DpT1_
	.p2align	8
	.type	_ZN2at6native12_GLOBAL__N_125multi_tensor_apply_kernelINS1_18TensorListMetadataILi1EEENS0_13LpNormFunctorIfLNS0_8NormTypeE3EfLi1ELi1ELi0EEEJPfiEEEvT_T0_DpT1_,@function
_ZN2at6native12_GLOBAL__N_125multi_tensor_apply_kernelINS1_18TensorListMetadataILi1EEENS0_13LpNormFunctorIfLNS0_8NormTypeE3EfLi1ELi1ELi0EEEJPfiEEEvT_T0_DpT1_: ; @_ZN2at6native12_GLOBAL__N_125multi_tensor_apply_kernelINS1_18TensorListMetadataILi1EEENS0_13LpNormFunctorIfLNS0_8NormTypeE3EfLi1ELi1ELi0EEEJPfiEEEvT_T0_DpT1_
; %bb.0:
	s_bfe_u32 s2, ttmp6, 0x4000c
	s_and_b32 s3, ttmp6, 15
	s_add_co_i32 s2, s2, 1
	s_getreg_b32 s4, hwreg(HW_REG_IB_STS2, 6, 4)
	s_mul_i32 s2, ttmp9, s2
	s_delay_alu instid0(SALU_CYCLE_1)
	s_add_co_i32 s3, s3, s2
	s_cmp_eq_u32 s4, 0
	s_cselect_b32 s2, ttmp9, s3
	s_mov_b32 s3, 0
	v_mov_b32_e32 v1, s2
	s_add_nc_u64 s[4:5], s[0:1], s[2:3]
	s_mul_u64 s[6:7], s[2:3], 3
	s_delay_alu instid0(SALU_CYCLE_1) | instskip(SKIP_4) | instid1(SALU_CYCLE_1)
	s_add_nc_u64 s[4:5], s[4:5], s[6:7]
	global_load_u8 v15, v1, s[0:1] offset:1760
	s_load_b32 s6, s[4:5], 0x820
	s_wait_kmcnt 0x0
	s_ashr_i32 s7, s6, 31
	s_lshl_b64 s[10:11], s[6:7], 18
	s_lshl_b64 s[12:13], s[6:7], 16
	s_wait_loadcnt 0x0
	v_readfirstlane_b32 s2, v15
	s_and_b32 s2, s2, 0xff
	s_clause 0x1
	s_load_b64 s[4:5], s[0:1], s2 offset:0x0 scale_offset
	s_load_b64 s[8:9], s[0:1], s2 offset:0x370 scale_offset
	s_wait_kmcnt 0x0
	s_add_nc_u64 s[4:5], s[4:5], s[10:11]
	s_and_b32 s2, s8, 3
	s_and_b64 s[10:11], s[4:5], 15
	s_sub_nc_u64 s[8:9], s[8:9], s[12:13]
	s_or_b64 s[10:11], s[2:3], s[10:11]
	s_delay_alu instid0(SALU_CYCLE_1)
	s_cmp_eq_u64 s[10:11], 0
	s_cbranch_scc1 .LBB63_12
; %bb.1:
	v_cmp_lt_i64_e64 s2, s[8:9], 1
	s_and_b32 vcc_lo, exec_lo, s2
	s_cbranch_vccnz .LBB63_28
; %bb.2:
	s_load_b32 s2, s[0:1], 0xd4c
	v_min_i64 v[10:11], 0x10000, s[8:9]
	s_mov_b32 s11, 0
	s_mov_b64 s[12:13], 0
	s_wait_kmcnt 0x0
	s_and_b32 s2, s2, 0xffff
	s_delay_alu instid0(SALU_CYCLE_1) | instskip(SKIP_3) | instid1(VALU_DEP_3)
	v_dual_mov_b32 v7, 0 :: v_dual_add_nc_u32 v16, s2, v0
	v_mad_u32 v12, s2, 3, v0
	v_lshl_add_u32 v14, s2, 1, v0
	s_lshl_b32 s10, s2, 2
	v_dual_mov_b32 v6, v7 :: v_dual_mov_b32 v8, v7
	v_mov_b32_e32 v9, v7
	s_delay_alu instid0(VALU_DEP_2) | instskip(NEXT) | instid1(VALU_DEP_2)
	v_mov_b64_e32 v[2:3], v[6:7]
	v_mov_b64_e32 v[4:5], v[8:9]
	s_branch .LBB63_4
.LBB63_3:                               ;   in Loop: Header=BB63_4 Depth=1
	s_or_b32 exec_lo, exec_lo, s2
	s_add_nc_u64 s[12:13], s[12:13], s[10:11]
	s_delay_alu instid0(SALU_CYCLE_1)
	v_cmp_lt_i64_e32 vcc_lo, s[12:13], v[10:11]
	s_cbranch_vccz .LBB63_13
.LBB63_4:                               ; =>This Inner Loop Header: Depth=1
	v_add_nc_u32_e32 v6, s12, v0
	s_delay_alu instid0(VALU_DEP_1) | instskip(SKIP_2) | instid1(SALU_CYCLE_1)
	v_cmp_gt_i64_e32 vcc_lo, s[8:9], v[6:7]
	v_cmp_gt_u32_e64 s2, 0x10000, v6
	s_and_b32 s7, s2, vcc_lo
	s_and_saveexec_b32 s2, s7
	s_cbranch_execz .LBB63_6
; %bb.5:                                ;   in Loop: Header=BB63_4 Depth=1
	v_lshl_add_u64 v[8:9], v[6:7], 2, s[4:5]
	global_load_b32 v1, v[8:9], off
	s_wait_loadcnt 0x0
	v_cmp_u_f32_e32 vcc_lo, v1, v1
	v_cmp_lt_f32_e64 s7, v2, |v1|
	s_or_b32 s7, vcc_lo, s7
	s_delay_alu instid0(SALU_CYCLE_1)
	v_cndmask_b32_e64 v2, v2, |v1|, s7
.LBB63_6:                               ;   in Loop: Header=BB63_4 Depth=1
	s_or_b32 exec_lo, exec_lo, s2
	v_add_nc_u32_e32 v6, s12, v16
	s_delay_alu instid0(VALU_DEP_1) | instskip(SKIP_2) | instid1(SALU_CYCLE_1)
	v_cmp_gt_i64_e32 vcc_lo, s[8:9], v[6:7]
	v_cmp_gt_u32_e64 s2, 0x10000, v6
	s_and_b32 s7, s2, vcc_lo
	s_and_saveexec_b32 s2, s7
	s_cbranch_execz .LBB63_8
; %bb.7:                                ;   in Loop: Header=BB63_4 Depth=1
	v_lshl_add_u64 v[8:9], v[6:7], 2, s[4:5]
	global_load_b32 v1, v[8:9], off
	s_wait_loadcnt 0x0
	v_cmp_u_f32_e32 vcc_lo, v1, v1
	v_cmp_lt_f32_e64 s7, v3, |v1|
	s_or_b32 s7, vcc_lo, s7
	s_delay_alu instid0(SALU_CYCLE_1)
	v_cndmask_b32_e64 v3, v3, |v1|, s7
.LBB63_8:                               ;   in Loop: Header=BB63_4 Depth=1
	s_or_b32 exec_lo, exec_lo, s2
	v_add_nc_u32_e32 v6, s12, v14
	s_delay_alu instid0(VALU_DEP_1) | instskip(SKIP_2) | instid1(SALU_CYCLE_1)
	v_cmp_gt_i64_e32 vcc_lo, s[8:9], v[6:7]
	v_cmp_gt_u32_e64 s2, 0x10000, v6
	s_and_b32 s7, s2, vcc_lo
	s_and_saveexec_b32 s2, s7
	s_cbranch_execz .LBB63_10
; %bb.9:                                ;   in Loop: Header=BB63_4 Depth=1
	v_lshl_add_u64 v[8:9], v[6:7], 2, s[4:5]
	global_load_b32 v1, v[8:9], off
	s_wait_loadcnt 0x0
	v_cmp_u_f32_e32 vcc_lo, v1, v1
	v_cmp_lt_f32_e64 s7, v4, |v1|
	s_or_b32 s7, vcc_lo, s7
	s_delay_alu instid0(SALU_CYCLE_1)
	v_cndmask_b32_e64 v4, v4, |v1|, s7
.LBB63_10:                              ;   in Loop: Header=BB63_4 Depth=1
	s_or_b32 exec_lo, exec_lo, s2
	v_add_nc_u32_e32 v6, s12, v12
	s_delay_alu instid0(VALU_DEP_1) | instskip(SKIP_2) | instid1(SALU_CYCLE_1)
	v_cmp_gt_i64_e32 vcc_lo, s[8:9], v[6:7]
	v_cmp_gt_u32_e64 s2, 0x10000, v6
	s_and_b32 s7, s2, vcc_lo
	s_and_saveexec_b32 s2, s7
	s_cbranch_execz .LBB63_3
; %bb.11:                               ;   in Loop: Header=BB63_4 Depth=1
	v_lshl_add_u64 v[8:9], v[6:7], 2, s[4:5]
	global_load_b32 v1, v[8:9], off
	s_wait_loadcnt 0x0
	v_cmp_u_f32_e32 vcc_lo, v1, v1
	v_cmp_lt_f32_e64 s7, v5, |v1|
	s_or_b32 s7, vcc_lo, s7
	s_delay_alu instid0(SALU_CYCLE_1)
	v_cndmask_b32_e64 v5, v5, |v1|, s7
	s_branch .LBB63_3
.LBB63_12:
	s_mov_b32 s3, -1
                                        ; implicit-def: $vgpr2_vgpr3_vgpr4_vgpr5
.LBB63_13:
	s_delay_alu instid0(SALU_CYCLE_1)
	s_and_not1_b32 vcc_lo, exec_lo, s3
	s_cbranch_vccnz .LBB63_19
.LBB63_14:
	v_min_i64 v[8:9], 0x10000, s[8:9]
	v_dual_mov_b32 v3, 0 :: v_dual_lshlrev_b32 v2, 2, v0
	s_mov_b32 s9, 0
	s_delay_alu instid0(VALU_DEP_1) | instskip(NEXT) | instid1(VALU_DEP_2)
	v_dual_mov_b32 v5, v3 :: v_dual_mov_b32 v4, v3
	v_cmp_lt_i64_e32 vcc_lo, v[2:3], v[8:9]
	v_mov_b32_e32 v2, v3
	s_and_saveexec_b32 s7, vcc_lo
	s_cbranch_execz .LBB63_18
; %bb.15:
	s_load_b32 s2, s[0:1], 0xd4c
	v_dual_mov_b32 v1, v3 :: v_dual_lshlrev_b32 v2, 4, v0
	v_dual_mov_b32 v5, 0 :: v_dual_mov_b32 v6, 0
	v_mov_b32_e32 v7, 0
	s_delay_alu instid0(VALU_DEP_3) | instskip(NEXT) | instid1(VALU_DEP_4)
	v_add_nc_u64_e32 v[10:11], s[4:5], v[2:3]
	v_mov_b64_e32 v[12:13], v[0:1]
	s_mov_b32 s11, s9
	s_mov_b32 s12, s9
	s_delay_alu instid0(VALU_DEP_2) | instskip(SKIP_2) | instid1(SALU_CYCLE_1)
	v_add_nc_u64_e32 v[10:11], 8, v[10:11]
	s_wait_kmcnt 0x0
	s_and_b32 s8, s2, 0xffff
	s_lshl_b32 s10, s8, 4
.LBB63_16:                              ; =>This Inner Loop Header: Depth=1
	global_load_b128 v[16:19], v[10:11], off offset:-8
	v_add_nc_u64_e32 v[12:13], s[8:9], v[12:13]
	s_wait_xcnt 0x0
	v_add_nc_u64_e32 v[10:11], s[10:11], v[10:11]
	s_delay_alu instid0(VALU_DEP_2) | instskip(NEXT) | instid1(VALU_DEP_1)
	v_lshlrev_b64_e32 v[20:21], 2, v[12:13]
	v_cmp_ge_i64_e32 vcc_lo, v[20:21], v[8:9]
	s_wait_loadcnt 0x0
	v_cmp_u_f32_e64 s2, v19, v19
	v_cmp_lt_f32_e64 s13, v7, |v19|
	v_cmp_u_f32_e64 s3, v18, v18
	v_cmp_lt_f32_e64 s14, v6, |v18|
	;; [unrolled: 2-line block ×3, first 2 shown]
	s_or_b32 s2, s2, s13
	v_cmp_u_f32_e64 s5, v16, v16
	v_cmp_lt_f32_e64 s16, v3, |v16|
	v_cndmask_b32_e64 v7, v7, |v19|, s2
	s_or_b32 s2, s3, s14
	s_delay_alu instid0(SALU_CYCLE_1) | instskip(SKIP_1) | instid1(SALU_CYCLE_1)
	v_cndmask_b32_e64 v6, v6, |v18|, s2
	s_or_b32 s2, s4, s15
	v_cndmask_b32_e64 v5, v5, |v17|, s2
	s_or_b32 s2, s5, s16
	s_or_b32 s12, vcc_lo, s12
	v_cndmask_b32_e64 v3, v3, |v16|, s2
	s_and_not1_b32 exec_lo, exec_lo, s12
	s_cbranch_execnz .LBB63_16
; %bb.17:
	s_or_b32 exec_lo, exec_lo, s12
	s_delay_alu instid0(VALU_DEP_1) | instskip(NEXT) | instid1(VALU_DEP_1)
	v_mov_b32_e32 v4, v3
	v_mov_b64_e32 v[2:3], v[4:5]
	v_mov_b64_e32 v[4:5], v[6:7]
.LBB63_18:
	s_or_b32 exec_lo, exec_lo, s7
.LBB63_19:
	s_delay_alu instid0(VALU_DEP_1)
	v_cmp_nge_f32_e32 vcc_lo, 0, v2
	v_mbcnt_lo_u32_b32 v6, -1, 0
	s_barrier_signal -1
	s_barrier_wait -1
	v_cndmask_b32_e32 v1, 0, v2, vcc_lo
	v_cmp_u_f32_e32 vcc_lo, v3, v3
	v_cmp_ne_u32_e64 s3, 31, v6
	s_delay_alu instid0(VALU_DEP_3) | instskip(NEXT) | instid1(VALU_DEP_2)
	v_cmp_lt_f32_e64 s2, v1, v3
	v_add_co_ci_u32_e64 v8, null, 0, v6, s3
	s_mov_b32 s3, exec_lo
	s_or_b32 vcc_lo, vcc_lo, s2
	v_cndmask_b32_e32 v1, v1, v3, vcc_lo
	v_cmp_u_f32_e32 vcc_lo, v4, v4
	s_delay_alu instid0(VALU_DEP_2) | instskip(SKIP_4) | instid1(VALU_DEP_3)
	v_cmp_lt_f32_e64 s2, v1, v4
	s_or_b32 vcc_lo, vcc_lo, s2
	v_cndmask_b32_e32 v2, v1, v4, vcc_lo
	v_cmp_u_f32_e32 vcc_lo, v5, v5
	v_lshl_or_b32 v1, v6, 2, 64
	v_cmp_lt_f32_e64 s2, v2, v5
	s_or_b32 vcc_lo, vcc_lo, s2
	v_cndmask_b32_e32 v3, v2, v5, vcc_lo
	v_cmp_gt_u32_e32 vcc_lo, 24, v6
	ds_bpermute_b32 v4, v1, v3
	v_cndmask_b32_e64 v2, 0, 8, vcc_lo
	s_delay_alu instid0(VALU_DEP_1)
	v_add_lshl_u32 v2, v2, v6, 2
	s_wait_dscnt 0x0
	v_cmp_u_f32_e32 vcc_lo, v4, v4
	v_cmp_lt_f32_e64 s2, v3, v4
	s_or_b32 vcc_lo, vcc_lo, s2
	v_cndmask_b32_e32 v4, v3, v4, vcc_lo
	v_cmp_gt_u32_e32 vcc_lo, 28, v6
	ds_bpermute_b32 v5, v2, v4
	v_cndmask_b32_e64 v3, 0, 4, vcc_lo
	s_delay_alu instid0(VALU_DEP_1)
	v_add_lshl_u32 v3, v3, v6, 2
	s_wait_dscnt 0x0
	v_cmp_u_f32_e32 vcc_lo, v5, v5
	;; [unrolled: 10-line block ×3, first 2 shown]
	v_cmp_lt_f32_e64 s2, v5, v7
	s_or_b32 vcc_lo, vcc_lo, s2
	v_cndmask_b32_e32 v5, v5, v7, vcc_lo
	ds_bpermute_b32 v7, v4, v5
	s_wait_dscnt 0x0
	v_cmp_u_f32_e32 vcc_lo, v7, v7
	v_cmp_lt_f32_e64 s2, v5, v7
	s_or_b32 vcc_lo, vcc_lo, s2
	v_dual_cndmask_b32 v6, v5, v7 :: v_dual_lshlrev_b32 v5, 2, v8
	v_and_b32_e32 v7, 31, v0
	ds_bpermute_b32 v8, v5, v6
	v_cmpx_eq_u32_e32 0, v7
	s_cbranch_execz .LBB63_21
; %bb.20:
	s_wait_dscnt 0x0
	v_cmp_u_f32_e32 vcc_lo, v8, v8
	v_cmp_lt_f32_e64 s2, v6, v8
	v_lshrrev_b32_e32 v9, 3, v0
	s_or_b32 vcc_lo, vcc_lo, s2
	v_cndmask_b32_e32 v6, v6, v8, vcc_lo
	ds_store_b32 v9, v6
.LBB63_21:
	s_or_b32 exec_lo, exec_lo, s3
	s_wait_dscnt 0x0
	s_barrier_signal -1
	s_barrier_wait -1
	s_load_b32 s2, s[0:1], 0xd4c
	v_mov_b32_e32 v6, 0xff7fffff
	s_wait_kmcnt 0x0
	s_bfe_u32 s2, s2, 0xb0005
	s_delay_alu instid0(SALU_CYCLE_1)
	v_cmp_gt_u32_e32 vcc_lo, s2, v0
	s_and_saveexec_b32 s2, vcc_lo
; %bb.22:
	v_lshlrev_b32_e32 v6, 2, v7
	ds_load_b32 v6, v6
; %bb.23:
	s_or_b32 exec_lo, exec_lo, s2
	s_delay_alu instid0(SALU_CYCLE_1)
	s_mov_b32 s3, exec_lo
	v_cmpx_gt_u32_e32 32, v0
	s_cbranch_execz .LBB63_25
; %bb.24:
	s_wait_dscnt 0x0
	ds_bpermute_b32 v1, v1, v6
	s_wait_dscnt 0x0
	v_cmp_u_f32_e32 vcc_lo, v1, v1
	v_cmp_lt_f32_e64 s2, v6, v1
	s_or_b32 vcc_lo, vcc_lo, s2
	v_cndmask_b32_e32 v1, v6, v1, vcc_lo
	ds_bpermute_b32 v2, v2, v1
	s_wait_dscnt 0x0
	v_cmp_u_f32_e32 vcc_lo, v2, v2
	v_cmp_lt_f32_e64 s2, v1, v2
	s_or_b32 vcc_lo, vcc_lo, s2
	v_cndmask_b32_e32 v1, v1, v2, vcc_lo
	;; [unrolled: 6-line block ×5, first 2 shown]
.LBB63_25:
	s_or_b32 exec_lo, exec_lo, s3
	s_delay_alu instid0(SALU_CYCLE_1)
	s_mov_b32 s2, exec_lo
	v_cmpx_eq_u32_e32 0, v0
	s_cbranch_execz .LBB63_27
; %bb.26:
	s_clause 0x1
	s_load_b32 s2, s[0:1], 0xd20
	s_load_b96 s[8:10], s[0:1], 0xd30
	v_and_b32_e32 v0, 0xff, v15
	s_wait_kmcnt 0x0
	s_delay_alu instid0(VALU_DEP_1) | instskip(NEXT) | instid1(VALU_DEP_1)
	v_add_nc_u32_e32 v0, s2, v0
	v_mul_lo_u32 v0, v0, s10
	s_delay_alu instid0(VALU_DEP_1)
	v_add_nc_u32_e32 v0, s6, v0
	s_wait_dscnt 0x0
	global_store_b32 v0, v6, s[8:9] scale_offset
.LBB63_27:
	s_endpgm
.LBB63_28:
	v_mov_b32_e32 v2, 0
	s_delay_alu instid0(VALU_DEP_1)
	v_dual_mov_b32 v3, v2 :: v_dual_mov_b32 v4, v2
	v_mov_b32_e32 v5, v2
	s_and_not1_b32 vcc_lo, exec_lo, s3
	s_cbranch_vccz .LBB63_14
	s_branch .LBB63_19
	.section	.rodata,"a",@progbits
	.p2align	6, 0x0
	.amdhsa_kernel _ZN2at6native12_GLOBAL__N_125multi_tensor_apply_kernelINS1_18TensorListMetadataILi1EEENS0_13LpNormFunctorIfLNS0_8NormTypeE3EfLi1ELi1ELi0EEEJPfiEEEvT_T0_DpT1_
		.amdhsa_group_segment_fixed_size 2048
		.amdhsa_private_segment_fixed_size 0
		.amdhsa_kernarg_size 3648
		.amdhsa_user_sgpr_count 2
		.amdhsa_user_sgpr_dispatch_ptr 0
		.amdhsa_user_sgpr_queue_ptr 0
		.amdhsa_user_sgpr_kernarg_segment_ptr 1
		.amdhsa_user_sgpr_dispatch_id 0
		.amdhsa_user_sgpr_kernarg_preload_length 0
		.amdhsa_user_sgpr_kernarg_preload_offset 0
		.amdhsa_user_sgpr_private_segment_size 0
		.amdhsa_wavefront_size32 1
		.amdhsa_uses_dynamic_stack 0
		.amdhsa_enable_private_segment 0
		.amdhsa_system_sgpr_workgroup_id_x 1
		.amdhsa_system_sgpr_workgroup_id_y 0
		.amdhsa_system_sgpr_workgroup_id_z 0
		.amdhsa_system_sgpr_workgroup_info 0
		.amdhsa_system_vgpr_workitem_id 0
		.amdhsa_next_free_vgpr 22
		.amdhsa_next_free_sgpr 17
		.amdhsa_named_barrier_count 0
		.amdhsa_reserve_vcc 1
		.amdhsa_float_round_mode_32 0
		.amdhsa_float_round_mode_16_64 0
		.amdhsa_float_denorm_mode_32 3
		.amdhsa_float_denorm_mode_16_64 3
		.amdhsa_fp16_overflow 0
		.amdhsa_memory_ordered 1
		.amdhsa_forward_progress 1
		.amdhsa_inst_pref_size 14
		.amdhsa_round_robin_scheduling 0
		.amdhsa_exception_fp_ieee_invalid_op 0
		.amdhsa_exception_fp_denorm_src 0
		.amdhsa_exception_fp_ieee_div_zero 0
		.amdhsa_exception_fp_ieee_overflow 0
		.amdhsa_exception_fp_ieee_underflow 0
		.amdhsa_exception_fp_ieee_inexact 0
		.amdhsa_exception_int_div_zero 0
	.end_amdhsa_kernel
	.section	.text._ZN2at6native12_GLOBAL__N_125multi_tensor_apply_kernelINS1_18TensorListMetadataILi1EEENS0_13LpNormFunctorIfLNS0_8NormTypeE3EfLi1ELi1ELi0EEEJPfiEEEvT_T0_DpT1_,"axG",@progbits,_ZN2at6native12_GLOBAL__N_125multi_tensor_apply_kernelINS1_18TensorListMetadataILi1EEENS0_13LpNormFunctorIfLNS0_8NormTypeE3EfLi1ELi1ELi0EEEJPfiEEEvT_T0_DpT1_,comdat
.Lfunc_end63:
	.size	_ZN2at6native12_GLOBAL__N_125multi_tensor_apply_kernelINS1_18TensorListMetadataILi1EEENS0_13LpNormFunctorIfLNS0_8NormTypeE3EfLi1ELi1ELi0EEEJPfiEEEvT_T0_DpT1_, .Lfunc_end63-_ZN2at6native12_GLOBAL__N_125multi_tensor_apply_kernelINS1_18TensorListMetadataILi1EEENS0_13LpNormFunctorIfLNS0_8NormTypeE3EfLi1ELi1ELi0EEEJPfiEEEvT_T0_DpT1_
                                        ; -- End function
	.set _ZN2at6native12_GLOBAL__N_125multi_tensor_apply_kernelINS1_18TensorListMetadataILi1EEENS0_13LpNormFunctorIfLNS0_8NormTypeE3EfLi1ELi1ELi0EEEJPfiEEEvT_T0_DpT1_.num_vgpr, 22
	.set _ZN2at6native12_GLOBAL__N_125multi_tensor_apply_kernelINS1_18TensorListMetadataILi1EEENS0_13LpNormFunctorIfLNS0_8NormTypeE3EfLi1ELi1ELi0EEEJPfiEEEvT_T0_DpT1_.num_agpr, 0
	.set _ZN2at6native12_GLOBAL__N_125multi_tensor_apply_kernelINS1_18TensorListMetadataILi1EEENS0_13LpNormFunctorIfLNS0_8NormTypeE3EfLi1ELi1ELi0EEEJPfiEEEvT_T0_DpT1_.numbered_sgpr, 17
	.set _ZN2at6native12_GLOBAL__N_125multi_tensor_apply_kernelINS1_18TensorListMetadataILi1EEENS0_13LpNormFunctorIfLNS0_8NormTypeE3EfLi1ELi1ELi0EEEJPfiEEEvT_T0_DpT1_.num_named_barrier, 0
	.set _ZN2at6native12_GLOBAL__N_125multi_tensor_apply_kernelINS1_18TensorListMetadataILi1EEENS0_13LpNormFunctorIfLNS0_8NormTypeE3EfLi1ELi1ELi0EEEJPfiEEEvT_T0_DpT1_.private_seg_size, 0
	.set _ZN2at6native12_GLOBAL__N_125multi_tensor_apply_kernelINS1_18TensorListMetadataILi1EEENS0_13LpNormFunctorIfLNS0_8NormTypeE3EfLi1ELi1ELi0EEEJPfiEEEvT_T0_DpT1_.uses_vcc, 1
	.set _ZN2at6native12_GLOBAL__N_125multi_tensor_apply_kernelINS1_18TensorListMetadataILi1EEENS0_13LpNormFunctorIfLNS0_8NormTypeE3EfLi1ELi1ELi0EEEJPfiEEEvT_T0_DpT1_.uses_flat_scratch, 0
	.set _ZN2at6native12_GLOBAL__N_125multi_tensor_apply_kernelINS1_18TensorListMetadataILi1EEENS0_13LpNormFunctorIfLNS0_8NormTypeE3EfLi1ELi1ELi0EEEJPfiEEEvT_T0_DpT1_.has_dyn_sized_stack, 0
	.set _ZN2at6native12_GLOBAL__N_125multi_tensor_apply_kernelINS1_18TensorListMetadataILi1EEENS0_13LpNormFunctorIfLNS0_8NormTypeE3EfLi1ELi1ELi0EEEJPfiEEEvT_T0_DpT1_.has_recursion, 0
	.set _ZN2at6native12_GLOBAL__N_125multi_tensor_apply_kernelINS1_18TensorListMetadataILi1EEENS0_13LpNormFunctorIfLNS0_8NormTypeE3EfLi1ELi1ELi0EEEJPfiEEEvT_T0_DpT1_.has_indirect_call, 0
	.section	.AMDGPU.csdata,"",@progbits
; Kernel info:
; codeLenInByte = 1776
; TotalNumSgprs: 19
; NumVgprs: 22
; ScratchSize: 0
; MemoryBound: 0
; FloatMode: 240
; IeeeMode: 1
; LDSByteSize: 2048 bytes/workgroup (compile time only)
; SGPRBlocks: 0
; VGPRBlocks: 1
; NumSGPRsForWavesPerEU: 19
; NumVGPRsForWavesPerEU: 22
; NamedBarCnt: 0
; Occupancy: 16
; WaveLimiterHint : 0
; COMPUTE_PGM_RSRC2:SCRATCH_EN: 0
; COMPUTE_PGM_RSRC2:USER_SGPR: 2
; COMPUTE_PGM_RSRC2:TRAP_HANDLER: 0
; COMPUTE_PGM_RSRC2:TGID_X_EN: 1
; COMPUTE_PGM_RSRC2:TGID_Y_EN: 0
; COMPUTE_PGM_RSRC2:TGID_Z_EN: 0
; COMPUTE_PGM_RSRC2:TIDIG_COMP_CNT: 0
	.section	.text._ZN2at6native14lpnorm_cleanupIfLNS0_8NormTypeE0EfLb1EfEEvPKT3_NS0_19TensorListAddressesEi,"axG",@progbits,_ZN2at6native14lpnorm_cleanupIfLNS0_8NormTypeE0EfLb1EfEEvPKT3_NS0_19TensorListAddressesEi,comdat
	.protected	_ZN2at6native14lpnorm_cleanupIfLNS0_8NormTypeE0EfLb1EfEEvPKT3_NS0_19TensorListAddressesEi ; -- Begin function _ZN2at6native14lpnorm_cleanupIfLNS0_8NormTypeE0EfLb1EfEEvPKT3_NS0_19TensorListAddressesEi
	.globl	_ZN2at6native14lpnorm_cleanupIfLNS0_8NormTypeE0EfLb1EfEEvPKT3_NS0_19TensorListAddressesEi
	.p2align	8
	.type	_ZN2at6native14lpnorm_cleanupIfLNS0_8NormTypeE0EfLb1EfEEvPKT3_NS0_19TensorListAddressesEi,@function
_ZN2at6native14lpnorm_cleanupIfLNS0_8NormTypeE0EfLb1EfEEvPKT3_NS0_19TensorListAddressesEi: ; @_ZN2at6native14lpnorm_cleanupIfLNS0_8NormTypeE0EfLb1EfEEvPKT3_NS0_19TensorListAddressesEi
; %bb.0:
	s_load_b32 s2, s[0:1], 0xc88
	s_bfe_u32 s3, ttmp6, 0x4000c
	s_and_b32 s4, ttmp6, 15
	s_add_co_i32 s3, s3, 1
	s_getreg_b32 s5, hwreg(HW_REG_IB_STS2, 6, 4)
	s_mul_i32 s3, ttmp9, s3
	v_mov_b32_e32 v1, 0
	s_add_co_i32 s4, s4, s3
	s_cmp_eq_u32 s5, 0
	s_mov_b32 s5, 0
	s_cselect_b32 s8, ttmp9, s4
	s_mov_b32 s9, exec_lo
	s_wait_kmcnt 0x0
	v_cmpx_gt_u32_e64 s2, v0
	s_cbranch_execz .LBB64_4
; %bb.1:
	s_clause 0x1
	s_load_b64 s[6:7], s[0:1], 0x0
	s_load_b32 s4, s[0:1], 0xc9c
	v_dual_mov_b32 v1, 0 :: v_dual_lshlrev_b32 v2, 2, v0
	s_mul_i32 s10, s2, s8
	s_mov_b32 s11, s5
	s_ashr_i32 s3, s2, 31
	s_delay_alu instid0(VALU_DEP_1)
	v_mov_b32_e32 v3, v1
	s_lshl_b64 s[10:11], s[10:11], 2
	v_mov_b64_e32 v[4:5], v[0:1]
	s_wait_kmcnt 0x0
	s_add_nc_u64 s[6:7], s[6:7], s[10:11]
	s_and_b32 s4, s4, 0xffff
	v_add_nc_u64_e32 v[2:3], s[6:7], v[2:3]
	s_lshl_b32 s6, s4, 2
	s_mov_b32 s7, s5
	s_mov_b32 s10, s5
.LBB64_2:                               ; =>This Inner Loop Header: Depth=1
	global_load_b32 v6, v[2:3], off
	v_add_nc_u64_e32 v[4:5], s[4:5], v[4:5]
	s_wait_xcnt 0x0
	v_add_nc_u64_e32 v[2:3], s[6:7], v[2:3]
	s_delay_alu instid0(VALU_DEP_2)
	v_cmp_le_u64_e32 vcc_lo, s[2:3], v[4:5]
	s_or_b32 s10, vcc_lo, s10
	s_wait_loadcnt 0x0
	v_add_f32_e32 v1, v1, v6
	s_and_not1_b32 exec_lo, exec_lo, s10
	s_cbranch_execnz .LBB64_2
; %bb.3:
	s_or_b32 exec_lo, exec_lo, s10
.LBB64_4:
	s_delay_alu instid0(SALU_CYCLE_1) | instskip(SKIP_4) | instid1(VALU_DEP_1)
	s_or_b32 exec_lo, exec_lo, s9
	v_mbcnt_lo_u32_b32 v5, -1, 0
	s_mov_b32 s2, exec_lo
	s_barrier_signal -1
	s_barrier_wait -1
	v_lshl_or_b32 v2, v5, 2, 64
	v_cmp_gt_u32_e32 vcc_lo, 24, v5
	ds_bpermute_b32 v4, v2, v1
	v_cndmask_b32_e64 v3, 0, 8, vcc_lo
	v_cmp_gt_u32_e32 vcc_lo, 28, v5
	s_delay_alu instid0(VALU_DEP_2)
	v_add_lshl_u32 v3, v3, v5, 2
	s_wait_dscnt 0x0
	v_add_f32_e32 v4, v1, v4
	v_cndmask_b32_e64 v1, 0, 4, vcc_lo
	v_cmp_gt_u32_e32 vcc_lo, 30, v5
	ds_bpermute_b32 v6, v3, v4
	v_add_lshl_u32 v1, v1, v5, 2
	s_wait_dscnt 0x0
	v_add_f32_e32 v6, v4, v6
	v_cndmask_b32_e64 v4, 0, 2, vcc_lo
	v_cmp_ne_u32_e32 vcc_lo, 31, v5
	s_delay_alu instid0(VALU_DEP_2) | instskip(SKIP_1) | instid1(VALU_DEP_1)
	v_add_lshl_u32 v4, v4, v5, 2
	v_add_co_ci_u32_e64 v5, null, 0, v5, vcc_lo
	v_lshlrev_b32_e32 v5, 2, v5
	ds_bpermute_b32 v7, v1, v6
	s_wait_dscnt 0x0
	v_add_f32_e32 v6, v6, v7
	ds_bpermute_b32 v7, v4, v6
	s_wait_dscnt 0x0
	v_dual_add_f32 v7, v6, v7 :: v_dual_bitop2_b32 v6, 31, v0 bitop3:0x40
	ds_bpermute_b32 v8, v5, v7
	v_cmpx_eq_u32_e32 0, v6
	s_cbranch_execz .LBB64_6
; %bb.5:
	s_wait_dscnt 0x0
	v_add_f32_e32 v7, v7, v8
	v_lshrrev_b32_e32 v8, 3, v0
	ds_store_b32 v8, v7
.LBB64_6:
	s_or_b32 exec_lo, exec_lo, s2
	s_wait_dscnt 0x0
	s_barrier_signal -1
	s_barrier_wait -1
	s_load_b32 s2, s[0:1], 0xc9c
	v_mov_b32_e32 v7, 0
	s_wait_kmcnt 0x0
	s_bfe_u32 s2, s2, 0xb0005
	s_delay_alu instid0(SALU_CYCLE_1)
	v_cmp_gt_u32_e32 vcc_lo, s2, v0
	s_and_saveexec_b32 s2, vcc_lo
; %bb.7:
	v_lshlrev_b32_e32 v6, 2, v6
	ds_load_b32 v7, v6
; %bb.8:
	s_or_b32 exec_lo, exec_lo, s2
	s_delay_alu instid0(SALU_CYCLE_1)
	s_mov_b32 s2, exec_lo
	v_cmpx_gt_u32_e32 32, v0
	s_cbranch_execz .LBB64_10
; %bb.9:
	s_wait_dscnt 0x0
	ds_bpermute_b32 v2, v2, v7
	s_wait_dscnt 0x0
	v_add_f32_e32 v2, v7, v2
	ds_bpermute_b32 v3, v3, v2
	s_wait_dscnt 0x0
	v_add_f32_e32 v2, v2, v3
	;; [unrolled: 3-line block ×5, first 2 shown]
.LBB64_10:
	s_or_b32 exec_lo, exec_lo, s2
	s_delay_alu instid0(SALU_CYCLE_1)
	s_mov_b32 s2, exec_lo
	v_cmpx_eq_u32_e32 0, v0
	s_cbranch_execz .LBB64_12
; %bb.11:
	s_load_b64 s[0:1], s[0:1], s8 offset:0x8 scale_offset
	v_mov_b32_e32 v0, 0
	s_wait_dscnt 0x0
	s_wait_kmcnt 0x0
	global_store_b32 v0, v7, s[0:1]
.LBB64_12:
	s_endpgm
	.section	.rodata,"a",@progbits
	.p2align	6, 0x0
	.amdhsa_kernel _ZN2at6native14lpnorm_cleanupIfLNS0_8NormTypeE0EfLb1EfEEvPKT3_NS0_19TensorListAddressesEi
		.amdhsa_group_segment_fixed_size 2048
		.amdhsa_private_segment_fixed_size 0
		.amdhsa_kernarg_size 3472
		.amdhsa_user_sgpr_count 2
		.amdhsa_user_sgpr_dispatch_ptr 0
		.amdhsa_user_sgpr_queue_ptr 0
		.amdhsa_user_sgpr_kernarg_segment_ptr 1
		.amdhsa_user_sgpr_dispatch_id 0
		.amdhsa_user_sgpr_kernarg_preload_length 0
		.amdhsa_user_sgpr_kernarg_preload_offset 0
		.amdhsa_user_sgpr_private_segment_size 0
		.amdhsa_wavefront_size32 1
		.amdhsa_uses_dynamic_stack 0
		.amdhsa_enable_private_segment 0
		.amdhsa_system_sgpr_workgroup_id_x 1
		.amdhsa_system_sgpr_workgroup_id_y 0
		.amdhsa_system_sgpr_workgroup_id_z 0
		.amdhsa_system_sgpr_workgroup_info 0
		.amdhsa_system_vgpr_workitem_id 0
		.amdhsa_next_free_vgpr 9
		.amdhsa_next_free_sgpr 12
		.amdhsa_named_barrier_count 0
		.amdhsa_reserve_vcc 1
		.amdhsa_float_round_mode_32 0
		.amdhsa_float_round_mode_16_64 0
		.amdhsa_float_denorm_mode_32 3
		.amdhsa_float_denorm_mode_16_64 3
		.amdhsa_fp16_overflow 0
		.amdhsa_memory_ordered 1
		.amdhsa_forward_progress 1
		.amdhsa_inst_pref_size 6
		.amdhsa_round_robin_scheduling 0
		.amdhsa_exception_fp_ieee_invalid_op 0
		.amdhsa_exception_fp_denorm_src 0
		.amdhsa_exception_fp_ieee_div_zero 0
		.amdhsa_exception_fp_ieee_overflow 0
		.amdhsa_exception_fp_ieee_underflow 0
		.amdhsa_exception_fp_ieee_inexact 0
		.amdhsa_exception_int_div_zero 0
	.end_amdhsa_kernel
	.section	.text._ZN2at6native14lpnorm_cleanupIfLNS0_8NormTypeE0EfLb1EfEEvPKT3_NS0_19TensorListAddressesEi,"axG",@progbits,_ZN2at6native14lpnorm_cleanupIfLNS0_8NormTypeE0EfLb1EfEEvPKT3_NS0_19TensorListAddressesEi,comdat
.Lfunc_end64:
	.size	_ZN2at6native14lpnorm_cleanupIfLNS0_8NormTypeE0EfLb1EfEEvPKT3_NS0_19TensorListAddressesEi, .Lfunc_end64-_ZN2at6native14lpnorm_cleanupIfLNS0_8NormTypeE0EfLb1EfEEvPKT3_NS0_19TensorListAddressesEi
                                        ; -- End function
	.set _ZN2at6native14lpnorm_cleanupIfLNS0_8NormTypeE0EfLb1EfEEvPKT3_NS0_19TensorListAddressesEi.num_vgpr, 9
	.set _ZN2at6native14lpnorm_cleanupIfLNS0_8NormTypeE0EfLb1EfEEvPKT3_NS0_19TensorListAddressesEi.num_agpr, 0
	.set _ZN2at6native14lpnorm_cleanupIfLNS0_8NormTypeE0EfLb1EfEEvPKT3_NS0_19TensorListAddressesEi.numbered_sgpr, 12
	.set _ZN2at6native14lpnorm_cleanupIfLNS0_8NormTypeE0EfLb1EfEEvPKT3_NS0_19TensorListAddressesEi.num_named_barrier, 0
	.set _ZN2at6native14lpnorm_cleanupIfLNS0_8NormTypeE0EfLb1EfEEvPKT3_NS0_19TensorListAddressesEi.private_seg_size, 0
	.set _ZN2at6native14lpnorm_cleanupIfLNS0_8NormTypeE0EfLb1EfEEvPKT3_NS0_19TensorListAddressesEi.uses_vcc, 1
	.set _ZN2at6native14lpnorm_cleanupIfLNS0_8NormTypeE0EfLb1EfEEvPKT3_NS0_19TensorListAddressesEi.uses_flat_scratch, 0
	.set _ZN2at6native14lpnorm_cleanupIfLNS0_8NormTypeE0EfLb1EfEEvPKT3_NS0_19TensorListAddressesEi.has_dyn_sized_stack, 0
	.set _ZN2at6native14lpnorm_cleanupIfLNS0_8NormTypeE0EfLb1EfEEvPKT3_NS0_19TensorListAddressesEi.has_recursion, 0
	.set _ZN2at6native14lpnorm_cleanupIfLNS0_8NormTypeE0EfLb1EfEEvPKT3_NS0_19TensorListAddressesEi.has_indirect_call, 0
	.section	.AMDGPU.csdata,"",@progbits
; Kernel info:
; codeLenInByte = 668
; TotalNumSgprs: 14
; NumVgprs: 9
; ScratchSize: 0
; MemoryBound: 0
; FloatMode: 240
; IeeeMode: 1
; LDSByteSize: 2048 bytes/workgroup (compile time only)
; SGPRBlocks: 0
; VGPRBlocks: 0
; NumSGPRsForWavesPerEU: 14
; NumVGPRsForWavesPerEU: 9
; NamedBarCnt: 0
; Occupancy: 16
; WaveLimiterHint : 0
; COMPUTE_PGM_RSRC2:SCRATCH_EN: 0
; COMPUTE_PGM_RSRC2:USER_SGPR: 2
; COMPUTE_PGM_RSRC2:TRAP_HANDLER: 0
; COMPUTE_PGM_RSRC2:TGID_X_EN: 1
; COMPUTE_PGM_RSRC2:TGID_Y_EN: 0
; COMPUTE_PGM_RSRC2:TGID_Z_EN: 0
; COMPUTE_PGM_RSRC2:TIDIG_COMP_CNT: 0
	.section	.text._ZN2at6native14lpnorm_cleanupIfLNS0_8NormTypeE1EfLb1EfEEvPKT3_NS0_19TensorListAddressesEi,"axG",@progbits,_ZN2at6native14lpnorm_cleanupIfLNS0_8NormTypeE1EfLb1EfEEvPKT3_NS0_19TensorListAddressesEi,comdat
	.protected	_ZN2at6native14lpnorm_cleanupIfLNS0_8NormTypeE1EfLb1EfEEvPKT3_NS0_19TensorListAddressesEi ; -- Begin function _ZN2at6native14lpnorm_cleanupIfLNS0_8NormTypeE1EfLb1EfEEvPKT3_NS0_19TensorListAddressesEi
	.globl	_ZN2at6native14lpnorm_cleanupIfLNS0_8NormTypeE1EfLb1EfEEvPKT3_NS0_19TensorListAddressesEi
	.p2align	8
	.type	_ZN2at6native14lpnorm_cleanupIfLNS0_8NormTypeE1EfLb1EfEEvPKT3_NS0_19TensorListAddressesEi,@function
_ZN2at6native14lpnorm_cleanupIfLNS0_8NormTypeE1EfLb1EfEEvPKT3_NS0_19TensorListAddressesEi: ; @_ZN2at6native14lpnorm_cleanupIfLNS0_8NormTypeE1EfLb1EfEEvPKT3_NS0_19TensorListAddressesEi
; %bb.0:
	s_load_b32 s2, s[0:1], 0xc88
	s_bfe_u32 s3, ttmp6, 0x4000c
	s_and_b32 s4, ttmp6, 15
	s_add_co_i32 s3, s3, 1
	s_getreg_b32 s5, hwreg(HW_REG_IB_STS2, 6, 4)
	s_mul_i32 s3, ttmp9, s3
	v_mov_b32_e32 v1, 0
	s_add_co_i32 s4, s4, s3
	s_cmp_eq_u32 s5, 0
	s_mov_b32 s5, 0
	s_cselect_b32 s8, ttmp9, s4
	s_mov_b32 s9, exec_lo
	s_wait_kmcnt 0x0
	v_cmpx_gt_u32_e64 s2, v0
	s_cbranch_execz .LBB65_4
; %bb.1:
	s_clause 0x1
	s_load_b64 s[6:7], s[0:1], 0x0
	s_load_b32 s4, s[0:1], 0xc9c
	v_dual_mov_b32 v1, 0 :: v_dual_lshlrev_b32 v2, 2, v0
	s_mul_i32 s10, s2, s8
	s_mov_b32 s11, s5
	s_ashr_i32 s3, s2, 31
	s_delay_alu instid0(VALU_DEP_1)
	v_mov_b32_e32 v3, v1
	s_lshl_b64 s[10:11], s[10:11], 2
	v_mov_b64_e32 v[4:5], v[0:1]
	s_wait_kmcnt 0x0
	s_add_nc_u64 s[6:7], s[6:7], s[10:11]
	s_and_b32 s4, s4, 0xffff
	v_add_nc_u64_e32 v[2:3], s[6:7], v[2:3]
	s_lshl_b32 s6, s4, 2
	s_mov_b32 s7, s5
	s_mov_b32 s10, s5
.LBB65_2:                               ; =>This Inner Loop Header: Depth=1
	global_load_b32 v6, v[2:3], off
	v_add_nc_u64_e32 v[4:5], s[4:5], v[4:5]
	s_wait_xcnt 0x0
	v_add_nc_u64_e32 v[2:3], s[6:7], v[2:3]
	s_delay_alu instid0(VALU_DEP_2)
	v_cmp_le_u64_e32 vcc_lo, s[2:3], v[4:5]
	s_or_b32 s10, vcc_lo, s10
	s_wait_loadcnt 0x0
	v_add_f32_e32 v1, v1, v6
	s_and_not1_b32 exec_lo, exec_lo, s10
	s_cbranch_execnz .LBB65_2
; %bb.3:
	s_or_b32 exec_lo, exec_lo, s10
.LBB65_4:
	s_delay_alu instid0(SALU_CYCLE_1) | instskip(SKIP_4) | instid1(VALU_DEP_1)
	s_or_b32 exec_lo, exec_lo, s9
	v_mbcnt_lo_u32_b32 v5, -1, 0
	s_mov_b32 s2, exec_lo
	s_barrier_signal -1
	s_barrier_wait -1
	v_lshl_or_b32 v2, v5, 2, 64
	v_cmp_gt_u32_e32 vcc_lo, 24, v5
	ds_bpermute_b32 v4, v2, v1
	v_cndmask_b32_e64 v3, 0, 8, vcc_lo
	v_cmp_gt_u32_e32 vcc_lo, 28, v5
	s_delay_alu instid0(VALU_DEP_2)
	v_add_lshl_u32 v3, v3, v5, 2
	s_wait_dscnt 0x0
	v_add_f32_e32 v4, v1, v4
	v_cndmask_b32_e64 v1, 0, 4, vcc_lo
	v_cmp_gt_u32_e32 vcc_lo, 30, v5
	ds_bpermute_b32 v6, v3, v4
	v_add_lshl_u32 v1, v1, v5, 2
	s_wait_dscnt 0x0
	v_add_f32_e32 v6, v4, v6
	v_cndmask_b32_e64 v4, 0, 2, vcc_lo
	v_cmp_ne_u32_e32 vcc_lo, 31, v5
	s_delay_alu instid0(VALU_DEP_2) | instskip(SKIP_1) | instid1(VALU_DEP_1)
	v_add_lshl_u32 v4, v4, v5, 2
	v_add_co_ci_u32_e64 v5, null, 0, v5, vcc_lo
	v_lshlrev_b32_e32 v5, 2, v5
	ds_bpermute_b32 v7, v1, v6
	s_wait_dscnt 0x0
	v_add_f32_e32 v6, v6, v7
	ds_bpermute_b32 v7, v4, v6
	s_wait_dscnt 0x0
	v_dual_add_f32 v7, v6, v7 :: v_dual_bitop2_b32 v6, 31, v0 bitop3:0x40
	ds_bpermute_b32 v8, v5, v7
	v_cmpx_eq_u32_e32 0, v6
	s_cbranch_execz .LBB65_6
; %bb.5:
	s_wait_dscnt 0x0
	v_add_f32_e32 v7, v7, v8
	v_lshrrev_b32_e32 v8, 3, v0
	ds_store_b32 v8, v7
.LBB65_6:
	s_or_b32 exec_lo, exec_lo, s2
	s_wait_dscnt 0x0
	s_barrier_signal -1
	s_barrier_wait -1
	s_load_b32 s2, s[0:1], 0xc9c
	v_mov_b32_e32 v7, 0
	s_wait_kmcnt 0x0
	s_bfe_u32 s2, s2, 0xb0005
	s_delay_alu instid0(SALU_CYCLE_1)
	v_cmp_gt_u32_e32 vcc_lo, s2, v0
	s_and_saveexec_b32 s2, vcc_lo
; %bb.7:
	v_lshlrev_b32_e32 v6, 2, v6
	ds_load_b32 v7, v6
; %bb.8:
	s_or_b32 exec_lo, exec_lo, s2
	s_delay_alu instid0(SALU_CYCLE_1)
	s_mov_b32 s2, exec_lo
	v_cmpx_gt_u32_e32 32, v0
	s_cbranch_execz .LBB65_10
; %bb.9:
	s_wait_dscnt 0x0
	ds_bpermute_b32 v2, v2, v7
	s_wait_dscnt 0x0
	v_add_f32_e32 v2, v7, v2
	ds_bpermute_b32 v3, v3, v2
	s_wait_dscnt 0x0
	v_add_f32_e32 v2, v2, v3
	;; [unrolled: 3-line block ×5, first 2 shown]
.LBB65_10:
	s_or_b32 exec_lo, exec_lo, s2
	s_delay_alu instid0(SALU_CYCLE_1)
	s_mov_b32 s2, exec_lo
	v_cmpx_eq_u32_e32 0, v0
	s_cbranch_execz .LBB65_12
; %bb.11:
	s_load_b64 s[0:1], s[0:1], s8 offset:0x8 scale_offset
	v_mov_b32_e32 v0, 0
	s_wait_dscnt 0x0
	s_wait_kmcnt 0x0
	global_store_b32 v0, v7, s[0:1]
.LBB65_12:
	s_endpgm
	.section	.rodata,"a",@progbits
	.p2align	6, 0x0
	.amdhsa_kernel _ZN2at6native14lpnorm_cleanupIfLNS0_8NormTypeE1EfLb1EfEEvPKT3_NS0_19TensorListAddressesEi
		.amdhsa_group_segment_fixed_size 2048
		.amdhsa_private_segment_fixed_size 0
		.amdhsa_kernarg_size 3472
		.amdhsa_user_sgpr_count 2
		.amdhsa_user_sgpr_dispatch_ptr 0
		.amdhsa_user_sgpr_queue_ptr 0
		.amdhsa_user_sgpr_kernarg_segment_ptr 1
		.amdhsa_user_sgpr_dispatch_id 0
		.amdhsa_user_sgpr_kernarg_preload_length 0
		.amdhsa_user_sgpr_kernarg_preload_offset 0
		.amdhsa_user_sgpr_private_segment_size 0
		.amdhsa_wavefront_size32 1
		.amdhsa_uses_dynamic_stack 0
		.amdhsa_enable_private_segment 0
		.amdhsa_system_sgpr_workgroup_id_x 1
		.amdhsa_system_sgpr_workgroup_id_y 0
		.amdhsa_system_sgpr_workgroup_id_z 0
		.amdhsa_system_sgpr_workgroup_info 0
		.amdhsa_system_vgpr_workitem_id 0
		.amdhsa_next_free_vgpr 9
		.amdhsa_next_free_sgpr 12
		.amdhsa_named_barrier_count 0
		.amdhsa_reserve_vcc 1
		.amdhsa_float_round_mode_32 0
		.amdhsa_float_round_mode_16_64 0
		.amdhsa_float_denorm_mode_32 3
		.amdhsa_float_denorm_mode_16_64 3
		.amdhsa_fp16_overflow 0
		.amdhsa_memory_ordered 1
		.amdhsa_forward_progress 1
		.amdhsa_inst_pref_size 6
		.amdhsa_round_robin_scheduling 0
		.amdhsa_exception_fp_ieee_invalid_op 0
		.amdhsa_exception_fp_denorm_src 0
		.amdhsa_exception_fp_ieee_div_zero 0
		.amdhsa_exception_fp_ieee_overflow 0
		.amdhsa_exception_fp_ieee_underflow 0
		.amdhsa_exception_fp_ieee_inexact 0
		.amdhsa_exception_int_div_zero 0
	.end_amdhsa_kernel
	.section	.text._ZN2at6native14lpnorm_cleanupIfLNS0_8NormTypeE1EfLb1EfEEvPKT3_NS0_19TensorListAddressesEi,"axG",@progbits,_ZN2at6native14lpnorm_cleanupIfLNS0_8NormTypeE1EfLb1EfEEvPKT3_NS0_19TensorListAddressesEi,comdat
.Lfunc_end65:
	.size	_ZN2at6native14lpnorm_cleanupIfLNS0_8NormTypeE1EfLb1EfEEvPKT3_NS0_19TensorListAddressesEi, .Lfunc_end65-_ZN2at6native14lpnorm_cleanupIfLNS0_8NormTypeE1EfLb1EfEEvPKT3_NS0_19TensorListAddressesEi
                                        ; -- End function
	.set _ZN2at6native14lpnorm_cleanupIfLNS0_8NormTypeE1EfLb1EfEEvPKT3_NS0_19TensorListAddressesEi.num_vgpr, 9
	.set _ZN2at6native14lpnorm_cleanupIfLNS0_8NormTypeE1EfLb1EfEEvPKT3_NS0_19TensorListAddressesEi.num_agpr, 0
	.set _ZN2at6native14lpnorm_cleanupIfLNS0_8NormTypeE1EfLb1EfEEvPKT3_NS0_19TensorListAddressesEi.numbered_sgpr, 12
	.set _ZN2at6native14lpnorm_cleanupIfLNS0_8NormTypeE1EfLb1EfEEvPKT3_NS0_19TensorListAddressesEi.num_named_barrier, 0
	.set _ZN2at6native14lpnorm_cleanupIfLNS0_8NormTypeE1EfLb1EfEEvPKT3_NS0_19TensorListAddressesEi.private_seg_size, 0
	.set _ZN2at6native14lpnorm_cleanupIfLNS0_8NormTypeE1EfLb1EfEEvPKT3_NS0_19TensorListAddressesEi.uses_vcc, 1
	.set _ZN2at6native14lpnorm_cleanupIfLNS0_8NormTypeE1EfLb1EfEEvPKT3_NS0_19TensorListAddressesEi.uses_flat_scratch, 0
	.set _ZN2at6native14lpnorm_cleanupIfLNS0_8NormTypeE1EfLb1EfEEvPKT3_NS0_19TensorListAddressesEi.has_dyn_sized_stack, 0
	.set _ZN2at6native14lpnorm_cleanupIfLNS0_8NormTypeE1EfLb1EfEEvPKT3_NS0_19TensorListAddressesEi.has_recursion, 0
	.set _ZN2at6native14lpnorm_cleanupIfLNS0_8NormTypeE1EfLb1EfEEvPKT3_NS0_19TensorListAddressesEi.has_indirect_call, 0
	.section	.AMDGPU.csdata,"",@progbits
; Kernel info:
; codeLenInByte = 668
; TotalNumSgprs: 14
; NumVgprs: 9
; ScratchSize: 0
; MemoryBound: 0
; FloatMode: 240
; IeeeMode: 1
; LDSByteSize: 2048 bytes/workgroup (compile time only)
; SGPRBlocks: 0
; VGPRBlocks: 0
; NumSGPRsForWavesPerEU: 14
; NumVGPRsForWavesPerEU: 9
; NamedBarCnt: 0
; Occupancy: 16
; WaveLimiterHint : 0
; COMPUTE_PGM_RSRC2:SCRATCH_EN: 0
; COMPUTE_PGM_RSRC2:USER_SGPR: 2
; COMPUTE_PGM_RSRC2:TRAP_HANDLER: 0
; COMPUTE_PGM_RSRC2:TGID_X_EN: 1
; COMPUTE_PGM_RSRC2:TGID_Y_EN: 0
; COMPUTE_PGM_RSRC2:TGID_Z_EN: 0
; COMPUTE_PGM_RSRC2:TIDIG_COMP_CNT: 0
	.section	.text._ZN2at6native14lpnorm_cleanupIfLNS0_8NormTypeE2EfLb1EfEEvPKT3_NS0_19TensorListAddressesEi,"axG",@progbits,_ZN2at6native14lpnorm_cleanupIfLNS0_8NormTypeE2EfLb1EfEEvPKT3_NS0_19TensorListAddressesEi,comdat
	.protected	_ZN2at6native14lpnorm_cleanupIfLNS0_8NormTypeE2EfLb1EfEEvPKT3_NS0_19TensorListAddressesEi ; -- Begin function _ZN2at6native14lpnorm_cleanupIfLNS0_8NormTypeE2EfLb1EfEEvPKT3_NS0_19TensorListAddressesEi
	.globl	_ZN2at6native14lpnorm_cleanupIfLNS0_8NormTypeE2EfLb1EfEEvPKT3_NS0_19TensorListAddressesEi
	.p2align	8
	.type	_ZN2at6native14lpnorm_cleanupIfLNS0_8NormTypeE2EfLb1EfEEvPKT3_NS0_19TensorListAddressesEi,@function
_ZN2at6native14lpnorm_cleanupIfLNS0_8NormTypeE2EfLb1EfEEvPKT3_NS0_19TensorListAddressesEi: ; @_ZN2at6native14lpnorm_cleanupIfLNS0_8NormTypeE2EfLb1EfEEvPKT3_NS0_19TensorListAddressesEi
; %bb.0:
	s_load_b32 s2, s[0:1], 0xc88
	s_bfe_u32 s3, ttmp6, 0x4000c
	s_and_b32 s4, ttmp6, 15
	s_add_co_i32 s3, s3, 1
	s_getreg_b32 s5, hwreg(HW_REG_IB_STS2, 6, 4)
	s_mul_i32 s3, ttmp9, s3
	v_mov_b32_e32 v1, 0
	s_add_co_i32 s4, s4, s3
	s_cmp_eq_u32 s5, 0
	s_mov_b32 s5, 0
	s_cselect_b32 s8, ttmp9, s4
	s_mov_b32 s9, exec_lo
	s_wait_kmcnt 0x0
	v_cmpx_gt_u32_e64 s2, v0
	s_cbranch_execz .LBB66_4
; %bb.1:
	s_clause 0x1
	s_load_b64 s[6:7], s[0:1], 0x0
	s_load_b32 s4, s[0:1], 0xc9c
	v_dual_mov_b32 v1, 0 :: v_dual_lshlrev_b32 v2, 2, v0
	s_mul_i32 s10, s2, s8
	s_mov_b32 s11, s5
	s_ashr_i32 s3, s2, 31
	s_delay_alu instid0(VALU_DEP_1)
	v_mov_b32_e32 v3, v1
	s_lshl_b64 s[10:11], s[10:11], 2
	v_mov_b64_e32 v[4:5], v[0:1]
	s_wait_kmcnt 0x0
	s_add_nc_u64 s[6:7], s[6:7], s[10:11]
	s_and_b32 s4, s4, 0xffff
	v_add_nc_u64_e32 v[2:3], s[6:7], v[2:3]
	s_lshl_b32 s6, s4, 2
	s_mov_b32 s7, s5
	s_mov_b32 s10, s5
.LBB66_2:                               ; =>This Inner Loop Header: Depth=1
	global_load_b32 v6, v[2:3], off
	v_add_nc_u64_e32 v[4:5], s[4:5], v[4:5]
	s_wait_xcnt 0x0
	v_add_nc_u64_e32 v[2:3], s[6:7], v[2:3]
	s_delay_alu instid0(VALU_DEP_2)
	v_cmp_le_u64_e32 vcc_lo, s[2:3], v[4:5]
	s_or_b32 s10, vcc_lo, s10
	s_wait_loadcnt 0x0
	v_add_f32_e32 v1, v1, v6
	s_and_not1_b32 exec_lo, exec_lo, s10
	s_cbranch_execnz .LBB66_2
; %bb.3:
	s_or_b32 exec_lo, exec_lo, s10
.LBB66_4:
	s_delay_alu instid0(SALU_CYCLE_1) | instskip(SKIP_4) | instid1(VALU_DEP_1)
	s_or_b32 exec_lo, exec_lo, s9
	v_mbcnt_lo_u32_b32 v5, -1, 0
	s_mov_b32 s2, exec_lo
	s_barrier_signal -1
	s_barrier_wait -1
	v_lshl_or_b32 v2, v5, 2, 64
	v_cmp_gt_u32_e32 vcc_lo, 24, v5
	ds_bpermute_b32 v4, v2, v1
	v_cndmask_b32_e64 v3, 0, 8, vcc_lo
	v_cmp_gt_u32_e32 vcc_lo, 28, v5
	s_delay_alu instid0(VALU_DEP_2)
	v_add_lshl_u32 v3, v3, v5, 2
	s_wait_dscnt 0x0
	v_add_f32_e32 v4, v1, v4
	v_cndmask_b32_e64 v1, 0, 4, vcc_lo
	v_cmp_gt_u32_e32 vcc_lo, 30, v5
	ds_bpermute_b32 v6, v3, v4
	v_add_lshl_u32 v1, v1, v5, 2
	s_wait_dscnt 0x0
	v_add_f32_e32 v6, v4, v6
	v_cndmask_b32_e64 v4, 0, 2, vcc_lo
	v_cmp_ne_u32_e32 vcc_lo, 31, v5
	s_delay_alu instid0(VALU_DEP_2) | instskip(SKIP_1) | instid1(VALU_DEP_1)
	v_add_lshl_u32 v4, v4, v5, 2
	v_add_co_ci_u32_e64 v5, null, 0, v5, vcc_lo
	v_lshlrev_b32_e32 v5, 2, v5
	ds_bpermute_b32 v7, v1, v6
	s_wait_dscnt 0x0
	v_add_f32_e32 v6, v6, v7
	ds_bpermute_b32 v7, v4, v6
	s_wait_dscnt 0x0
	v_dual_add_f32 v7, v6, v7 :: v_dual_bitop2_b32 v6, 31, v0 bitop3:0x40
	ds_bpermute_b32 v8, v5, v7
	v_cmpx_eq_u32_e32 0, v6
	s_cbranch_execz .LBB66_6
; %bb.5:
	s_wait_dscnt 0x0
	v_add_f32_e32 v7, v7, v8
	v_lshrrev_b32_e32 v8, 3, v0
	ds_store_b32 v8, v7
.LBB66_6:
	s_or_b32 exec_lo, exec_lo, s2
	s_wait_dscnt 0x0
	s_barrier_signal -1
	s_barrier_wait -1
	s_load_b32 s2, s[0:1], 0xc9c
	v_mov_b32_e32 v7, 0
	s_wait_kmcnt 0x0
	s_bfe_u32 s2, s2, 0xb0005
	s_delay_alu instid0(SALU_CYCLE_1)
	v_cmp_gt_u32_e32 vcc_lo, s2, v0
	s_and_saveexec_b32 s2, vcc_lo
; %bb.7:
	v_lshlrev_b32_e32 v6, 2, v6
	ds_load_b32 v7, v6
; %bb.8:
	s_or_b32 exec_lo, exec_lo, s2
	s_delay_alu instid0(SALU_CYCLE_1)
	s_mov_b32 s2, exec_lo
	v_cmpx_gt_u32_e32 32, v0
	s_cbranch_execz .LBB66_10
; %bb.9:
	s_wait_dscnt 0x0
	ds_bpermute_b32 v2, v2, v7
	s_wait_dscnt 0x0
	v_add_f32_e32 v2, v7, v2
	ds_bpermute_b32 v3, v3, v2
	s_wait_dscnt 0x0
	v_add_f32_e32 v2, v2, v3
	;; [unrolled: 3-line block ×5, first 2 shown]
.LBB66_10:
	s_or_b32 exec_lo, exec_lo, s2
	s_delay_alu instid0(SALU_CYCLE_1)
	s_mov_b32 s2, exec_lo
	v_cmpx_eq_u32_e32 0, v0
	s_cbranch_execz .LBB66_12
; %bb.11:
	s_wait_dscnt 0x0
	v_mul_f32_e32 v0, 0x4f800000, v7
	v_cmp_gt_f32_e32 vcc_lo, 0xf800000, v7
	s_load_b64 s[0:1], s[0:1], s8 offset:0x8 scale_offset
	s_delay_alu instid0(VALU_DEP_2) | instskip(NEXT) | instid1(VALU_DEP_1)
	v_cndmask_b32_e32 v0, v7, v0, vcc_lo
	v_sqrt_f32_e32 v1, v0
	v_nop
	s_delay_alu instid0(TRANS32_DEP_1) | instskip(NEXT) | instid1(VALU_DEP_1)
	v_dual_add_nc_u32 v2, -1, v1 :: v_dual_add_nc_u32 v3, 1, v1
	v_dual_fma_f32 v4, -v2, v1, v0 :: v_dual_fma_f32 v5, -v3, v1, v0
	s_delay_alu instid0(VALU_DEP_1) | instskip(NEXT) | instid1(VALU_DEP_1)
	v_cmp_ge_f32_e64 s2, 0, v4
	v_cndmask_b32_e64 v1, v1, v2, s2
	s_delay_alu instid0(VALU_DEP_3) | instskip(NEXT) | instid1(VALU_DEP_1)
	v_cmp_lt_f32_e64 s2, 0, v5
	v_cndmask_b32_e64 v1, v1, v3, s2
	s_delay_alu instid0(VALU_DEP_1) | instskip(NEXT) | instid1(VALU_DEP_1)
	v_mul_f32_e32 v2, 0x37800000, v1
	v_cndmask_b32_e32 v1, v1, v2, vcc_lo
	v_cmp_class_f32_e64 vcc_lo, v0, 0x260
	s_delay_alu instid0(VALU_DEP_2)
	v_dual_cndmask_b32 v0, v1, v0 :: v_dual_mov_b32 v1, 0
	s_wait_kmcnt 0x0
	global_store_b32 v1, v0, s[0:1]
.LBB66_12:
	s_endpgm
	.section	.rodata,"a",@progbits
	.p2align	6, 0x0
	.amdhsa_kernel _ZN2at6native14lpnorm_cleanupIfLNS0_8NormTypeE2EfLb1EfEEvPKT3_NS0_19TensorListAddressesEi
		.amdhsa_group_segment_fixed_size 2048
		.amdhsa_private_segment_fixed_size 0
		.amdhsa_kernarg_size 3472
		.amdhsa_user_sgpr_count 2
		.amdhsa_user_sgpr_dispatch_ptr 0
		.amdhsa_user_sgpr_queue_ptr 0
		.amdhsa_user_sgpr_kernarg_segment_ptr 1
		.amdhsa_user_sgpr_dispatch_id 0
		.amdhsa_user_sgpr_kernarg_preload_length 0
		.amdhsa_user_sgpr_kernarg_preload_offset 0
		.amdhsa_user_sgpr_private_segment_size 0
		.amdhsa_wavefront_size32 1
		.amdhsa_uses_dynamic_stack 0
		.amdhsa_enable_private_segment 0
		.amdhsa_system_sgpr_workgroup_id_x 1
		.amdhsa_system_sgpr_workgroup_id_y 0
		.amdhsa_system_sgpr_workgroup_id_z 0
		.amdhsa_system_sgpr_workgroup_info 0
		.amdhsa_system_vgpr_workitem_id 0
		.amdhsa_next_free_vgpr 9
		.amdhsa_next_free_sgpr 12
		.amdhsa_named_barrier_count 0
		.amdhsa_reserve_vcc 1
		.amdhsa_float_round_mode_32 0
		.amdhsa_float_round_mode_16_64 0
		.amdhsa_float_denorm_mode_32 3
		.amdhsa_float_denorm_mode_16_64 3
		.amdhsa_fp16_overflow 0
		.amdhsa_memory_ordered 1
		.amdhsa_forward_progress 1
		.amdhsa_inst_pref_size 7
		.amdhsa_round_robin_scheduling 0
		.amdhsa_exception_fp_ieee_invalid_op 0
		.amdhsa_exception_fp_denorm_src 0
		.amdhsa_exception_fp_ieee_div_zero 0
		.amdhsa_exception_fp_ieee_overflow 0
		.amdhsa_exception_fp_ieee_underflow 0
		.amdhsa_exception_fp_ieee_inexact 0
		.amdhsa_exception_int_div_zero 0
	.end_amdhsa_kernel
	.section	.text._ZN2at6native14lpnorm_cleanupIfLNS0_8NormTypeE2EfLb1EfEEvPKT3_NS0_19TensorListAddressesEi,"axG",@progbits,_ZN2at6native14lpnorm_cleanupIfLNS0_8NormTypeE2EfLb1EfEEvPKT3_NS0_19TensorListAddressesEi,comdat
.Lfunc_end66:
	.size	_ZN2at6native14lpnorm_cleanupIfLNS0_8NormTypeE2EfLb1EfEEvPKT3_NS0_19TensorListAddressesEi, .Lfunc_end66-_ZN2at6native14lpnorm_cleanupIfLNS0_8NormTypeE2EfLb1EfEEvPKT3_NS0_19TensorListAddressesEi
                                        ; -- End function
	.set _ZN2at6native14lpnorm_cleanupIfLNS0_8NormTypeE2EfLb1EfEEvPKT3_NS0_19TensorListAddressesEi.num_vgpr, 9
	.set _ZN2at6native14lpnorm_cleanupIfLNS0_8NormTypeE2EfLb1EfEEvPKT3_NS0_19TensorListAddressesEi.num_agpr, 0
	.set _ZN2at6native14lpnorm_cleanupIfLNS0_8NormTypeE2EfLb1EfEEvPKT3_NS0_19TensorListAddressesEi.numbered_sgpr, 12
	.set _ZN2at6native14lpnorm_cleanupIfLNS0_8NormTypeE2EfLb1EfEEvPKT3_NS0_19TensorListAddressesEi.num_named_barrier, 0
	.set _ZN2at6native14lpnorm_cleanupIfLNS0_8NormTypeE2EfLb1EfEEvPKT3_NS0_19TensorListAddressesEi.private_seg_size, 0
	.set _ZN2at6native14lpnorm_cleanupIfLNS0_8NormTypeE2EfLb1EfEEvPKT3_NS0_19TensorListAddressesEi.uses_vcc, 1
	.set _ZN2at6native14lpnorm_cleanupIfLNS0_8NormTypeE2EfLb1EfEEvPKT3_NS0_19TensorListAddressesEi.uses_flat_scratch, 0
	.set _ZN2at6native14lpnorm_cleanupIfLNS0_8NormTypeE2EfLb1EfEEvPKT3_NS0_19TensorListAddressesEi.has_dyn_sized_stack, 0
	.set _ZN2at6native14lpnorm_cleanupIfLNS0_8NormTypeE2EfLb1EfEEvPKT3_NS0_19TensorListAddressesEi.has_recursion, 0
	.set _ZN2at6native14lpnorm_cleanupIfLNS0_8NormTypeE2EfLb1EfEEvPKT3_NS0_19TensorListAddressesEi.has_indirect_call, 0
	.section	.AMDGPU.csdata,"",@progbits
; Kernel info:
; codeLenInByte = 804
; TotalNumSgprs: 14
; NumVgprs: 9
; ScratchSize: 0
; MemoryBound: 0
; FloatMode: 240
; IeeeMode: 1
; LDSByteSize: 2048 bytes/workgroup (compile time only)
; SGPRBlocks: 0
; VGPRBlocks: 0
; NumSGPRsForWavesPerEU: 14
; NumVGPRsForWavesPerEU: 9
; NamedBarCnt: 0
; Occupancy: 16
; WaveLimiterHint : 0
; COMPUTE_PGM_RSRC2:SCRATCH_EN: 0
; COMPUTE_PGM_RSRC2:USER_SGPR: 2
; COMPUTE_PGM_RSRC2:TRAP_HANDLER: 0
; COMPUTE_PGM_RSRC2:TGID_X_EN: 1
; COMPUTE_PGM_RSRC2:TGID_Y_EN: 0
; COMPUTE_PGM_RSRC2:TGID_Z_EN: 0
; COMPUTE_PGM_RSRC2:TIDIG_COMP_CNT: 0
	.section	.text._ZN2at6native14lpnorm_cleanupIfLNS0_8NormTypeE3EfLb1EfEEvPKT3_NS0_19TensorListAddressesEi,"axG",@progbits,_ZN2at6native14lpnorm_cleanupIfLNS0_8NormTypeE3EfLb1EfEEvPKT3_NS0_19TensorListAddressesEi,comdat
	.protected	_ZN2at6native14lpnorm_cleanupIfLNS0_8NormTypeE3EfLb1EfEEvPKT3_NS0_19TensorListAddressesEi ; -- Begin function _ZN2at6native14lpnorm_cleanupIfLNS0_8NormTypeE3EfLb1EfEEvPKT3_NS0_19TensorListAddressesEi
	.globl	_ZN2at6native14lpnorm_cleanupIfLNS0_8NormTypeE3EfLb1EfEEvPKT3_NS0_19TensorListAddressesEi
	.p2align	8
	.type	_ZN2at6native14lpnorm_cleanupIfLNS0_8NormTypeE3EfLb1EfEEvPKT3_NS0_19TensorListAddressesEi,@function
_ZN2at6native14lpnorm_cleanupIfLNS0_8NormTypeE3EfLb1EfEEvPKT3_NS0_19TensorListAddressesEi: ; @_ZN2at6native14lpnorm_cleanupIfLNS0_8NormTypeE3EfLb1EfEEvPKT3_NS0_19TensorListAddressesEi
; %bb.0:
	s_load_b32 s4, s[0:1], 0xc88
	s_bfe_u32 s2, ttmp6, 0x4000c
	s_and_b32 s3, ttmp6, 15
	s_add_co_i32 s2, s2, 1
	s_getreg_b32 s5, hwreg(HW_REG_IB_STS2, 6, 4)
	s_mul_i32 s2, ttmp9, s2
	v_mov_b32_e32 v1, 0
	s_add_co_i32 s3, s3, s2
	s_cmp_eq_u32 s5, 0
	s_mov_b32 s7, 0
	s_cselect_b32 s10, ttmp9, s3
	s_mov_b32 s11, exec_lo
	s_wait_kmcnt 0x0
	v_cmpx_gt_u32_e64 s4, v0
	s_cbranch_execz .LBB67_4
; %bb.1:
	s_clause 0x1
	s_load_b64 s[2:3], s[0:1], 0x0
	s_load_b32 s6, s[0:1], 0xc9c
	v_dual_mov_b32 v1, 0 :: v_dual_lshlrev_b32 v2, 2, v0
	s_mul_i32 s8, s4, s10
	s_mov_b32 s9, s7
	s_ashr_i32 s5, s4, 31
	s_delay_alu instid0(VALU_DEP_1)
	v_mov_b32_e32 v3, v1
	s_lshl_b64 s[8:9], s[8:9], 2
	v_mov_b64_e32 v[4:5], v[0:1]
	s_mov_b32 s12, s7
	s_wait_kmcnt 0x0
	s_add_nc_u64 s[2:3], s[2:3], s[8:9]
	s_and_b32 s6, s6, 0xffff
	v_add_nc_u64_e32 v[2:3], s[2:3], v[2:3]
	s_lshl_b32 s8, s6, 2
	s_mov_b32 s9, s7
.LBB67_2:                               ; =>This Inner Loop Header: Depth=1
	global_load_b32 v6, v[2:3], off
	v_add_nc_u64_e32 v[4:5], s[6:7], v[4:5]
	s_wait_xcnt 0x0
	v_add_nc_u64_e32 v[2:3], s[8:9], v[2:3]
	s_delay_alu instid0(VALU_DEP_2)
	v_cmp_le_u64_e32 vcc_lo, s[4:5], v[4:5]
	s_wait_loadcnt 0x0
	v_cmp_u_f32_e64 s2, v6, v6
	v_cmp_lt_f32_e64 s3, v1, v6
	s_or_b32 s2, s2, s3
	s_or_b32 s12, vcc_lo, s12
	v_cndmask_b32_e64 v1, v1, v6, s2
	s_and_not1_b32 exec_lo, exec_lo, s12
	s_cbranch_execnz .LBB67_2
; %bb.3:
	s_or_b32 exec_lo, exec_lo, s12
.LBB67_4:
	s_delay_alu instid0(SALU_CYCLE_1) | instskip(SKIP_3) | instid1(VALU_DEP_1)
	s_or_b32 exec_lo, exec_lo, s11
	v_mbcnt_lo_u32_b32 v5, -1, 0
	s_barrier_signal -1
	s_barrier_wait -1
	v_lshl_or_b32 v2, v5, 2, 64
	v_cmp_gt_u32_e32 vcc_lo, 24, v5
	v_cmp_ne_u32_e64 s3, 31, v5
	ds_bpermute_b32 v4, v2, v1
	v_cndmask_b32_e64 v3, 0, 8, vcc_lo
	s_delay_alu instid0(VALU_DEP_1)
	v_add_lshl_u32 v3, v3, v5, 2
	s_wait_dscnt 0x0
	v_cmp_u_f32_e32 vcc_lo, v4, v4
	v_cmp_lt_f32_e64 s2, v1, v4
	s_or_b32 vcc_lo, vcc_lo, s2
	v_cndmask_b32_e32 v4, v1, v4, vcc_lo
	v_cmp_gt_u32_e32 vcc_lo, 28, v5
	ds_bpermute_b32 v6, v3, v4
	v_cndmask_b32_e64 v1, 0, 4, vcc_lo
	s_delay_alu instid0(VALU_DEP_1)
	v_add_lshl_u32 v1, v1, v5, 2
	s_wait_dscnt 0x0
	v_cmp_u_f32_e32 vcc_lo, v6, v6
	v_cmp_lt_f32_e64 s2, v4, v6
	s_or_b32 vcc_lo, vcc_lo, s2
	v_cndmask_b32_e32 v6, v4, v6, vcc_lo
	v_cmp_gt_u32_e32 vcc_lo, 30, v5
	v_cndmask_b32_e64 v4, 0, 2, vcc_lo
	s_delay_alu instid0(VALU_DEP_1)
	v_add_lshl_u32 v4, v4, v5, 2
	v_add_co_ci_u32_e64 v5, null, 0, v5, s3
	s_mov_b32 s3, exec_lo
	v_lshlrev_b32_e32 v5, 2, v5
	ds_bpermute_b32 v7, v1, v6
	s_wait_dscnt 0x0
	v_cmp_u_f32_e32 vcc_lo, v7, v7
	v_cmp_lt_f32_e64 s2, v6, v7
	s_or_b32 vcc_lo, vcc_lo, s2
	v_cndmask_b32_e32 v6, v6, v7, vcc_lo
	ds_bpermute_b32 v7, v4, v6
	s_wait_dscnt 0x0
	v_cmp_u_f32_e32 vcc_lo, v7, v7
	v_cmp_lt_f32_e64 s2, v6, v7
	s_or_b32 vcc_lo, vcc_lo, s2
	s_delay_alu instid0(SALU_CYCLE_1)
	v_dual_cndmask_b32 v7, v6, v7, vcc_lo :: v_dual_bitop2_b32 v6, 31, v0 bitop3:0x40
	ds_bpermute_b32 v8, v5, v7
	v_cmpx_eq_u32_e32 0, v6
	s_cbranch_execz .LBB67_6
; %bb.5:
	s_wait_dscnt 0x0
	v_cmp_u_f32_e32 vcc_lo, v8, v8
	v_cmp_lt_f32_e64 s2, v7, v8
	s_or_b32 vcc_lo, vcc_lo, s2
	v_cndmask_b32_e32 v7, v7, v8, vcc_lo
	v_lshrrev_b32_e32 v8, 3, v0
	ds_store_b32 v8, v7
.LBB67_6:
	s_or_b32 exec_lo, exec_lo, s3
	s_wait_dscnt 0x0
	s_barrier_signal -1
	s_barrier_wait -1
	s_load_b32 s2, s[0:1], 0xc9c
	v_mov_b32_e32 v7, 0xff7fffff
	s_wait_kmcnt 0x0
	s_bfe_u32 s2, s2, 0xb0005
	s_delay_alu instid0(SALU_CYCLE_1)
	v_cmp_gt_u32_e32 vcc_lo, s2, v0
	s_and_saveexec_b32 s2, vcc_lo
; %bb.7:
	v_lshlrev_b32_e32 v6, 2, v6
	ds_load_b32 v7, v6
; %bb.8:
	s_or_b32 exec_lo, exec_lo, s2
	s_delay_alu instid0(SALU_CYCLE_1)
	s_mov_b32 s3, exec_lo
	v_cmpx_gt_u32_e32 32, v0
	s_cbranch_execz .LBB67_10
; %bb.9:
	s_wait_dscnt 0x0
	ds_bpermute_b32 v2, v2, v7
	s_wait_dscnt 0x0
	v_cmp_u_f32_e32 vcc_lo, v2, v2
	v_cmp_lt_f32_e64 s2, v7, v2
	s_or_b32 vcc_lo, vcc_lo, s2
	v_cndmask_b32_e32 v2, v7, v2, vcc_lo
	ds_bpermute_b32 v3, v3, v2
	s_wait_dscnt 0x0
	v_cmp_u_f32_e32 vcc_lo, v3, v3
	v_cmp_lt_f32_e64 s2, v2, v3
	s_or_b32 vcc_lo, vcc_lo, s2
	v_cndmask_b32_e32 v2, v2, v3, vcc_lo
	;; [unrolled: 6-line block ×5, first 2 shown]
.LBB67_10:
	s_or_b32 exec_lo, exec_lo, s3
	s_delay_alu instid0(SALU_CYCLE_1)
	s_mov_b32 s2, exec_lo
	v_cmpx_eq_u32_e32 0, v0
	s_cbranch_execz .LBB67_12
; %bb.11:
	s_load_b64 s[0:1], s[0:1], s10 offset:0x8 scale_offset
	v_mov_b32_e32 v0, 0
	s_wait_dscnt 0x0
	s_wait_kmcnt 0x0
	global_store_b32 v0, v7, s[0:1]
.LBB67_12:
	s_endpgm
	.section	.rodata,"a",@progbits
	.p2align	6, 0x0
	.amdhsa_kernel _ZN2at6native14lpnorm_cleanupIfLNS0_8NormTypeE3EfLb1EfEEvPKT3_NS0_19TensorListAddressesEi
		.amdhsa_group_segment_fixed_size 2048
		.amdhsa_private_segment_fixed_size 0
		.amdhsa_kernarg_size 3472
		.amdhsa_user_sgpr_count 2
		.amdhsa_user_sgpr_dispatch_ptr 0
		.amdhsa_user_sgpr_queue_ptr 0
		.amdhsa_user_sgpr_kernarg_segment_ptr 1
		.amdhsa_user_sgpr_dispatch_id 0
		.amdhsa_user_sgpr_kernarg_preload_length 0
		.amdhsa_user_sgpr_kernarg_preload_offset 0
		.amdhsa_user_sgpr_private_segment_size 0
		.amdhsa_wavefront_size32 1
		.amdhsa_uses_dynamic_stack 0
		.amdhsa_enable_private_segment 0
		.amdhsa_system_sgpr_workgroup_id_x 1
		.amdhsa_system_sgpr_workgroup_id_y 0
		.amdhsa_system_sgpr_workgroup_id_z 0
		.amdhsa_system_sgpr_workgroup_info 0
		.amdhsa_system_vgpr_workitem_id 0
		.amdhsa_next_free_vgpr 9
		.amdhsa_next_free_sgpr 13
		.amdhsa_named_barrier_count 0
		.amdhsa_reserve_vcc 1
		.amdhsa_float_round_mode_32 0
		.amdhsa_float_round_mode_16_64 0
		.amdhsa_float_denorm_mode_32 3
		.amdhsa_float_denorm_mode_16_64 3
		.amdhsa_fp16_overflow 0
		.amdhsa_memory_ordered 1
		.amdhsa_forward_progress 1
		.amdhsa_inst_pref_size 7
		.amdhsa_round_robin_scheduling 0
		.amdhsa_exception_fp_ieee_invalid_op 0
		.amdhsa_exception_fp_denorm_src 0
		.amdhsa_exception_fp_ieee_div_zero 0
		.amdhsa_exception_fp_ieee_overflow 0
		.amdhsa_exception_fp_ieee_underflow 0
		.amdhsa_exception_fp_ieee_inexact 0
		.amdhsa_exception_int_div_zero 0
	.end_amdhsa_kernel
	.section	.text._ZN2at6native14lpnorm_cleanupIfLNS0_8NormTypeE3EfLb1EfEEvPKT3_NS0_19TensorListAddressesEi,"axG",@progbits,_ZN2at6native14lpnorm_cleanupIfLNS0_8NormTypeE3EfLb1EfEEvPKT3_NS0_19TensorListAddressesEi,comdat
.Lfunc_end67:
	.size	_ZN2at6native14lpnorm_cleanupIfLNS0_8NormTypeE3EfLb1EfEEvPKT3_NS0_19TensorListAddressesEi, .Lfunc_end67-_ZN2at6native14lpnorm_cleanupIfLNS0_8NormTypeE3EfLb1EfEEvPKT3_NS0_19TensorListAddressesEi
                                        ; -- End function
	.set _ZN2at6native14lpnorm_cleanupIfLNS0_8NormTypeE3EfLb1EfEEvPKT3_NS0_19TensorListAddressesEi.num_vgpr, 9
	.set _ZN2at6native14lpnorm_cleanupIfLNS0_8NormTypeE3EfLb1EfEEvPKT3_NS0_19TensorListAddressesEi.num_agpr, 0
	.set _ZN2at6native14lpnorm_cleanupIfLNS0_8NormTypeE3EfLb1EfEEvPKT3_NS0_19TensorListAddressesEi.numbered_sgpr, 13
	.set _ZN2at6native14lpnorm_cleanupIfLNS0_8NormTypeE3EfLb1EfEEvPKT3_NS0_19TensorListAddressesEi.num_named_barrier, 0
	.set _ZN2at6native14lpnorm_cleanupIfLNS0_8NormTypeE3EfLb1EfEEvPKT3_NS0_19TensorListAddressesEi.private_seg_size, 0
	.set _ZN2at6native14lpnorm_cleanupIfLNS0_8NormTypeE3EfLb1EfEEvPKT3_NS0_19TensorListAddressesEi.uses_vcc, 1
	.set _ZN2at6native14lpnorm_cleanupIfLNS0_8NormTypeE3EfLb1EfEEvPKT3_NS0_19TensorListAddressesEi.uses_flat_scratch, 0
	.set _ZN2at6native14lpnorm_cleanupIfLNS0_8NormTypeE3EfLb1EfEEvPKT3_NS0_19TensorListAddressesEi.has_dyn_sized_stack, 0
	.set _ZN2at6native14lpnorm_cleanupIfLNS0_8NormTypeE3EfLb1EfEEvPKT3_NS0_19TensorListAddressesEi.has_recursion, 0
	.set _ZN2at6native14lpnorm_cleanupIfLNS0_8NormTypeE3EfLb1EfEEvPKT3_NS0_19TensorListAddressesEi.has_indirect_call, 0
	.section	.AMDGPU.csdata,"",@progbits
; Kernel info:
; codeLenInByte = 868
; TotalNumSgprs: 15
; NumVgprs: 9
; ScratchSize: 0
; MemoryBound: 0
; FloatMode: 240
; IeeeMode: 1
; LDSByteSize: 2048 bytes/workgroup (compile time only)
; SGPRBlocks: 0
; VGPRBlocks: 0
; NumSGPRsForWavesPerEU: 15
; NumVGPRsForWavesPerEU: 9
; NamedBarCnt: 0
; Occupancy: 16
; WaveLimiterHint : 0
; COMPUTE_PGM_RSRC2:SCRATCH_EN: 0
; COMPUTE_PGM_RSRC2:USER_SGPR: 2
; COMPUTE_PGM_RSRC2:TRAP_HANDLER: 0
; COMPUTE_PGM_RSRC2:TGID_X_EN: 1
; COMPUTE_PGM_RSRC2:TGID_Y_EN: 0
; COMPUTE_PGM_RSRC2:TGID_Z_EN: 0
; COMPUTE_PGM_RSRC2:TIDIG_COMP_CNT: 0
	.section	.text._ZN2at6native12_GLOBAL__N_125multi_tensor_apply_kernelINS1_18TensorListMetadataILi1EEENS0_13LpNormFunctorIfLNS0_8NormTypeE0EN3c104HalfELi1ELi1ELi0EEEJPfiEEEvT_T0_DpT1_,"axG",@progbits,_ZN2at6native12_GLOBAL__N_125multi_tensor_apply_kernelINS1_18TensorListMetadataILi1EEENS0_13LpNormFunctorIfLNS0_8NormTypeE0EN3c104HalfELi1ELi1ELi0EEEJPfiEEEvT_T0_DpT1_,comdat
	.globl	_ZN2at6native12_GLOBAL__N_125multi_tensor_apply_kernelINS1_18TensorListMetadataILi1EEENS0_13LpNormFunctorIfLNS0_8NormTypeE0EN3c104HalfELi1ELi1ELi0EEEJPfiEEEvT_T0_DpT1_ ; -- Begin function _ZN2at6native12_GLOBAL__N_125multi_tensor_apply_kernelINS1_18TensorListMetadataILi1EEENS0_13LpNormFunctorIfLNS0_8NormTypeE0EN3c104HalfELi1ELi1ELi0EEEJPfiEEEvT_T0_DpT1_
	.p2align	8
	.type	_ZN2at6native12_GLOBAL__N_125multi_tensor_apply_kernelINS1_18TensorListMetadataILi1EEENS0_13LpNormFunctorIfLNS0_8NormTypeE0EN3c104HalfELi1ELi1ELi0EEEJPfiEEEvT_T0_DpT1_,@function
_ZN2at6native12_GLOBAL__N_125multi_tensor_apply_kernelINS1_18TensorListMetadataILi1EEENS0_13LpNormFunctorIfLNS0_8NormTypeE0EN3c104HalfELi1ELi1ELi0EEEJPfiEEEvT_T0_DpT1_: ; @_ZN2at6native12_GLOBAL__N_125multi_tensor_apply_kernelINS1_18TensorListMetadataILi1EEENS0_13LpNormFunctorIfLNS0_8NormTypeE0EN3c104HalfELi1ELi1ELi0EEEJPfiEEEvT_T0_DpT1_
; %bb.0:
	s_bfe_u32 s2, ttmp6, 0x4000c
	s_and_b32 s3, ttmp6, 15
	s_add_co_i32 s2, s2, 1
	s_getreg_b32 s4, hwreg(HW_REG_IB_STS2, 6, 4)
	s_mul_i32 s2, ttmp9, s2
	s_delay_alu instid0(SALU_CYCLE_1)
	s_add_co_i32 s3, s3, s2
	s_cmp_eq_u32 s4, 0
	s_cselect_b32 s2, ttmp9, s3
	s_mov_b32 s3, 0
	v_mov_b32_e32 v1, s2
	s_add_nc_u64 s[4:5], s[0:1], s[2:3]
	s_mul_u64 s[6:7], s[2:3], 3
	s_delay_alu instid0(SALU_CYCLE_1) | instskip(SKIP_4) | instid1(SALU_CYCLE_1)
	s_add_nc_u64 s[4:5], s[4:5], s[6:7]
	global_load_u8 v13, v1, s[0:1] offset:1760
	s_load_b32 s4, s[4:5], 0x820
	s_wait_kmcnt 0x0
	s_ashr_i32 s5, s4, 31
	s_lshl_b64 s[10:11], s[4:5], 18
	s_lshl_b64 s[12:13], s[4:5], 16
	s_wait_loadcnt 0x0
	v_readfirstlane_b32 s2, v13
	s_and_b32 s2, s2, 0xff
	s_clause 0x1
	s_load_b64 s[6:7], s[0:1], s2 offset:0x0 scale_offset
	s_load_b64 s[8:9], s[0:1], s2 offset:0x370 scale_offset
	s_wait_kmcnt 0x0
	s_add_nc_u64 s[6:7], s[6:7], s[10:11]
	s_and_b32 s2, s8, 3
	s_and_b64 s[10:11], s[6:7], 15
	s_sub_nc_u64 s[8:9], s[8:9], s[12:13]
	s_or_b64 s[10:11], s[2:3], s[10:11]
	s_delay_alu instid0(SALU_CYCLE_1)
	s_cmp_eq_u64 s[10:11], 0
	s_cbranch_scc1 .LBB68_12
; %bb.1:
	v_cmp_lt_i64_e64 s2, s[8:9], 1
	s_and_b32 vcc_lo, exec_lo, s2
	s_cbranch_vccnz .LBB68_28
; %bb.2:
	s_load_b32 s2, s[0:1], 0xd4c
	v_min_i64 v[10:11], 0x10000, s[8:9]
	s_mov_b32 s11, 0
	s_mov_b64 s[12:13], 0
	s_wait_kmcnt 0x0
	s_and_b32 s2, s2, 0xffff
	s_delay_alu instid0(SALU_CYCLE_1) | instskip(SKIP_3) | instid1(VALU_DEP_3)
	v_dual_mov_b32 v7, 0 :: v_dual_add_nc_u32 v16, s2, v0
	v_mad_u32 v12, s2, 3, v0
	v_lshl_add_u32 v14, s2, 1, v0
	s_lshl_b32 s10, s2, 2
	v_dual_mov_b32 v6, v7 :: v_dual_mov_b32 v8, v7
	v_mov_b32_e32 v9, v7
	s_delay_alu instid0(VALU_DEP_2) | instskip(NEXT) | instid1(VALU_DEP_2)
	v_mov_b64_e32 v[2:3], v[6:7]
	v_mov_b64_e32 v[4:5], v[8:9]
	s_branch .LBB68_4
.LBB68_3:                               ;   in Loop: Header=BB68_4 Depth=1
	s_or_b32 exec_lo, exec_lo, s2
	s_add_nc_u64 s[12:13], s[12:13], s[10:11]
	s_delay_alu instid0(SALU_CYCLE_1)
	v_cmp_lt_i64_e32 vcc_lo, s[12:13], v[10:11]
	s_cbranch_vccz .LBB68_13
.LBB68_4:                               ; =>This Inner Loop Header: Depth=1
	v_add_nc_u32_e32 v6, s12, v0
	s_delay_alu instid0(VALU_DEP_1) | instskip(SKIP_2) | instid1(SALU_CYCLE_1)
	v_cmp_gt_i64_e32 vcc_lo, s[8:9], v[6:7]
	v_cmp_gt_u32_e64 s2, 0x10000, v6
	s_and_b32 s5, s2, vcc_lo
	s_and_saveexec_b32 s2, s5
	s_cbranch_execz .LBB68_6
; %bb.5:                                ;   in Loop: Header=BB68_4 Depth=1
	v_lshl_add_u64 v[8:9], v[6:7], 2, s[6:7]
	global_load_b32 v1, v[8:9], off
	s_wait_loadcnt 0x0
	v_cmp_neq_f32_e32 vcc_lo, 0, v1
	v_cndmask_b32_e64 v1, 0, 1.0, vcc_lo
	s_delay_alu instid0(VALU_DEP_1)
	v_add_f32_e32 v2, v2, v1
.LBB68_6:                               ;   in Loop: Header=BB68_4 Depth=1
	s_or_b32 exec_lo, exec_lo, s2
	v_add_nc_u32_e32 v6, s12, v16
	s_delay_alu instid0(VALU_DEP_1) | instskip(SKIP_2) | instid1(SALU_CYCLE_1)
	v_cmp_gt_i64_e32 vcc_lo, s[8:9], v[6:7]
	v_cmp_gt_u32_e64 s2, 0x10000, v6
	s_and_b32 s5, s2, vcc_lo
	s_and_saveexec_b32 s2, s5
	s_cbranch_execz .LBB68_8
; %bb.7:                                ;   in Loop: Header=BB68_4 Depth=1
	v_lshl_add_u64 v[8:9], v[6:7], 2, s[6:7]
	global_load_b32 v1, v[8:9], off
	s_wait_loadcnt 0x0
	v_cmp_neq_f32_e32 vcc_lo, 0, v1
	v_cndmask_b32_e64 v1, 0, 1.0, vcc_lo
	s_delay_alu instid0(VALU_DEP_1)
	v_add_f32_e32 v3, v3, v1
.LBB68_8:                               ;   in Loop: Header=BB68_4 Depth=1
	s_or_b32 exec_lo, exec_lo, s2
	v_add_nc_u32_e32 v6, s12, v14
	s_delay_alu instid0(VALU_DEP_1) | instskip(SKIP_2) | instid1(SALU_CYCLE_1)
	v_cmp_gt_i64_e32 vcc_lo, s[8:9], v[6:7]
	v_cmp_gt_u32_e64 s2, 0x10000, v6
	s_and_b32 s5, s2, vcc_lo
	s_and_saveexec_b32 s2, s5
	s_cbranch_execz .LBB68_10
; %bb.9:                                ;   in Loop: Header=BB68_4 Depth=1
	v_lshl_add_u64 v[8:9], v[6:7], 2, s[6:7]
	global_load_b32 v1, v[8:9], off
	s_wait_loadcnt 0x0
	v_cmp_neq_f32_e32 vcc_lo, 0, v1
	v_cndmask_b32_e64 v1, 0, 1.0, vcc_lo
	s_delay_alu instid0(VALU_DEP_1)
	v_add_f32_e32 v4, v4, v1
.LBB68_10:                              ;   in Loop: Header=BB68_4 Depth=1
	s_or_b32 exec_lo, exec_lo, s2
	v_add_nc_u32_e32 v6, s12, v12
	s_delay_alu instid0(VALU_DEP_1) | instskip(SKIP_2) | instid1(SALU_CYCLE_1)
	v_cmp_gt_i64_e32 vcc_lo, s[8:9], v[6:7]
	v_cmp_gt_u32_e64 s2, 0x10000, v6
	s_and_b32 s5, s2, vcc_lo
	s_and_saveexec_b32 s2, s5
	s_cbranch_execz .LBB68_3
; %bb.11:                               ;   in Loop: Header=BB68_4 Depth=1
	v_lshl_add_u64 v[8:9], v[6:7], 2, s[6:7]
	global_load_b32 v1, v[8:9], off
	s_wait_loadcnt 0x0
	v_cmp_neq_f32_e32 vcc_lo, 0, v1
	v_cndmask_b32_e64 v1, 0, 1.0, vcc_lo
	s_delay_alu instid0(VALU_DEP_1)
	v_add_f32_e32 v5, v5, v1
	s_branch .LBB68_3
.LBB68_12:
	s_mov_b32 s3, -1
                                        ; implicit-def: $vgpr2_vgpr3_vgpr4_vgpr5
.LBB68_13:
	s_delay_alu instid0(SALU_CYCLE_1)
	s_and_not1_b32 vcc_lo, exec_lo, s3
	s_cbranch_vccnz .LBB68_19
.LBB68_14:
	v_min_i64 v[6:7], 0x10000, s[8:9]
	v_dual_mov_b32 v2, 0 :: v_dual_lshlrev_b32 v4, 2, v0
	s_mov_b32 s9, 0
	s_delay_alu instid0(VALU_DEP_1) | instskip(NEXT) | instid1(VALU_DEP_1)
	v_dual_mov_b32 v5, v2 :: v_dual_mov_b32 v3, v2
	v_cmp_lt_i64_e32 vcc_lo, v[4:5], v[6:7]
	v_mov_b32_e32 v4, v2
	s_and_saveexec_b32 s3, vcc_lo
	s_cbranch_execz .LBB68_18
; %bb.15:
	s_load_b32 s2, s[0:1], 0xd4c
	v_dual_mov_b32 v5, v2 :: v_dual_lshlrev_b32 v4, 4, v0
	v_dual_mov_b32 v1, v2 :: v_dual_mov_b32 v3, v2
	s_mov_b32 s5, s9
	s_delay_alu instid0(VALU_DEP_2) | instskip(NEXT) | instid1(VALU_DEP_2)
	v_add_nc_u64_e32 v[8:9], s[6:7], v[4:5]
	v_mov_b64_e32 v[10:11], v[0:1]
	v_mov_b32_e32 v4, v2
	s_mov_b32 s7, s9
	s_delay_alu instid0(VALU_DEP_3) | instskip(SKIP_2) | instid1(SALU_CYCLE_1)
	v_add_nc_u64_e32 v[8:9], 8, v[8:9]
	s_wait_kmcnt 0x0
	s_and_b32 s8, s2, 0xffff
	s_lshl_b32 s6, s8, 4
.LBB68_16:                              ; =>This Inner Loop Header: Depth=1
	global_load_b128 v[14:17], v[8:9], off offset:-8
	v_add_nc_u64_e32 v[10:11], s[8:9], v[10:11]
	s_wait_xcnt 0x0
	v_add_nc_u64_e32 v[8:9], s[6:7], v[8:9]
	s_delay_alu instid0(VALU_DEP_2) | instskip(NEXT) | instid1(VALU_DEP_1)
	v_lshlrev_b64_e32 v[18:19], 2, v[10:11]
	v_cmp_ge_i64_e32 vcc_lo, v[18:19], v[6:7]
	s_or_b32 s5, vcc_lo, s5
	s_wait_loadcnt 0x0
	v_cmp_eq_f32_e64 s2, 0, v15
	s_delay_alu instid0(VALU_DEP_1) | instskip(SKIP_1) | instid1(VALU_DEP_1)
	v_cndmask_b32_e64 v15, 1.0, 0, s2
	v_cmp_eq_f32_e64 s2, 0, v17
	v_cndmask_b32_e64 v17, 1.0, 0, s2
	v_cmp_eq_f32_e64 s2, 0, v16
	s_delay_alu instid0(VALU_DEP_1) | instskip(SKIP_1) | instid1(VALU_DEP_2)
	v_cndmask_b32_e64 v16, 1.0, 0, s2
	v_cmp_eq_f32_e64 s2, 0, v14
	v_pk_add_f32 v[4:5], v[4:5], v[16:17]
	s_delay_alu instid0(VALU_DEP_2) | instskip(NEXT) | instid1(VALU_DEP_1)
	v_cndmask_b32_e64 v14, 1.0, 0, s2
	v_pk_add_f32 v[2:3], v[2:3], v[14:15]
	s_and_not1_b32 exec_lo, exec_lo, s5
	s_cbranch_execnz .LBB68_16
; %bb.17:
	s_or_b32 exec_lo, exec_lo, s5
.LBB68_18:
	s_delay_alu instid0(SALU_CYCLE_1)
	s_or_b32 exec_lo, exec_lo, s3
.LBB68_19:
	v_add_f32_e32 v1, 0, v2
	v_mbcnt_lo_u32_b32 v6, -1, 0
	s_mov_b32 s2, exec_lo
	s_barrier_signal -1
	s_delay_alu instid0(VALU_DEP_2) | instskip(NEXT) | instid1(VALU_DEP_2)
	v_add_f32_e32 v1, v3, v1
	v_cmp_gt_u32_e32 vcc_lo, 24, v6
	s_barrier_wait -1
	s_delay_alu instid0(VALU_DEP_2) | instskip(SKIP_1) | instid1(VALU_DEP_2)
	v_add_f32_e32 v2, v4, v1
	v_lshl_or_b32 v1, v6, 2, 64
	v_add_f32_e32 v3, v5, v2
	v_cndmask_b32_e64 v2, 0, 8, vcc_lo
	v_cmp_gt_u32_e32 vcc_lo, 28, v6
	ds_bpermute_b32 v4, v1, v3
	v_add_lshl_u32 v2, v2, v6, 2
	s_wait_dscnt 0x0
	v_add_f32_e32 v4, v3, v4
	v_cndmask_b32_e64 v3, 0, 4, vcc_lo
	v_cmp_gt_u32_e32 vcc_lo, 30, v6
	ds_bpermute_b32 v5, v2, v4
	v_add_lshl_u32 v3, v3, v6, 2
	s_wait_dscnt 0x0
	v_add_f32_e32 v5, v4, v5
	v_cndmask_b32_e64 v4, 0, 2, vcc_lo
	v_cmp_ne_u32_e32 vcc_lo, 31, v6
	ds_bpermute_b32 v7, v3, v5
	v_add_lshl_u32 v4, v4, v6, 2
	v_add_co_ci_u32_e64 v8, null, 0, v6, vcc_lo
	s_wait_dscnt 0x0
	v_add_f32_e32 v5, v5, v7
	ds_bpermute_b32 v7, v4, v5
	s_wait_dscnt 0x0
	v_dual_add_f32 v6, v5, v7 :: v_dual_lshlrev_b32 v5, 2, v8
	v_and_b32_e32 v7, 31, v0
	ds_bpermute_b32 v8, v5, v6
	v_cmpx_eq_u32_e32 0, v7
	s_cbranch_execz .LBB68_21
; %bb.20:
	v_lshrrev_b32_e32 v9, 3, v0
	s_wait_dscnt 0x0
	v_add_f32_e32 v6, v6, v8
	ds_store_b32 v9, v6
.LBB68_21:
	s_or_b32 exec_lo, exec_lo, s2
	s_wait_dscnt 0x0
	s_barrier_signal -1
	s_barrier_wait -1
	s_load_b32 s2, s[0:1], 0xd4c
	v_mov_b32_e32 v6, 0
	s_wait_kmcnt 0x0
	s_bfe_u32 s2, s2, 0xb0005
	s_delay_alu instid0(SALU_CYCLE_1)
	v_cmp_gt_u32_e32 vcc_lo, s2, v0
	s_and_saveexec_b32 s2, vcc_lo
; %bb.22:
	v_lshlrev_b32_e32 v6, 2, v7
	ds_load_b32 v6, v6
; %bb.23:
	s_or_b32 exec_lo, exec_lo, s2
	s_delay_alu instid0(SALU_CYCLE_1)
	s_mov_b32 s2, exec_lo
	v_cmpx_gt_u32_e32 32, v0
	s_cbranch_execz .LBB68_25
; %bb.24:
	s_wait_dscnt 0x0
	ds_bpermute_b32 v1, v1, v6
	s_wait_dscnt 0x0
	v_add_f32_e32 v1, v6, v1
	ds_bpermute_b32 v2, v2, v1
	s_wait_dscnt 0x0
	v_add_f32_e32 v1, v1, v2
	;; [unrolled: 3-line block ×5, first 2 shown]
.LBB68_25:
	s_or_b32 exec_lo, exec_lo, s2
	s_delay_alu instid0(SALU_CYCLE_1)
	s_mov_b32 s2, exec_lo
	v_cmpx_eq_u32_e32 0, v0
	s_cbranch_execz .LBB68_27
; %bb.26:
	s_clause 0x1
	s_load_b32 s2, s[0:1], 0xd20
	s_load_b96 s[8:10], s[0:1], 0xd30
	v_and_b32_e32 v0, 0xff, v13
	s_wait_kmcnt 0x0
	s_delay_alu instid0(VALU_DEP_1) | instskip(NEXT) | instid1(VALU_DEP_1)
	v_add_nc_u32_e32 v0, s2, v0
	v_mul_lo_u32 v0, v0, s10
	s_delay_alu instid0(VALU_DEP_1)
	v_add_nc_u32_e32 v0, s4, v0
	s_wait_dscnt 0x0
	global_store_b32 v0, v6, s[8:9] scale_offset
.LBB68_27:
	s_endpgm
.LBB68_28:
	v_mov_b32_e32 v2, 0
	s_delay_alu instid0(VALU_DEP_1)
	v_dual_mov_b32 v3, v2 :: v_dual_mov_b32 v4, v2
	v_mov_b32_e32 v5, v2
	s_and_not1_b32 vcc_lo, exec_lo, s3
	s_cbranch_vccz .LBB68_14
	s_branch .LBB68_19
	.section	.rodata,"a",@progbits
	.p2align	6, 0x0
	.amdhsa_kernel _ZN2at6native12_GLOBAL__N_125multi_tensor_apply_kernelINS1_18TensorListMetadataILi1EEENS0_13LpNormFunctorIfLNS0_8NormTypeE0EN3c104HalfELi1ELi1ELi0EEEJPfiEEEvT_T0_DpT1_
		.amdhsa_group_segment_fixed_size 2048
		.amdhsa_private_segment_fixed_size 0
		.amdhsa_kernarg_size 3648
		.amdhsa_user_sgpr_count 2
		.amdhsa_user_sgpr_dispatch_ptr 0
		.amdhsa_user_sgpr_queue_ptr 0
		.amdhsa_user_sgpr_kernarg_segment_ptr 1
		.amdhsa_user_sgpr_dispatch_id 0
		.amdhsa_user_sgpr_kernarg_preload_length 0
		.amdhsa_user_sgpr_kernarg_preload_offset 0
		.amdhsa_user_sgpr_private_segment_size 0
		.amdhsa_wavefront_size32 1
		.amdhsa_uses_dynamic_stack 0
		.amdhsa_enable_private_segment 0
		.amdhsa_system_sgpr_workgroup_id_x 1
		.amdhsa_system_sgpr_workgroup_id_y 0
		.amdhsa_system_sgpr_workgroup_id_z 0
		.amdhsa_system_sgpr_workgroup_info 0
		.amdhsa_system_vgpr_workitem_id 0
		.amdhsa_next_free_vgpr 20
		.amdhsa_next_free_sgpr 14
		.amdhsa_named_barrier_count 0
		.amdhsa_reserve_vcc 1
		.amdhsa_float_round_mode_32 0
		.amdhsa_float_round_mode_16_64 0
		.amdhsa_float_denorm_mode_32 3
		.amdhsa_float_denorm_mode_16_64 3
		.amdhsa_fp16_overflow 0
		.amdhsa_memory_ordered 1
		.amdhsa_forward_progress 1
		.amdhsa_inst_pref_size 12
		.amdhsa_round_robin_scheduling 0
		.amdhsa_exception_fp_ieee_invalid_op 0
		.amdhsa_exception_fp_denorm_src 0
		.amdhsa_exception_fp_ieee_div_zero 0
		.amdhsa_exception_fp_ieee_overflow 0
		.amdhsa_exception_fp_ieee_underflow 0
		.amdhsa_exception_fp_ieee_inexact 0
		.amdhsa_exception_int_div_zero 0
	.end_amdhsa_kernel
	.section	.text._ZN2at6native12_GLOBAL__N_125multi_tensor_apply_kernelINS1_18TensorListMetadataILi1EEENS0_13LpNormFunctorIfLNS0_8NormTypeE0EN3c104HalfELi1ELi1ELi0EEEJPfiEEEvT_T0_DpT1_,"axG",@progbits,_ZN2at6native12_GLOBAL__N_125multi_tensor_apply_kernelINS1_18TensorListMetadataILi1EEENS0_13LpNormFunctorIfLNS0_8NormTypeE0EN3c104HalfELi1ELi1ELi0EEEJPfiEEEvT_T0_DpT1_,comdat
.Lfunc_end68:
	.size	_ZN2at6native12_GLOBAL__N_125multi_tensor_apply_kernelINS1_18TensorListMetadataILi1EEENS0_13LpNormFunctorIfLNS0_8NormTypeE0EN3c104HalfELi1ELi1ELi0EEEJPfiEEEvT_T0_DpT1_, .Lfunc_end68-_ZN2at6native12_GLOBAL__N_125multi_tensor_apply_kernelINS1_18TensorListMetadataILi1EEENS0_13LpNormFunctorIfLNS0_8NormTypeE0EN3c104HalfELi1ELi1ELi0EEEJPfiEEEvT_T0_DpT1_
                                        ; -- End function
	.set _ZN2at6native12_GLOBAL__N_125multi_tensor_apply_kernelINS1_18TensorListMetadataILi1EEENS0_13LpNormFunctorIfLNS0_8NormTypeE0EN3c104HalfELi1ELi1ELi0EEEJPfiEEEvT_T0_DpT1_.num_vgpr, 20
	.set _ZN2at6native12_GLOBAL__N_125multi_tensor_apply_kernelINS1_18TensorListMetadataILi1EEENS0_13LpNormFunctorIfLNS0_8NormTypeE0EN3c104HalfELi1ELi1ELi0EEEJPfiEEEvT_T0_DpT1_.num_agpr, 0
	.set _ZN2at6native12_GLOBAL__N_125multi_tensor_apply_kernelINS1_18TensorListMetadataILi1EEENS0_13LpNormFunctorIfLNS0_8NormTypeE0EN3c104HalfELi1ELi1ELi0EEEJPfiEEEvT_T0_DpT1_.numbered_sgpr, 14
	.set _ZN2at6native12_GLOBAL__N_125multi_tensor_apply_kernelINS1_18TensorListMetadataILi1EEENS0_13LpNormFunctorIfLNS0_8NormTypeE0EN3c104HalfELi1ELi1ELi0EEEJPfiEEEvT_T0_DpT1_.num_named_barrier, 0
	.set _ZN2at6native12_GLOBAL__N_125multi_tensor_apply_kernelINS1_18TensorListMetadataILi1EEENS0_13LpNormFunctorIfLNS0_8NormTypeE0EN3c104HalfELi1ELi1ELi0EEEJPfiEEEvT_T0_DpT1_.private_seg_size, 0
	.set _ZN2at6native12_GLOBAL__N_125multi_tensor_apply_kernelINS1_18TensorListMetadataILi1EEENS0_13LpNormFunctorIfLNS0_8NormTypeE0EN3c104HalfELi1ELi1ELi0EEEJPfiEEEvT_T0_DpT1_.uses_vcc, 1
	.set _ZN2at6native12_GLOBAL__N_125multi_tensor_apply_kernelINS1_18TensorListMetadataILi1EEENS0_13LpNormFunctorIfLNS0_8NormTypeE0EN3c104HalfELi1ELi1ELi0EEEJPfiEEEvT_T0_DpT1_.uses_flat_scratch, 0
	.set _ZN2at6native12_GLOBAL__N_125multi_tensor_apply_kernelINS1_18TensorListMetadataILi1EEENS0_13LpNormFunctorIfLNS0_8NormTypeE0EN3c104HalfELi1ELi1ELi0EEEJPfiEEEvT_T0_DpT1_.has_dyn_sized_stack, 0
	.set _ZN2at6native12_GLOBAL__N_125multi_tensor_apply_kernelINS1_18TensorListMetadataILi1EEENS0_13LpNormFunctorIfLNS0_8NormTypeE0EN3c104HalfELi1ELi1ELi0EEEJPfiEEEvT_T0_DpT1_.has_recursion, 0
	.set _ZN2at6native12_GLOBAL__N_125multi_tensor_apply_kernelINS1_18TensorListMetadataILi1EEENS0_13LpNormFunctorIfLNS0_8NormTypeE0EN3c104HalfELi1ELi1ELi0EEEJPfiEEEvT_T0_DpT1_.has_indirect_call, 0
	.section	.AMDGPU.csdata,"",@progbits
; Kernel info:
; codeLenInByte = 1484
; TotalNumSgprs: 16
; NumVgprs: 20
; ScratchSize: 0
; MemoryBound: 0
; FloatMode: 240
; IeeeMode: 1
; LDSByteSize: 2048 bytes/workgroup (compile time only)
; SGPRBlocks: 0
; VGPRBlocks: 1
; NumSGPRsForWavesPerEU: 16
; NumVGPRsForWavesPerEU: 20
; NamedBarCnt: 0
; Occupancy: 16
; WaveLimiterHint : 0
; COMPUTE_PGM_RSRC2:SCRATCH_EN: 0
; COMPUTE_PGM_RSRC2:USER_SGPR: 2
; COMPUTE_PGM_RSRC2:TRAP_HANDLER: 0
; COMPUTE_PGM_RSRC2:TGID_X_EN: 1
; COMPUTE_PGM_RSRC2:TGID_Y_EN: 0
; COMPUTE_PGM_RSRC2:TGID_Z_EN: 0
; COMPUTE_PGM_RSRC2:TIDIG_COMP_CNT: 0
	.section	.text._ZN2at6native12_GLOBAL__N_125multi_tensor_apply_kernelINS1_18TensorListMetadataILi1EEENS0_13LpNormFunctorIfLNS0_8NormTypeE1EN3c104HalfELi1ELi1ELi0EEEJPfiEEEvT_T0_DpT1_,"axG",@progbits,_ZN2at6native12_GLOBAL__N_125multi_tensor_apply_kernelINS1_18TensorListMetadataILi1EEENS0_13LpNormFunctorIfLNS0_8NormTypeE1EN3c104HalfELi1ELi1ELi0EEEJPfiEEEvT_T0_DpT1_,comdat
	.globl	_ZN2at6native12_GLOBAL__N_125multi_tensor_apply_kernelINS1_18TensorListMetadataILi1EEENS0_13LpNormFunctorIfLNS0_8NormTypeE1EN3c104HalfELi1ELi1ELi0EEEJPfiEEEvT_T0_DpT1_ ; -- Begin function _ZN2at6native12_GLOBAL__N_125multi_tensor_apply_kernelINS1_18TensorListMetadataILi1EEENS0_13LpNormFunctorIfLNS0_8NormTypeE1EN3c104HalfELi1ELi1ELi0EEEJPfiEEEvT_T0_DpT1_
	.p2align	8
	.type	_ZN2at6native12_GLOBAL__N_125multi_tensor_apply_kernelINS1_18TensorListMetadataILi1EEENS0_13LpNormFunctorIfLNS0_8NormTypeE1EN3c104HalfELi1ELi1ELi0EEEJPfiEEEvT_T0_DpT1_,@function
_ZN2at6native12_GLOBAL__N_125multi_tensor_apply_kernelINS1_18TensorListMetadataILi1EEENS0_13LpNormFunctorIfLNS0_8NormTypeE1EN3c104HalfELi1ELi1ELi0EEEJPfiEEEvT_T0_DpT1_: ; @_ZN2at6native12_GLOBAL__N_125multi_tensor_apply_kernelINS1_18TensorListMetadataILi1EEENS0_13LpNormFunctorIfLNS0_8NormTypeE1EN3c104HalfELi1ELi1ELi0EEEJPfiEEEvT_T0_DpT1_
; %bb.0:
	s_bfe_u32 s2, ttmp6, 0x4000c
	s_and_b32 s3, ttmp6, 15
	s_add_co_i32 s2, s2, 1
	s_getreg_b32 s4, hwreg(HW_REG_IB_STS2, 6, 4)
	s_mul_i32 s2, ttmp9, s2
	s_delay_alu instid0(SALU_CYCLE_1)
	s_add_co_i32 s3, s3, s2
	s_cmp_eq_u32 s4, 0
	s_cselect_b32 s2, ttmp9, s3
	s_mov_b32 s3, 0
	v_mov_b32_e32 v1, s2
	s_add_nc_u64 s[4:5], s[0:1], s[2:3]
	s_mul_u64 s[6:7], s[2:3], 3
	s_delay_alu instid0(SALU_CYCLE_1) | instskip(SKIP_4) | instid1(SALU_CYCLE_1)
	s_add_nc_u64 s[4:5], s[4:5], s[6:7]
	global_load_u8 v13, v1, s[0:1] offset:1760
	s_load_b32 s4, s[4:5], 0x820
	s_wait_kmcnt 0x0
	s_ashr_i32 s5, s4, 31
	s_lshl_b64 s[10:11], s[4:5], 18
	s_lshl_b64 s[12:13], s[4:5], 16
	s_wait_loadcnt 0x0
	v_readfirstlane_b32 s2, v13
	s_and_b32 s2, s2, 0xff
	s_clause 0x1
	s_load_b64 s[6:7], s[0:1], s2 offset:0x0 scale_offset
	s_load_b64 s[8:9], s[0:1], s2 offset:0x370 scale_offset
	s_wait_kmcnt 0x0
	s_add_nc_u64 s[6:7], s[6:7], s[10:11]
	s_and_b32 s2, s8, 3
	s_and_b64 s[10:11], s[6:7], 15
	s_sub_nc_u64 s[8:9], s[8:9], s[12:13]
	s_or_b64 s[10:11], s[2:3], s[10:11]
	s_delay_alu instid0(SALU_CYCLE_1)
	s_cmp_eq_u64 s[10:11], 0
	s_cbranch_scc1 .LBB69_12
; %bb.1:
	v_cmp_lt_i64_e64 s2, s[8:9], 1
	s_and_b32 vcc_lo, exec_lo, s2
	s_cbranch_vccnz .LBB69_28
; %bb.2:
	s_load_b32 s2, s[0:1], 0xd4c
	v_min_i64 v[10:11], 0x10000, s[8:9]
	s_mov_b32 s11, 0
	s_mov_b64 s[12:13], 0
	s_wait_kmcnt 0x0
	s_and_b32 s2, s2, 0xffff
	s_delay_alu instid0(SALU_CYCLE_1) | instskip(SKIP_3) | instid1(VALU_DEP_3)
	v_dual_mov_b32 v7, 0 :: v_dual_add_nc_u32 v16, s2, v0
	v_mad_u32 v12, s2, 3, v0
	v_lshl_add_u32 v14, s2, 1, v0
	s_lshl_b32 s10, s2, 2
	v_dual_mov_b32 v6, v7 :: v_dual_mov_b32 v8, v7
	v_mov_b32_e32 v9, v7
	s_delay_alu instid0(VALU_DEP_2) | instskip(NEXT) | instid1(VALU_DEP_2)
	v_mov_b64_e32 v[2:3], v[6:7]
	v_mov_b64_e32 v[4:5], v[8:9]
	s_branch .LBB69_4
.LBB69_3:                               ;   in Loop: Header=BB69_4 Depth=1
	s_or_b32 exec_lo, exec_lo, s2
	s_add_nc_u64 s[12:13], s[12:13], s[10:11]
	s_delay_alu instid0(SALU_CYCLE_1)
	v_cmp_lt_i64_e32 vcc_lo, s[12:13], v[10:11]
	s_cbranch_vccz .LBB69_13
.LBB69_4:                               ; =>This Inner Loop Header: Depth=1
	v_add_nc_u32_e32 v6, s12, v0
	s_delay_alu instid0(VALU_DEP_1) | instskip(SKIP_2) | instid1(SALU_CYCLE_1)
	v_cmp_gt_i64_e32 vcc_lo, s[8:9], v[6:7]
	v_cmp_gt_u32_e64 s2, 0x10000, v6
	s_and_b32 s5, s2, vcc_lo
	s_and_saveexec_b32 s2, s5
	s_cbranch_execz .LBB69_6
; %bb.5:                                ;   in Loop: Header=BB69_4 Depth=1
	v_lshl_add_u64 v[8:9], v[6:7], 2, s[6:7]
	global_load_b32 v1, v[8:9], off
	s_wait_loadcnt 0x0
	v_add_f32_e64 v2, v2, |v1|
.LBB69_6:                               ;   in Loop: Header=BB69_4 Depth=1
	s_or_b32 exec_lo, exec_lo, s2
	v_add_nc_u32_e32 v6, s12, v16
	s_delay_alu instid0(VALU_DEP_1) | instskip(SKIP_2) | instid1(SALU_CYCLE_1)
	v_cmp_gt_i64_e32 vcc_lo, s[8:9], v[6:7]
	v_cmp_gt_u32_e64 s2, 0x10000, v6
	s_and_b32 s5, s2, vcc_lo
	s_and_saveexec_b32 s2, s5
	s_cbranch_execz .LBB69_8
; %bb.7:                                ;   in Loop: Header=BB69_4 Depth=1
	v_lshl_add_u64 v[8:9], v[6:7], 2, s[6:7]
	global_load_b32 v1, v[8:9], off
	s_wait_loadcnt 0x0
	v_add_f32_e64 v3, v3, |v1|
.LBB69_8:                               ;   in Loop: Header=BB69_4 Depth=1
	s_or_b32 exec_lo, exec_lo, s2
	v_add_nc_u32_e32 v6, s12, v14
	s_delay_alu instid0(VALU_DEP_1) | instskip(SKIP_2) | instid1(SALU_CYCLE_1)
	v_cmp_gt_i64_e32 vcc_lo, s[8:9], v[6:7]
	v_cmp_gt_u32_e64 s2, 0x10000, v6
	s_and_b32 s5, s2, vcc_lo
	s_and_saveexec_b32 s2, s5
	s_cbranch_execz .LBB69_10
; %bb.9:                                ;   in Loop: Header=BB69_4 Depth=1
	v_lshl_add_u64 v[8:9], v[6:7], 2, s[6:7]
	global_load_b32 v1, v[8:9], off
	s_wait_loadcnt 0x0
	v_add_f32_e64 v4, v4, |v1|
.LBB69_10:                              ;   in Loop: Header=BB69_4 Depth=1
	s_or_b32 exec_lo, exec_lo, s2
	v_add_nc_u32_e32 v6, s12, v12
	s_delay_alu instid0(VALU_DEP_1) | instskip(SKIP_2) | instid1(SALU_CYCLE_1)
	v_cmp_gt_i64_e32 vcc_lo, s[8:9], v[6:7]
	v_cmp_gt_u32_e64 s2, 0x10000, v6
	s_and_b32 s5, s2, vcc_lo
	s_and_saveexec_b32 s2, s5
	s_cbranch_execz .LBB69_3
; %bb.11:                               ;   in Loop: Header=BB69_4 Depth=1
	v_lshl_add_u64 v[8:9], v[6:7], 2, s[6:7]
	global_load_b32 v1, v[8:9], off
	s_wait_loadcnt 0x0
	v_add_f32_e64 v5, v5, |v1|
	s_branch .LBB69_3
.LBB69_12:
	s_mov_b32 s3, -1
                                        ; implicit-def: $vgpr2_vgpr3_vgpr4_vgpr5
.LBB69_13:
	s_delay_alu instid0(SALU_CYCLE_1)
	s_and_not1_b32 vcc_lo, exec_lo, s3
	s_cbranch_vccnz .LBB69_19
.LBB69_14:
	v_min_i64 v[6:7], 0x10000, s[8:9]
	v_dual_mov_b32 v2, 0 :: v_dual_lshlrev_b32 v4, 2, v0
	s_mov_b32 s3, 0
	s_delay_alu instid0(VALU_DEP_1) | instskip(NEXT) | instid1(VALU_DEP_1)
	v_dual_mov_b32 v5, v2 :: v_dual_mov_b32 v3, v2
	v_cmp_lt_i64_e32 vcc_lo, v[4:5], v[6:7]
	v_mov_b32_e32 v4, v2
	s_and_saveexec_b32 s5, vcc_lo
	s_cbranch_execz .LBB69_18
; %bb.15:
	s_load_b32 s2, s[0:1], 0xd4c
	v_dual_mov_b32 v5, v2 :: v_dual_lshlrev_b32 v4, 4, v0
	v_dual_mov_b32 v1, v2 :: v_dual_mov_b32 v3, v2
	s_mov_b32 s8, s3
	s_delay_alu instid0(VALU_DEP_2) | instskip(NEXT) | instid1(VALU_DEP_2)
	v_add_nc_u64_e32 v[8:9], s[6:7], v[4:5]
	v_mov_b64_e32 v[10:11], v[0:1]
	v_mov_b32_e32 v4, v2
	s_mov_b32 s7, s3
	s_delay_alu instid0(VALU_DEP_3) | instskip(SKIP_2) | instid1(SALU_CYCLE_1)
	v_add_nc_u64_e32 v[8:9], 8, v[8:9]
	s_wait_kmcnt 0x0
	s_and_b32 s2, s2, 0xffff
	s_lshl_b32 s6, s2, 4
.LBB69_16:                              ; =>This Inner Loop Header: Depth=1
	global_load_b128 v[14:17], v[8:9], off offset:-8
	v_add_nc_u64_e32 v[10:11], s[2:3], v[10:11]
	s_wait_xcnt 0x0
	v_add_nc_u64_e32 v[8:9], s[6:7], v[8:9]
	s_delay_alu instid0(VALU_DEP_2) | instskip(NEXT) | instid1(VALU_DEP_1)
	v_lshlrev_b64_e32 v[18:19], 2, v[10:11]
	v_cmp_ge_i64_e32 vcc_lo, v[18:19], v[6:7]
	s_or_b32 s8, vcc_lo, s8
	s_wait_loadcnt 0x0
	v_and_b32_e32 v15, 0x7fffffff, v15
	v_and_b32_e32 v17, 0x7fffffff, v17
	;; [unrolled: 1-line block ×4, first 2 shown]
	s_delay_alu instid0(VALU_DEP_2) | instskip(NEXT) | instid1(VALU_DEP_2)
	v_pk_add_f32 v[4:5], v[4:5], v[16:17]
	v_pk_add_f32 v[2:3], v[2:3], v[14:15]
	s_and_not1_b32 exec_lo, exec_lo, s8
	s_cbranch_execnz .LBB69_16
; %bb.17:
	s_or_b32 exec_lo, exec_lo, s8
.LBB69_18:
	s_delay_alu instid0(SALU_CYCLE_1)
	s_or_b32 exec_lo, exec_lo, s5
.LBB69_19:
	v_add_f32_e32 v1, 0, v2
	v_mbcnt_lo_u32_b32 v6, -1, 0
	s_mov_b32 s2, exec_lo
	s_barrier_signal -1
	s_delay_alu instid0(VALU_DEP_2) | instskip(NEXT) | instid1(VALU_DEP_2)
	v_add_f32_e32 v1, v3, v1
	v_cmp_gt_u32_e32 vcc_lo, 24, v6
	s_barrier_wait -1
	s_delay_alu instid0(VALU_DEP_2) | instskip(SKIP_1) | instid1(VALU_DEP_2)
	v_add_f32_e32 v2, v4, v1
	v_lshl_or_b32 v1, v6, 2, 64
	v_add_f32_e32 v3, v5, v2
	v_cndmask_b32_e64 v2, 0, 8, vcc_lo
	v_cmp_gt_u32_e32 vcc_lo, 28, v6
	ds_bpermute_b32 v4, v1, v3
	v_add_lshl_u32 v2, v2, v6, 2
	s_wait_dscnt 0x0
	v_add_f32_e32 v4, v3, v4
	v_cndmask_b32_e64 v3, 0, 4, vcc_lo
	v_cmp_gt_u32_e32 vcc_lo, 30, v6
	ds_bpermute_b32 v5, v2, v4
	v_add_lshl_u32 v3, v3, v6, 2
	s_wait_dscnt 0x0
	v_add_f32_e32 v5, v4, v5
	v_cndmask_b32_e64 v4, 0, 2, vcc_lo
	v_cmp_ne_u32_e32 vcc_lo, 31, v6
	ds_bpermute_b32 v7, v3, v5
	v_add_lshl_u32 v4, v4, v6, 2
	v_add_co_ci_u32_e64 v8, null, 0, v6, vcc_lo
	s_wait_dscnt 0x0
	v_add_f32_e32 v5, v5, v7
	ds_bpermute_b32 v7, v4, v5
	s_wait_dscnt 0x0
	v_dual_add_f32 v6, v5, v7 :: v_dual_lshlrev_b32 v5, 2, v8
	v_and_b32_e32 v7, 31, v0
	ds_bpermute_b32 v8, v5, v6
	v_cmpx_eq_u32_e32 0, v7
	s_cbranch_execz .LBB69_21
; %bb.20:
	v_lshrrev_b32_e32 v9, 3, v0
	s_wait_dscnt 0x0
	v_add_f32_e32 v6, v6, v8
	ds_store_b32 v9, v6
.LBB69_21:
	s_or_b32 exec_lo, exec_lo, s2
	s_wait_dscnt 0x0
	s_barrier_signal -1
	s_barrier_wait -1
	s_load_b32 s2, s[0:1], 0xd4c
	v_mov_b32_e32 v6, 0
	s_wait_kmcnt 0x0
	s_bfe_u32 s2, s2, 0xb0005
	s_delay_alu instid0(SALU_CYCLE_1)
	v_cmp_gt_u32_e32 vcc_lo, s2, v0
	s_and_saveexec_b32 s2, vcc_lo
; %bb.22:
	v_lshlrev_b32_e32 v6, 2, v7
	ds_load_b32 v6, v6
; %bb.23:
	s_or_b32 exec_lo, exec_lo, s2
	s_delay_alu instid0(SALU_CYCLE_1)
	s_mov_b32 s2, exec_lo
	v_cmpx_gt_u32_e32 32, v0
	s_cbranch_execz .LBB69_25
; %bb.24:
	s_wait_dscnt 0x0
	ds_bpermute_b32 v1, v1, v6
	s_wait_dscnt 0x0
	v_add_f32_e32 v1, v6, v1
	ds_bpermute_b32 v2, v2, v1
	s_wait_dscnt 0x0
	v_add_f32_e32 v1, v1, v2
	;; [unrolled: 3-line block ×5, first 2 shown]
.LBB69_25:
	s_or_b32 exec_lo, exec_lo, s2
	s_delay_alu instid0(SALU_CYCLE_1)
	s_mov_b32 s2, exec_lo
	v_cmpx_eq_u32_e32 0, v0
	s_cbranch_execz .LBB69_27
; %bb.26:
	s_clause 0x1
	s_load_b32 s2, s[0:1], 0xd20
	s_load_b96 s[8:10], s[0:1], 0xd30
	v_and_b32_e32 v0, 0xff, v13
	s_wait_kmcnt 0x0
	s_delay_alu instid0(VALU_DEP_1) | instskip(NEXT) | instid1(VALU_DEP_1)
	v_add_nc_u32_e32 v0, s2, v0
	v_mul_lo_u32 v0, v0, s10
	s_delay_alu instid0(VALU_DEP_1)
	v_add_nc_u32_e32 v0, s4, v0
	s_wait_dscnt 0x0
	global_store_b32 v0, v6, s[8:9] scale_offset
.LBB69_27:
	s_endpgm
.LBB69_28:
	v_mov_b32_e32 v2, 0
	s_delay_alu instid0(VALU_DEP_1)
	v_dual_mov_b32 v3, v2 :: v_dual_mov_b32 v4, v2
	v_mov_b32_e32 v5, v2
	s_and_not1_b32 vcc_lo, exec_lo, s3
	s_cbranch_vccz .LBB69_14
	s_branch .LBB69_19
	.section	.rodata,"a",@progbits
	.p2align	6, 0x0
	.amdhsa_kernel _ZN2at6native12_GLOBAL__N_125multi_tensor_apply_kernelINS1_18TensorListMetadataILi1EEENS0_13LpNormFunctorIfLNS0_8NormTypeE1EN3c104HalfELi1ELi1ELi0EEEJPfiEEEvT_T0_DpT1_
		.amdhsa_group_segment_fixed_size 2048
		.amdhsa_private_segment_fixed_size 0
		.amdhsa_kernarg_size 3648
		.amdhsa_user_sgpr_count 2
		.amdhsa_user_sgpr_dispatch_ptr 0
		.amdhsa_user_sgpr_queue_ptr 0
		.amdhsa_user_sgpr_kernarg_segment_ptr 1
		.amdhsa_user_sgpr_dispatch_id 0
		.amdhsa_user_sgpr_kernarg_preload_length 0
		.amdhsa_user_sgpr_kernarg_preload_offset 0
		.amdhsa_user_sgpr_private_segment_size 0
		.amdhsa_wavefront_size32 1
		.amdhsa_uses_dynamic_stack 0
		.amdhsa_enable_private_segment 0
		.amdhsa_system_sgpr_workgroup_id_x 1
		.amdhsa_system_sgpr_workgroup_id_y 0
		.amdhsa_system_sgpr_workgroup_id_z 0
		.amdhsa_system_sgpr_workgroup_info 0
		.amdhsa_system_vgpr_workitem_id 0
		.amdhsa_next_free_vgpr 20
		.amdhsa_next_free_sgpr 14
		.amdhsa_named_barrier_count 0
		.amdhsa_reserve_vcc 1
		.amdhsa_float_round_mode_32 0
		.amdhsa_float_round_mode_16_64 0
		.amdhsa_float_denorm_mode_32 3
		.amdhsa_float_denorm_mode_16_64 3
		.amdhsa_fp16_overflow 0
		.amdhsa_memory_ordered 1
		.amdhsa_forward_progress 1
		.amdhsa_inst_pref_size 11
		.amdhsa_round_robin_scheduling 0
		.amdhsa_exception_fp_ieee_invalid_op 0
		.amdhsa_exception_fp_denorm_src 0
		.amdhsa_exception_fp_ieee_div_zero 0
		.amdhsa_exception_fp_ieee_overflow 0
		.amdhsa_exception_fp_ieee_underflow 0
		.amdhsa_exception_fp_ieee_inexact 0
		.amdhsa_exception_int_div_zero 0
	.end_amdhsa_kernel
	.section	.text._ZN2at6native12_GLOBAL__N_125multi_tensor_apply_kernelINS1_18TensorListMetadataILi1EEENS0_13LpNormFunctorIfLNS0_8NormTypeE1EN3c104HalfELi1ELi1ELi0EEEJPfiEEEvT_T0_DpT1_,"axG",@progbits,_ZN2at6native12_GLOBAL__N_125multi_tensor_apply_kernelINS1_18TensorListMetadataILi1EEENS0_13LpNormFunctorIfLNS0_8NormTypeE1EN3c104HalfELi1ELi1ELi0EEEJPfiEEEvT_T0_DpT1_,comdat
.Lfunc_end69:
	.size	_ZN2at6native12_GLOBAL__N_125multi_tensor_apply_kernelINS1_18TensorListMetadataILi1EEENS0_13LpNormFunctorIfLNS0_8NormTypeE1EN3c104HalfELi1ELi1ELi0EEEJPfiEEEvT_T0_DpT1_, .Lfunc_end69-_ZN2at6native12_GLOBAL__N_125multi_tensor_apply_kernelINS1_18TensorListMetadataILi1EEENS0_13LpNormFunctorIfLNS0_8NormTypeE1EN3c104HalfELi1ELi1ELi0EEEJPfiEEEvT_T0_DpT1_
                                        ; -- End function
	.set _ZN2at6native12_GLOBAL__N_125multi_tensor_apply_kernelINS1_18TensorListMetadataILi1EEENS0_13LpNormFunctorIfLNS0_8NormTypeE1EN3c104HalfELi1ELi1ELi0EEEJPfiEEEvT_T0_DpT1_.num_vgpr, 20
	.set _ZN2at6native12_GLOBAL__N_125multi_tensor_apply_kernelINS1_18TensorListMetadataILi1EEENS0_13LpNormFunctorIfLNS0_8NormTypeE1EN3c104HalfELi1ELi1ELi0EEEJPfiEEEvT_T0_DpT1_.num_agpr, 0
	.set _ZN2at6native12_GLOBAL__N_125multi_tensor_apply_kernelINS1_18TensorListMetadataILi1EEENS0_13LpNormFunctorIfLNS0_8NormTypeE1EN3c104HalfELi1ELi1ELi0EEEJPfiEEEvT_T0_DpT1_.numbered_sgpr, 14
	.set _ZN2at6native12_GLOBAL__N_125multi_tensor_apply_kernelINS1_18TensorListMetadataILi1EEENS0_13LpNormFunctorIfLNS0_8NormTypeE1EN3c104HalfELi1ELi1ELi0EEEJPfiEEEvT_T0_DpT1_.num_named_barrier, 0
	.set _ZN2at6native12_GLOBAL__N_125multi_tensor_apply_kernelINS1_18TensorListMetadataILi1EEENS0_13LpNormFunctorIfLNS0_8NormTypeE1EN3c104HalfELi1ELi1ELi0EEEJPfiEEEvT_T0_DpT1_.private_seg_size, 0
	.set _ZN2at6native12_GLOBAL__N_125multi_tensor_apply_kernelINS1_18TensorListMetadataILi1EEENS0_13LpNormFunctorIfLNS0_8NormTypeE1EN3c104HalfELi1ELi1ELi0EEEJPfiEEEvT_T0_DpT1_.uses_vcc, 1
	.set _ZN2at6native12_GLOBAL__N_125multi_tensor_apply_kernelINS1_18TensorListMetadataILi1EEENS0_13LpNormFunctorIfLNS0_8NormTypeE1EN3c104HalfELi1ELi1ELi0EEEJPfiEEEvT_T0_DpT1_.uses_flat_scratch, 0
	.set _ZN2at6native12_GLOBAL__N_125multi_tensor_apply_kernelINS1_18TensorListMetadataILi1EEENS0_13LpNormFunctorIfLNS0_8NormTypeE1EN3c104HalfELi1ELi1ELi0EEEJPfiEEEvT_T0_DpT1_.has_dyn_sized_stack, 0
	.set _ZN2at6native12_GLOBAL__N_125multi_tensor_apply_kernelINS1_18TensorListMetadataILi1EEENS0_13LpNormFunctorIfLNS0_8NormTypeE1EN3c104HalfELi1ELi1ELi0EEEJPfiEEEvT_T0_DpT1_.has_recursion, 0
	.set _ZN2at6native12_GLOBAL__N_125multi_tensor_apply_kernelINS1_18TensorListMetadataILi1EEENS0_13LpNormFunctorIfLNS0_8NormTypeE1EN3c104HalfELi1ELi1ELi0EEEJPfiEEEvT_T0_DpT1_.has_indirect_call, 0
	.section	.AMDGPU.csdata,"",@progbits
; Kernel info:
; codeLenInByte = 1396
; TotalNumSgprs: 16
; NumVgprs: 20
; ScratchSize: 0
; MemoryBound: 0
; FloatMode: 240
; IeeeMode: 1
; LDSByteSize: 2048 bytes/workgroup (compile time only)
; SGPRBlocks: 0
; VGPRBlocks: 1
; NumSGPRsForWavesPerEU: 16
; NumVGPRsForWavesPerEU: 20
; NamedBarCnt: 0
; Occupancy: 16
; WaveLimiterHint : 0
; COMPUTE_PGM_RSRC2:SCRATCH_EN: 0
; COMPUTE_PGM_RSRC2:USER_SGPR: 2
; COMPUTE_PGM_RSRC2:TRAP_HANDLER: 0
; COMPUTE_PGM_RSRC2:TGID_X_EN: 1
; COMPUTE_PGM_RSRC2:TGID_Y_EN: 0
; COMPUTE_PGM_RSRC2:TGID_Z_EN: 0
; COMPUTE_PGM_RSRC2:TIDIG_COMP_CNT: 0
	.section	.text._ZN2at6native12_GLOBAL__N_125multi_tensor_apply_kernelINS1_18TensorListMetadataILi1EEENS0_13LpNormFunctorIfLNS0_8NormTypeE2EN3c104HalfELi1ELi1ELi0EEEJPfiEEEvT_T0_DpT1_,"axG",@progbits,_ZN2at6native12_GLOBAL__N_125multi_tensor_apply_kernelINS1_18TensorListMetadataILi1EEENS0_13LpNormFunctorIfLNS0_8NormTypeE2EN3c104HalfELi1ELi1ELi0EEEJPfiEEEvT_T0_DpT1_,comdat
	.globl	_ZN2at6native12_GLOBAL__N_125multi_tensor_apply_kernelINS1_18TensorListMetadataILi1EEENS0_13LpNormFunctorIfLNS0_8NormTypeE2EN3c104HalfELi1ELi1ELi0EEEJPfiEEEvT_T0_DpT1_ ; -- Begin function _ZN2at6native12_GLOBAL__N_125multi_tensor_apply_kernelINS1_18TensorListMetadataILi1EEENS0_13LpNormFunctorIfLNS0_8NormTypeE2EN3c104HalfELi1ELi1ELi0EEEJPfiEEEvT_T0_DpT1_
	.p2align	8
	.type	_ZN2at6native12_GLOBAL__N_125multi_tensor_apply_kernelINS1_18TensorListMetadataILi1EEENS0_13LpNormFunctorIfLNS0_8NormTypeE2EN3c104HalfELi1ELi1ELi0EEEJPfiEEEvT_T0_DpT1_,@function
_ZN2at6native12_GLOBAL__N_125multi_tensor_apply_kernelINS1_18TensorListMetadataILi1EEENS0_13LpNormFunctorIfLNS0_8NormTypeE2EN3c104HalfELi1ELi1ELi0EEEJPfiEEEvT_T0_DpT1_: ; @_ZN2at6native12_GLOBAL__N_125multi_tensor_apply_kernelINS1_18TensorListMetadataILi1EEENS0_13LpNormFunctorIfLNS0_8NormTypeE2EN3c104HalfELi1ELi1ELi0EEEJPfiEEEvT_T0_DpT1_
; %bb.0:
	s_bfe_u32 s2, ttmp6, 0x4000c
	s_and_b32 s3, ttmp6, 15
	s_add_co_i32 s2, s2, 1
	s_getreg_b32 s4, hwreg(HW_REG_IB_STS2, 6, 4)
	s_mul_i32 s2, ttmp9, s2
	s_delay_alu instid0(SALU_CYCLE_1)
	s_add_co_i32 s3, s3, s2
	s_cmp_eq_u32 s4, 0
	s_cselect_b32 s2, ttmp9, s3
	s_mov_b32 s3, 0
	v_mov_b32_e32 v1, s2
	s_add_nc_u64 s[4:5], s[0:1], s[2:3]
	s_mul_u64 s[6:7], s[2:3], 3
	s_delay_alu instid0(SALU_CYCLE_1) | instskip(SKIP_4) | instid1(SALU_CYCLE_1)
	s_add_nc_u64 s[4:5], s[4:5], s[6:7]
	global_load_u8 v13, v1, s[0:1] offset:1760
	s_load_b32 s4, s[4:5], 0x820
	s_wait_kmcnt 0x0
	s_ashr_i32 s5, s4, 31
	s_lshl_b64 s[10:11], s[4:5], 18
	s_lshl_b64 s[12:13], s[4:5], 16
	s_wait_loadcnt 0x0
	v_readfirstlane_b32 s2, v13
	s_and_b32 s2, s2, 0xff
	s_clause 0x1
	s_load_b64 s[6:7], s[0:1], s2 offset:0x0 scale_offset
	s_load_b64 s[8:9], s[0:1], s2 offset:0x370 scale_offset
	s_wait_kmcnt 0x0
	s_add_nc_u64 s[6:7], s[6:7], s[10:11]
	s_and_b32 s2, s8, 3
	s_and_b64 s[10:11], s[6:7], 15
	s_sub_nc_u64 s[8:9], s[8:9], s[12:13]
	s_or_b64 s[10:11], s[2:3], s[10:11]
	s_delay_alu instid0(SALU_CYCLE_1)
	s_cmp_eq_u64 s[10:11], 0
	s_cbranch_scc1 .LBB70_12
; %bb.1:
	v_cmp_lt_i64_e64 s2, s[8:9], 1
	s_and_b32 vcc_lo, exec_lo, s2
	s_cbranch_vccnz .LBB70_28
; %bb.2:
	s_load_b32 s2, s[0:1], 0xd4c
	v_min_i64 v[10:11], 0x10000, s[8:9]
	s_mov_b32 s11, 0
	s_mov_b64 s[12:13], 0
	s_wait_kmcnt 0x0
	s_and_b32 s2, s2, 0xffff
	s_delay_alu instid0(SALU_CYCLE_1) | instskip(SKIP_3) | instid1(VALU_DEP_3)
	v_dual_mov_b32 v7, 0 :: v_dual_add_nc_u32 v16, s2, v0
	v_mad_u32 v12, s2, 3, v0
	v_lshl_add_u32 v14, s2, 1, v0
	s_lshl_b32 s10, s2, 2
	v_dual_mov_b32 v6, v7 :: v_dual_mov_b32 v8, v7
	v_mov_b32_e32 v9, v7
	s_delay_alu instid0(VALU_DEP_2) | instskip(NEXT) | instid1(VALU_DEP_2)
	v_mov_b64_e32 v[2:3], v[6:7]
	v_mov_b64_e32 v[4:5], v[8:9]
	s_branch .LBB70_4
.LBB70_3:                               ;   in Loop: Header=BB70_4 Depth=1
	s_or_b32 exec_lo, exec_lo, s2
	s_add_nc_u64 s[12:13], s[12:13], s[10:11]
	s_delay_alu instid0(SALU_CYCLE_1)
	v_cmp_lt_i64_e32 vcc_lo, s[12:13], v[10:11]
	s_cbranch_vccz .LBB70_13
.LBB70_4:                               ; =>This Inner Loop Header: Depth=1
	v_add_nc_u32_e32 v6, s12, v0
	s_delay_alu instid0(VALU_DEP_1) | instskip(SKIP_2) | instid1(SALU_CYCLE_1)
	v_cmp_gt_i64_e32 vcc_lo, s[8:9], v[6:7]
	v_cmp_gt_u32_e64 s2, 0x10000, v6
	s_and_b32 s5, s2, vcc_lo
	s_and_saveexec_b32 s2, s5
	s_cbranch_execz .LBB70_6
; %bb.5:                                ;   in Loop: Header=BB70_4 Depth=1
	v_lshl_add_u64 v[8:9], v[6:7], 2, s[6:7]
	global_load_b32 v1, v[8:9], off
	s_wait_loadcnt 0x0
	v_fma_f32 v2, v1, v1, v2
.LBB70_6:                               ;   in Loop: Header=BB70_4 Depth=1
	s_or_b32 exec_lo, exec_lo, s2
	v_add_nc_u32_e32 v6, s12, v16
	s_delay_alu instid0(VALU_DEP_1) | instskip(SKIP_2) | instid1(SALU_CYCLE_1)
	v_cmp_gt_i64_e32 vcc_lo, s[8:9], v[6:7]
	v_cmp_gt_u32_e64 s2, 0x10000, v6
	s_and_b32 s5, s2, vcc_lo
	s_and_saveexec_b32 s2, s5
	s_cbranch_execz .LBB70_8
; %bb.7:                                ;   in Loop: Header=BB70_4 Depth=1
	v_lshl_add_u64 v[8:9], v[6:7], 2, s[6:7]
	global_load_b32 v1, v[8:9], off
	s_wait_loadcnt 0x0
	v_fma_f32 v3, v1, v1, v3
.LBB70_8:                               ;   in Loop: Header=BB70_4 Depth=1
	s_or_b32 exec_lo, exec_lo, s2
	v_add_nc_u32_e32 v6, s12, v14
	s_delay_alu instid0(VALU_DEP_1) | instskip(SKIP_2) | instid1(SALU_CYCLE_1)
	v_cmp_gt_i64_e32 vcc_lo, s[8:9], v[6:7]
	v_cmp_gt_u32_e64 s2, 0x10000, v6
	s_and_b32 s5, s2, vcc_lo
	s_and_saveexec_b32 s2, s5
	s_cbranch_execz .LBB70_10
; %bb.9:                                ;   in Loop: Header=BB70_4 Depth=1
	v_lshl_add_u64 v[8:9], v[6:7], 2, s[6:7]
	global_load_b32 v1, v[8:9], off
	s_wait_loadcnt 0x0
	v_fma_f32 v4, v1, v1, v4
.LBB70_10:                              ;   in Loop: Header=BB70_4 Depth=1
	s_or_b32 exec_lo, exec_lo, s2
	v_add_nc_u32_e32 v6, s12, v12
	s_delay_alu instid0(VALU_DEP_1) | instskip(SKIP_2) | instid1(SALU_CYCLE_1)
	v_cmp_gt_i64_e32 vcc_lo, s[8:9], v[6:7]
	v_cmp_gt_u32_e64 s2, 0x10000, v6
	s_and_b32 s5, s2, vcc_lo
	s_and_saveexec_b32 s2, s5
	s_cbranch_execz .LBB70_3
; %bb.11:                               ;   in Loop: Header=BB70_4 Depth=1
	v_lshl_add_u64 v[8:9], v[6:7], 2, s[6:7]
	global_load_b32 v1, v[8:9], off
	s_wait_loadcnt 0x0
	v_fma_f32 v5, v1, v1, v5
	s_branch .LBB70_3
.LBB70_12:
	s_mov_b32 s3, -1
                                        ; implicit-def: $vgpr2_vgpr3_vgpr4_vgpr5
.LBB70_13:
	s_delay_alu instid0(SALU_CYCLE_1)
	s_and_not1_b32 vcc_lo, exec_lo, s3
	s_cbranch_vccnz .LBB70_19
.LBB70_14:
	v_min_i64 v[6:7], 0x10000, s[8:9]
	v_dual_mov_b32 v2, 0 :: v_dual_lshlrev_b32 v4, 2, v0
	s_mov_b32 s3, 0
	s_delay_alu instid0(VALU_DEP_1) | instskip(NEXT) | instid1(VALU_DEP_1)
	v_dual_mov_b32 v5, v2 :: v_dual_mov_b32 v3, v2
	v_cmp_lt_i64_e32 vcc_lo, v[4:5], v[6:7]
	v_mov_b32_e32 v4, v2
	s_and_saveexec_b32 s5, vcc_lo
	s_cbranch_execz .LBB70_18
; %bb.15:
	s_load_b32 s2, s[0:1], 0xd4c
	v_dual_mov_b32 v5, v2 :: v_dual_lshlrev_b32 v4, 4, v0
	v_dual_mov_b32 v1, v2 :: v_dual_mov_b32 v3, v2
	s_mov_b32 s8, s3
	s_delay_alu instid0(VALU_DEP_2) | instskip(NEXT) | instid1(VALU_DEP_2)
	v_add_nc_u64_e32 v[8:9], s[6:7], v[4:5]
	v_mov_b64_e32 v[10:11], v[0:1]
	v_mov_b32_e32 v4, v2
	s_mov_b32 s7, s3
	s_delay_alu instid0(VALU_DEP_3) | instskip(SKIP_2) | instid1(SALU_CYCLE_1)
	v_add_nc_u64_e32 v[8:9], 8, v[8:9]
	s_wait_kmcnt 0x0
	s_and_b32 s2, s2, 0xffff
	s_lshl_b32 s6, s2, 4
.LBB70_16:                              ; =>This Inner Loop Header: Depth=1
	global_load_b128 v[14:17], v[8:9], off offset:-8
	v_add_nc_u64_e32 v[10:11], s[2:3], v[10:11]
	s_wait_xcnt 0x0
	v_add_nc_u64_e32 v[8:9], s[6:7], v[8:9]
	s_delay_alu instid0(VALU_DEP_2) | instskip(NEXT) | instid1(VALU_DEP_1)
	v_lshlrev_b64_e32 v[18:19], 2, v[10:11]
	v_cmp_ge_i64_e32 vcc_lo, v[18:19], v[6:7]
	s_or_b32 s8, vcc_lo, s8
	s_wait_loadcnt 0x0
	v_pk_fma_f32 v[4:5], v[16:17], v[16:17], v[4:5]
	v_pk_fma_f32 v[2:3], v[14:15], v[14:15], v[2:3]
	s_and_not1_b32 exec_lo, exec_lo, s8
	s_cbranch_execnz .LBB70_16
; %bb.17:
	s_or_b32 exec_lo, exec_lo, s8
.LBB70_18:
	s_delay_alu instid0(SALU_CYCLE_1)
	s_or_b32 exec_lo, exec_lo, s5
.LBB70_19:
	v_add_f32_e32 v1, 0, v2
	v_mbcnt_lo_u32_b32 v6, -1, 0
	s_mov_b32 s2, exec_lo
	s_barrier_signal -1
	s_delay_alu instid0(VALU_DEP_2) | instskip(NEXT) | instid1(VALU_DEP_2)
	v_add_f32_e32 v1, v3, v1
	v_cmp_gt_u32_e32 vcc_lo, 24, v6
	s_barrier_wait -1
	s_delay_alu instid0(VALU_DEP_2) | instskip(SKIP_1) | instid1(VALU_DEP_2)
	v_add_f32_e32 v2, v4, v1
	v_lshl_or_b32 v1, v6, 2, 64
	v_add_f32_e32 v3, v5, v2
	v_cndmask_b32_e64 v2, 0, 8, vcc_lo
	v_cmp_gt_u32_e32 vcc_lo, 28, v6
	ds_bpermute_b32 v4, v1, v3
	v_add_lshl_u32 v2, v2, v6, 2
	s_wait_dscnt 0x0
	v_add_f32_e32 v4, v3, v4
	v_cndmask_b32_e64 v3, 0, 4, vcc_lo
	v_cmp_gt_u32_e32 vcc_lo, 30, v6
	ds_bpermute_b32 v5, v2, v4
	v_add_lshl_u32 v3, v3, v6, 2
	s_wait_dscnt 0x0
	v_add_f32_e32 v5, v4, v5
	v_cndmask_b32_e64 v4, 0, 2, vcc_lo
	v_cmp_ne_u32_e32 vcc_lo, 31, v6
	ds_bpermute_b32 v7, v3, v5
	v_add_lshl_u32 v4, v4, v6, 2
	v_add_co_ci_u32_e64 v8, null, 0, v6, vcc_lo
	s_wait_dscnt 0x0
	v_add_f32_e32 v5, v5, v7
	ds_bpermute_b32 v7, v4, v5
	s_wait_dscnt 0x0
	v_dual_add_f32 v6, v5, v7 :: v_dual_lshlrev_b32 v5, 2, v8
	v_and_b32_e32 v7, 31, v0
	ds_bpermute_b32 v8, v5, v6
	v_cmpx_eq_u32_e32 0, v7
	s_cbranch_execz .LBB70_21
; %bb.20:
	v_lshrrev_b32_e32 v9, 3, v0
	s_wait_dscnt 0x0
	v_add_f32_e32 v6, v6, v8
	ds_store_b32 v9, v6
.LBB70_21:
	s_or_b32 exec_lo, exec_lo, s2
	s_wait_dscnt 0x0
	s_barrier_signal -1
	s_barrier_wait -1
	s_load_b32 s2, s[0:1], 0xd4c
	v_mov_b32_e32 v6, 0
	s_wait_kmcnt 0x0
	s_bfe_u32 s2, s2, 0xb0005
	s_delay_alu instid0(SALU_CYCLE_1)
	v_cmp_gt_u32_e32 vcc_lo, s2, v0
	s_and_saveexec_b32 s2, vcc_lo
; %bb.22:
	v_lshlrev_b32_e32 v6, 2, v7
	ds_load_b32 v6, v6
; %bb.23:
	s_or_b32 exec_lo, exec_lo, s2
	s_delay_alu instid0(SALU_CYCLE_1)
	s_mov_b32 s2, exec_lo
	v_cmpx_gt_u32_e32 32, v0
	s_cbranch_execz .LBB70_25
; %bb.24:
	s_wait_dscnt 0x0
	ds_bpermute_b32 v1, v1, v6
	s_wait_dscnt 0x0
	v_add_f32_e32 v1, v6, v1
	ds_bpermute_b32 v2, v2, v1
	s_wait_dscnt 0x0
	v_add_f32_e32 v1, v1, v2
	;; [unrolled: 3-line block ×5, first 2 shown]
.LBB70_25:
	s_or_b32 exec_lo, exec_lo, s2
	s_delay_alu instid0(SALU_CYCLE_1)
	s_mov_b32 s2, exec_lo
	v_cmpx_eq_u32_e32 0, v0
	s_cbranch_execz .LBB70_27
; %bb.26:
	s_clause 0x1
	s_load_b32 s2, s[0:1], 0xd20
	s_load_b96 s[8:10], s[0:1], 0xd30
	v_and_b32_e32 v0, 0xff, v13
	s_wait_kmcnt 0x0
	s_delay_alu instid0(VALU_DEP_1) | instskip(NEXT) | instid1(VALU_DEP_1)
	v_add_nc_u32_e32 v0, s2, v0
	v_mul_lo_u32 v0, v0, s10
	s_delay_alu instid0(VALU_DEP_1)
	v_add_nc_u32_e32 v0, s4, v0
	s_wait_dscnt 0x0
	global_store_b32 v0, v6, s[8:9] scale_offset
.LBB70_27:
	s_endpgm
.LBB70_28:
	v_mov_b32_e32 v2, 0
	s_delay_alu instid0(VALU_DEP_1)
	v_dual_mov_b32 v3, v2 :: v_dual_mov_b32 v4, v2
	v_mov_b32_e32 v5, v2
	s_and_not1_b32 vcc_lo, exec_lo, s3
	s_cbranch_vccz .LBB70_14
	s_branch .LBB70_19
	.section	.rodata,"a",@progbits
	.p2align	6, 0x0
	.amdhsa_kernel _ZN2at6native12_GLOBAL__N_125multi_tensor_apply_kernelINS1_18TensorListMetadataILi1EEENS0_13LpNormFunctorIfLNS0_8NormTypeE2EN3c104HalfELi1ELi1ELi0EEEJPfiEEEvT_T0_DpT1_
		.amdhsa_group_segment_fixed_size 2048
		.amdhsa_private_segment_fixed_size 0
		.amdhsa_kernarg_size 3648
		.amdhsa_user_sgpr_count 2
		.amdhsa_user_sgpr_dispatch_ptr 0
		.amdhsa_user_sgpr_queue_ptr 0
		.amdhsa_user_sgpr_kernarg_segment_ptr 1
		.amdhsa_user_sgpr_dispatch_id 0
		.amdhsa_user_sgpr_kernarg_preload_length 0
		.amdhsa_user_sgpr_kernarg_preload_offset 0
		.amdhsa_user_sgpr_private_segment_size 0
		.amdhsa_wavefront_size32 1
		.amdhsa_uses_dynamic_stack 0
		.amdhsa_enable_private_segment 0
		.amdhsa_system_sgpr_workgroup_id_x 1
		.amdhsa_system_sgpr_workgroup_id_y 0
		.amdhsa_system_sgpr_workgroup_id_z 0
		.amdhsa_system_sgpr_workgroup_info 0
		.amdhsa_system_vgpr_workitem_id 0
		.amdhsa_next_free_vgpr 20
		.amdhsa_next_free_sgpr 14
		.amdhsa_named_barrier_count 0
		.amdhsa_reserve_vcc 1
		.amdhsa_float_round_mode_32 0
		.amdhsa_float_round_mode_16_64 0
		.amdhsa_float_denorm_mode_32 3
		.amdhsa_float_denorm_mode_16_64 3
		.amdhsa_fp16_overflow 0
		.amdhsa_memory_ordered 1
		.amdhsa_forward_progress 1
		.amdhsa_inst_pref_size 11
		.amdhsa_round_robin_scheduling 0
		.amdhsa_exception_fp_ieee_invalid_op 0
		.amdhsa_exception_fp_denorm_src 0
		.amdhsa_exception_fp_ieee_div_zero 0
		.amdhsa_exception_fp_ieee_overflow 0
		.amdhsa_exception_fp_ieee_underflow 0
		.amdhsa_exception_fp_ieee_inexact 0
		.amdhsa_exception_int_div_zero 0
	.end_amdhsa_kernel
	.section	.text._ZN2at6native12_GLOBAL__N_125multi_tensor_apply_kernelINS1_18TensorListMetadataILi1EEENS0_13LpNormFunctorIfLNS0_8NormTypeE2EN3c104HalfELi1ELi1ELi0EEEJPfiEEEvT_T0_DpT1_,"axG",@progbits,_ZN2at6native12_GLOBAL__N_125multi_tensor_apply_kernelINS1_18TensorListMetadataILi1EEENS0_13LpNormFunctorIfLNS0_8NormTypeE2EN3c104HalfELi1ELi1ELi0EEEJPfiEEEvT_T0_DpT1_,comdat
.Lfunc_end70:
	.size	_ZN2at6native12_GLOBAL__N_125multi_tensor_apply_kernelINS1_18TensorListMetadataILi1EEENS0_13LpNormFunctorIfLNS0_8NormTypeE2EN3c104HalfELi1ELi1ELi0EEEJPfiEEEvT_T0_DpT1_, .Lfunc_end70-_ZN2at6native12_GLOBAL__N_125multi_tensor_apply_kernelINS1_18TensorListMetadataILi1EEENS0_13LpNormFunctorIfLNS0_8NormTypeE2EN3c104HalfELi1ELi1ELi0EEEJPfiEEEvT_T0_DpT1_
                                        ; -- End function
	.set _ZN2at6native12_GLOBAL__N_125multi_tensor_apply_kernelINS1_18TensorListMetadataILi1EEENS0_13LpNormFunctorIfLNS0_8NormTypeE2EN3c104HalfELi1ELi1ELi0EEEJPfiEEEvT_T0_DpT1_.num_vgpr, 20
	.set _ZN2at6native12_GLOBAL__N_125multi_tensor_apply_kernelINS1_18TensorListMetadataILi1EEENS0_13LpNormFunctorIfLNS0_8NormTypeE2EN3c104HalfELi1ELi1ELi0EEEJPfiEEEvT_T0_DpT1_.num_agpr, 0
	.set _ZN2at6native12_GLOBAL__N_125multi_tensor_apply_kernelINS1_18TensorListMetadataILi1EEENS0_13LpNormFunctorIfLNS0_8NormTypeE2EN3c104HalfELi1ELi1ELi0EEEJPfiEEEvT_T0_DpT1_.numbered_sgpr, 14
	.set _ZN2at6native12_GLOBAL__N_125multi_tensor_apply_kernelINS1_18TensorListMetadataILi1EEENS0_13LpNormFunctorIfLNS0_8NormTypeE2EN3c104HalfELi1ELi1ELi0EEEJPfiEEEvT_T0_DpT1_.num_named_barrier, 0
	.set _ZN2at6native12_GLOBAL__N_125multi_tensor_apply_kernelINS1_18TensorListMetadataILi1EEENS0_13LpNormFunctorIfLNS0_8NormTypeE2EN3c104HalfELi1ELi1ELi0EEEJPfiEEEvT_T0_DpT1_.private_seg_size, 0
	.set _ZN2at6native12_GLOBAL__N_125multi_tensor_apply_kernelINS1_18TensorListMetadataILi1EEENS0_13LpNormFunctorIfLNS0_8NormTypeE2EN3c104HalfELi1ELi1ELi0EEEJPfiEEEvT_T0_DpT1_.uses_vcc, 1
	.set _ZN2at6native12_GLOBAL__N_125multi_tensor_apply_kernelINS1_18TensorListMetadataILi1EEENS0_13LpNormFunctorIfLNS0_8NormTypeE2EN3c104HalfELi1ELi1ELi0EEEJPfiEEEvT_T0_DpT1_.uses_flat_scratch, 0
	.set _ZN2at6native12_GLOBAL__N_125multi_tensor_apply_kernelINS1_18TensorListMetadataILi1EEENS0_13LpNormFunctorIfLNS0_8NormTypeE2EN3c104HalfELi1ELi1ELi0EEEJPfiEEEvT_T0_DpT1_.has_dyn_sized_stack, 0
	.set _ZN2at6native12_GLOBAL__N_125multi_tensor_apply_kernelINS1_18TensorListMetadataILi1EEENS0_13LpNormFunctorIfLNS0_8NormTypeE2EN3c104HalfELi1ELi1ELi0EEEJPfiEEEvT_T0_DpT1_.has_recursion, 0
	.set _ZN2at6native12_GLOBAL__N_125multi_tensor_apply_kernelINS1_18TensorListMetadataILi1EEENS0_13LpNormFunctorIfLNS0_8NormTypeE2EN3c104HalfELi1ELi1ELi0EEEJPfiEEEvT_T0_DpT1_.has_indirect_call, 0
	.section	.AMDGPU.csdata,"",@progbits
; Kernel info:
; codeLenInByte = 1360
; TotalNumSgprs: 16
; NumVgprs: 20
; ScratchSize: 0
; MemoryBound: 0
; FloatMode: 240
; IeeeMode: 1
; LDSByteSize: 2048 bytes/workgroup (compile time only)
; SGPRBlocks: 0
; VGPRBlocks: 1
; NumSGPRsForWavesPerEU: 16
; NumVGPRsForWavesPerEU: 20
; NamedBarCnt: 0
; Occupancy: 16
; WaveLimiterHint : 0
; COMPUTE_PGM_RSRC2:SCRATCH_EN: 0
; COMPUTE_PGM_RSRC2:USER_SGPR: 2
; COMPUTE_PGM_RSRC2:TRAP_HANDLER: 0
; COMPUTE_PGM_RSRC2:TGID_X_EN: 1
; COMPUTE_PGM_RSRC2:TGID_Y_EN: 0
; COMPUTE_PGM_RSRC2:TGID_Z_EN: 0
; COMPUTE_PGM_RSRC2:TIDIG_COMP_CNT: 0
	.section	.text._ZN2at6native12_GLOBAL__N_125multi_tensor_apply_kernelINS1_18TensorListMetadataILi1EEENS0_13LpNormFunctorIfLNS0_8NormTypeE3EN3c104HalfELi1ELi1ELi0EEEJPfiEEEvT_T0_DpT1_,"axG",@progbits,_ZN2at6native12_GLOBAL__N_125multi_tensor_apply_kernelINS1_18TensorListMetadataILi1EEENS0_13LpNormFunctorIfLNS0_8NormTypeE3EN3c104HalfELi1ELi1ELi0EEEJPfiEEEvT_T0_DpT1_,comdat
	.globl	_ZN2at6native12_GLOBAL__N_125multi_tensor_apply_kernelINS1_18TensorListMetadataILi1EEENS0_13LpNormFunctorIfLNS0_8NormTypeE3EN3c104HalfELi1ELi1ELi0EEEJPfiEEEvT_T0_DpT1_ ; -- Begin function _ZN2at6native12_GLOBAL__N_125multi_tensor_apply_kernelINS1_18TensorListMetadataILi1EEENS0_13LpNormFunctorIfLNS0_8NormTypeE3EN3c104HalfELi1ELi1ELi0EEEJPfiEEEvT_T0_DpT1_
	.p2align	8
	.type	_ZN2at6native12_GLOBAL__N_125multi_tensor_apply_kernelINS1_18TensorListMetadataILi1EEENS0_13LpNormFunctorIfLNS0_8NormTypeE3EN3c104HalfELi1ELi1ELi0EEEJPfiEEEvT_T0_DpT1_,@function
_ZN2at6native12_GLOBAL__N_125multi_tensor_apply_kernelINS1_18TensorListMetadataILi1EEENS0_13LpNormFunctorIfLNS0_8NormTypeE3EN3c104HalfELi1ELi1ELi0EEEJPfiEEEvT_T0_DpT1_: ; @_ZN2at6native12_GLOBAL__N_125multi_tensor_apply_kernelINS1_18TensorListMetadataILi1EEENS0_13LpNormFunctorIfLNS0_8NormTypeE3EN3c104HalfELi1ELi1ELi0EEEJPfiEEEvT_T0_DpT1_
; %bb.0:
	s_bfe_u32 s2, ttmp6, 0x4000c
	s_and_b32 s3, ttmp6, 15
	s_add_co_i32 s2, s2, 1
	s_getreg_b32 s4, hwreg(HW_REG_IB_STS2, 6, 4)
	s_mul_i32 s2, ttmp9, s2
	s_delay_alu instid0(SALU_CYCLE_1)
	s_add_co_i32 s3, s3, s2
	s_cmp_eq_u32 s4, 0
	s_cselect_b32 s2, ttmp9, s3
	s_mov_b32 s3, 0
	v_mov_b32_e32 v1, s2
	s_add_nc_u64 s[4:5], s[0:1], s[2:3]
	s_mul_u64 s[6:7], s[2:3], 3
	s_delay_alu instid0(SALU_CYCLE_1) | instskip(SKIP_4) | instid1(SALU_CYCLE_1)
	s_add_nc_u64 s[4:5], s[4:5], s[6:7]
	global_load_u8 v15, v1, s[0:1] offset:1760
	s_load_b32 s6, s[4:5], 0x820
	s_wait_kmcnt 0x0
	s_ashr_i32 s7, s6, 31
	s_lshl_b64 s[10:11], s[6:7], 18
	s_lshl_b64 s[12:13], s[6:7], 16
	s_wait_loadcnt 0x0
	v_readfirstlane_b32 s2, v15
	s_and_b32 s2, s2, 0xff
	s_clause 0x1
	s_load_b64 s[4:5], s[0:1], s2 offset:0x0 scale_offset
	s_load_b64 s[8:9], s[0:1], s2 offset:0x370 scale_offset
	s_wait_kmcnt 0x0
	s_add_nc_u64 s[4:5], s[4:5], s[10:11]
	s_and_b32 s2, s8, 3
	s_and_b64 s[10:11], s[4:5], 15
	s_sub_nc_u64 s[8:9], s[8:9], s[12:13]
	s_or_b64 s[10:11], s[2:3], s[10:11]
	s_delay_alu instid0(SALU_CYCLE_1)
	s_cmp_eq_u64 s[10:11], 0
	s_cbranch_scc1 .LBB71_12
; %bb.1:
	v_cmp_lt_i64_e64 s2, s[8:9], 1
	s_and_b32 vcc_lo, exec_lo, s2
	s_cbranch_vccnz .LBB71_28
; %bb.2:
	s_load_b32 s2, s[0:1], 0xd4c
	v_min_i64 v[10:11], 0x10000, s[8:9]
	s_mov_b32 s11, 0
	s_mov_b64 s[12:13], 0
	s_wait_kmcnt 0x0
	s_and_b32 s2, s2, 0xffff
	s_delay_alu instid0(SALU_CYCLE_1) | instskip(SKIP_3) | instid1(VALU_DEP_3)
	v_dual_mov_b32 v7, 0 :: v_dual_add_nc_u32 v16, s2, v0
	v_mad_u32 v12, s2, 3, v0
	v_lshl_add_u32 v14, s2, 1, v0
	s_lshl_b32 s10, s2, 2
	v_dual_mov_b32 v6, v7 :: v_dual_mov_b32 v8, v7
	v_mov_b32_e32 v9, v7
	s_delay_alu instid0(VALU_DEP_2) | instskip(NEXT) | instid1(VALU_DEP_2)
	v_mov_b64_e32 v[2:3], v[6:7]
	v_mov_b64_e32 v[4:5], v[8:9]
	s_branch .LBB71_4
.LBB71_3:                               ;   in Loop: Header=BB71_4 Depth=1
	s_or_b32 exec_lo, exec_lo, s2
	s_add_nc_u64 s[12:13], s[12:13], s[10:11]
	s_delay_alu instid0(SALU_CYCLE_1)
	v_cmp_lt_i64_e32 vcc_lo, s[12:13], v[10:11]
	s_cbranch_vccz .LBB71_13
.LBB71_4:                               ; =>This Inner Loop Header: Depth=1
	v_add_nc_u32_e32 v6, s12, v0
	s_delay_alu instid0(VALU_DEP_1) | instskip(SKIP_2) | instid1(SALU_CYCLE_1)
	v_cmp_gt_i64_e32 vcc_lo, s[8:9], v[6:7]
	v_cmp_gt_u32_e64 s2, 0x10000, v6
	s_and_b32 s7, s2, vcc_lo
	s_and_saveexec_b32 s2, s7
	s_cbranch_execz .LBB71_6
; %bb.5:                                ;   in Loop: Header=BB71_4 Depth=1
	v_lshl_add_u64 v[8:9], v[6:7], 2, s[4:5]
	global_load_b32 v1, v[8:9], off
	s_wait_loadcnt 0x0
	v_cmp_u_f32_e32 vcc_lo, v1, v1
	v_cmp_lt_f32_e64 s7, v2, |v1|
	s_or_b32 s7, vcc_lo, s7
	s_delay_alu instid0(SALU_CYCLE_1)
	v_cndmask_b32_e64 v2, v2, |v1|, s7
.LBB71_6:                               ;   in Loop: Header=BB71_4 Depth=1
	s_or_b32 exec_lo, exec_lo, s2
	v_add_nc_u32_e32 v6, s12, v16
	s_delay_alu instid0(VALU_DEP_1) | instskip(SKIP_2) | instid1(SALU_CYCLE_1)
	v_cmp_gt_i64_e32 vcc_lo, s[8:9], v[6:7]
	v_cmp_gt_u32_e64 s2, 0x10000, v6
	s_and_b32 s7, s2, vcc_lo
	s_and_saveexec_b32 s2, s7
	s_cbranch_execz .LBB71_8
; %bb.7:                                ;   in Loop: Header=BB71_4 Depth=1
	v_lshl_add_u64 v[8:9], v[6:7], 2, s[4:5]
	global_load_b32 v1, v[8:9], off
	s_wait_loadcnt 0x0
	v_cmp_u_f32_e32 vcc_lo, v1, v1
	v_cmp_lt_f32_e64 s7, v3, |v1|
	s_or_b32 s7, vcc_lo, s7
	s_delay_alu instid0(SALU_CYCLE_1)
	v_cndmask_b32_e64 v3, v3, |v1|, s7
.LBB71_8:                               ;   in Loop: Header=BB71_4 Depth=1
	s_or_b32 exec_lo, exec_lo, s2
	v_add_nc_u32_e32 v6, s12, v14
	s_delay_alu instid0(VALU_DEP_1) | instskip(SKIP_2) | instid1(SALU_CYCLE_1)
	v_cmp_gt_i64_e32 vcc_lo, s[8:9], v[6:7]
	v_cmp_gt_u32_e64 s2, 0x10000, v6
	s_and_b32 s7, s2, vcc_lo
	s_and_saveexec_b32 s2, s7
	s_cbranch_execz .LBB71_10
; %bb.9:                                ;   in Loop: Header=BB71_4 Depth=1
	v_lshl_add_u64 v[8:9], v[6:7], 2, s[4:5]
	global_load_b32 v1, v[8:9], off
	s_wait_loadcnt 0x0
	v_cmp_u_f32_e32 vcc_lo, v1, v1
	v_cmp_lt_f32_e64 s7, v4, |v1|
	s_or_b32 s7, vcc_lo, s7
	s_delay_alu instid0(SALU_CYCLE_1)
	v_cndmask_b32_e64 v4, v4, |v1|, s7
.LBB71_10:                              ;   in Loop: Header=BB71_4 Depth=1
	s_or_b32 exec_lo, exec_lo, s2
	v_add_nc_u32_e32 v6, s12, v12
	s_delay_alu instid0(VALU_DEP_1) | instskip(SKIP_2) | instid1(SALU_CYCLE_1)
	v_cmp_gt_i64_e32 vcc_lo, s[8:9], v[6:7]
	v_cmp_gt_u32_e64 s2, 0x10000, v6
	s_and_b32 s7, s2, vcc_lo
	s_and_saveexec_b32 s2, s7
	s_cbranch_execz .LBB71_3
; %bb.11:                               ;   in Loop: Header=BB71_4 Depth=1
	v_lshl_add_u64 v[8:9], v[6:7], 2, s[4:5]
	global_load_b32 v1, v[8:9], off
	s_wait_loadcnt 0x0
	v_cmp_u_f32_e32 vcc_lo, v1, v1
	v_cmp_lt_f32_e64 s7, v5, |v1|
	s_or_b32 s7, vcc_lo, s7
	s_delay_alu instid0(SALU_CYCLE_1)
	v_cndmask_b32_e64 v5, v5, |v1|, s7
	s_branch .LBB71_3
.LBB71_12:
	s_mov_b32 s3, -1
                                        ; implicit-def: $vgpr2_vgpr3_vgpr4_vgpr5
.LBB71_13:
	s_delay_alu instid0(SALU_CYCLE_1)
	s_and_not1_b32 vcc_lo, exec_lo, s3
	s_cbranch_vccnz .LBB71_19
.LBB71_14:
	v_min_i64 v[8:9], 0x10000, s[8:9]
	v_dual_mov_b32 v3, 0 :: v_dual_lshlrev_b32 v2, 2, v0
	s_mov_b32 s9, 0
	s_delay_alu instid0(VALU_DEP_1) | instskip(NEXT) | instid1(VALU_DEP_2)
	v_dual_mov_b32 v5, v3 :: v_dual_mov_b32 v4, v3
	v_cmp_lt_i64_e32 vcc_lo, v[2:3], v[8:9]
	v_mov_b32_e32 v2, v3
	s_and_saveexec_b32 s7, vcc_lo
	s_cbranch_execz .LBB71_18
; %bb.15:
	s_load_b32 s2, s[0:1], 0xd4c
	v_dual_mov_b32 v1, v3 :: v_dual_lshlrev_b32 v2, 4, v0
	v_dual_mov_b32 v5, 0 :: v_dual_mov_b32 v6, 0
	v_mov_b32_e32 v7, 0
	s_delay_alu instid0(VALU_DEP_3) | instskip(NEXT) | instid1(VALU_DEP_4)
	v_add_nc_u64_e32 v[10:11], s[4:5], v[2:3]
	v_mov_b64_e32 v[12:13], v[0:1]
	s_mov_b32 s11, s9
	s_mov_b32 s12, s9
	s_delay_alu instid0(VALU_DEP_2) | instskip(SKIP_2) | instid1(SALU_CYCLE_1)
	v_add_nc_u64_e32 v[10:11], 8, v[10:11]
	s_wait_kmcnt 0x0
	s_and_b32 s8, s2, 0xffff
	s_lshl_b32 s10, s8, 4
.LBB71_16:                              ; =>This Inner Loop Header: Depth=1
	global_load_b128 v[16:19], v[10:11], off offset:-8
	v_add_nc_u64_e32 v[12:13], s[8:9], v[12:13]
	s_wait_xcnt 0x0
	v_add_nc_u64_e32 v[10:11], s[10:11], v[10:11]
	s_delay_alu instid0(VALU_DEP_2) | instskip(NEXT) | instid1(VALU_DEP_1)
	v_lshlrev_b64_e32 v[20:21], 2, v[12:13]
	v_cmp_ge_i64_e32 vcc_lo, v[20:21], v[8:9]
	s_wait_loadcnt 0x0
	v_cmp_u_f32_e64 s2, v19, v19
	v_cmp_lt_f32_e64 s13, v7, |v19|
	v_cmp_u_f32_e64 s3, v18, v18
	v_cmp_lt_f32_e64 s14, v6, |v18|
	v_cmp_u_f32_e64 s4, v17, v17
	v_cmp_lt_f32_e64 s15, v5, |v17|
	s_or_b32 s2, s2, s13
	v_cmp_u_f32_e64 s5, v16, v16
	v_cmp_lt_f32_e64 s16, v3, |v16|
	v_cndmask_b32_e64 v7, v7, |v19|, s2
	s_or_b32 s2, s3, s14
	s_delay_alu instid0(SALU_CYCLE_1) | instskip(SKIP_1) | instid1(SALU_CYCLE_1)
	v_cndmask_b32_e64 v6, v6, |v18|, s2
	s_or_b32 s2, s4, s15
	v_cndmask_b32_e64 v5, v5, |v17|, s2
	s_or_b32 s2, s5, s16
	s_or_b32 s12, vcc_lo, s12
	v_cndmask_b32_e64 v3, v3, |v16|, s2
	s_and_not1_b32 exec_lo, exec_lo, s12
	s_cbranch_execnz .LBB71_16
; %bb.17:
	s_or_b32 exec_lo, exec_lo, s12
	s_delay_alu instid0(VALU_DEP_1) | instskip(NEXT) | instid1(VALU_DEP_1)
	v_mov_b32_e32 v4, v3
	v_mov_b64_e32 v[2:3], v[4:5]
	v_mov_b64_e32 v[4:5], v[6:7]
.LBB71_18:
	s_or_b32 exec_lo, exec_lo, s7
.LBB71_19:
	s_delay_alu instid0(VALU_DEP_1)
	v_cmp_nge_f32_e32 vcc_lo, 0, v2
	v_mbcnt_lo_u32_b32 v6, -1, 0
	s_barrier_signal -1
	s_barrier_wait -1
	v_cndmask_b32_e32 v1, 0, v2, vcc_lo
	v_cmp_u_f32_e32 vcc_lo, v3, v3
	v_cmp_ne_u32_e64 s3, 31, v6
	s_delay_alu instid0(VALU_DEP_3) | instskip(NEXT) | instid1(VALU_DEP_2)
	v_cmp_lt_f32_e64 s2, v1, v3
	v_add_co_ci_u32_e64 v8, null, 0, v6, s3
	s_mov_b32 s3, exec_lo
	s_or_b32 vcc_lo, vcc_lo, s2
	v_cndmask_b32_e32 v1, v1, v3, vcc_lo
	v_cmp_u_f32_e32 vcc_lo, v4, v4
	s_delay_alu instid0(VALU_DEP_2) | instskip(SKIP_4) | instid1(VALU_DEP_3)
	v_cmp_lt_f32_e64 s2, v1, v4
	s_or_b32 vcc_lo, vcc_lo, s2
	v_cndmask_b32_e32 v2, v1, v4, vcc_lo
	v_cmp_u_f32_e32 vcc_lo, v5, v5
	v_lshl_or_b32 v1, v6, 2, 64
	v_cmp_lt_f32_e64 s2, v2, v5
	s_or_b32 vcc_lo, vcc_lo, s2
	v_cndmask_b32_e32 v3, v2, v5, vcc_lo
	v_cmp_gt_u32_e32 vcc_lo, 24, v6
	ds_bpermute_b32 v4, v1, v3
	v_cndmask_b32_e64 v2, 0, 8, vcc_lo
	s_delay_alu instid0(VALU_DEP_1)
	v_add_lshl_u32 v2, v2, v6, 2
	s_wait_dscnt 0x0
	v_cmp_u_f32_e32 vcc_lo, v4, v4
	v_cmp_lt_f32_e64 s2, v3, v4
	s_or_b32 vcc_lo, vcc_lo, s2
	v_cndmask_b32_e32 v4, v3, v4, vcc_lo
	v_cmp_gt_u32_e32 vcc_lo, 28, v6
	ds_bpermute_b32 v5, v2, v4
	v_cndmask_b32_e64 v3, 0, 4, vcc_lo
	s_delay_alu instid0(VALU_DEP_1)
	v_add_lshl_u32 v3, v3, v6, 2
	s_wait_dscnt 0x0
	v_cmp_u_f32_e32 vcc_lo, v5, v5
	;; [unrolled: 10-line block ×3, first 2 shown]
	v_cmp_lt_f32_e64 s2, v5, v7
	s_or_b32 vcc_lo, vcc_lo, s2
	v_cndmask_b32_e32 v5, v5, v7, vcc_lo
	ds_bpermute_b32 v7, v4, v5
	s_wait_dscnt 0x0
	v_cmp_u_f32_e32 vcc_lo, v7, v7
	v_cmp_lt_f32_e64 s2, v5, v7
	s_or_b32 vcc_lo, vcc_lo, s2
	v_dual_cndmask_b32 v6, v5, v7 :: v_dual_lshlrev_b32 v5, 2, v8
	v_and_b32_e32 v7, 31, v0
	ds_bpermute_b32 v8, v5, v6
	v_cmpx_eq_u32_e32 0, v7
	s_cbranch_execz .LBB71_21
; %bb.20:
	s_wait_dscnt 0x0
	v_cmp_u_f32_e32 vcc_lo, v8, v8
	v_cmp_lt_f32_e64 s2, v6, v8
	v_lshrrev_b32_e32 v9, 3, v0
	s_or_b32 vcc_lo, vcc_lo, s2
	v_cndmask_b32_e32 v6, v6, v8, vcc_lo
	ds_store_b32 v9, v6
.LBB71_21:
	s_or_b32 exec_lo, exec_lo, s3
	s_wait_dscnt 0x0
	s_barrier_signal -1
	s_barrier_wait -1
	s_load_b32 s2, s[0:1], 0xd4c
	v_mov_b32_e32 v6, 0xff7fffff
	s_wait_kmcnt 0x0
	s_bfe_u32 s2, s2, 0xb0005
	s_delay_alu instid0(SALU_CYCLE_1)
	v_cmp_gt_u32_e32 vcc_lo, s2, v0
	s_and_saveexec_b32 s2, vcc_lo
; %bb.22:
	v_lshlrev_b32_e32 v6, 2, v7
	ds_load_b32 v6, v6
; %bb.23:
	s_or_b32 exec_lo, exec_lo, s2
	s_delay_alu instid0(SALU_CYCLE_1)
	s_mov_b32 s3, exec_lo
	v_cmpx_gt_u32_e32 32, v0
	s_cbranch_execz .LBB71_25
; %bb.24:
	s_wait_dscnt 0x0
	ds_bpermute_b32 v1, v1, v6
	s_wait_dscnt 0x0
	v_cmp_u_f32_e32 vcc_lo, v1, v1
	v_cmp_lt_f32_e64 s2, v6, v1
	s_or_b32 vcc_lo, vcc_lo, s2
	v_cndmask_b32_e32 v1, v6, v1, vcc_lo
	ds_bpermute_b32 v2, v2, v1
	s_wait_dscnt 0x0
	v_cmp_u_f32_e32 vcc_lo, v2, v2
	v_cmp_lt_f32_e64 s2, v1, v2
	s_or_b32 vcc_lo, vcc_lo, s2
	v_cndmask_b32_e32 v1, v1, v2, vcc_lo
	;; [unrolled: 6-line block ×5, first 2 shown]
.LBB71_25:
	s_or_b32 exec_lo, exec_lo, s3
	s_delay_alu instid0(SALU_CYCLE_1)
	s_mov_b32 s2, exec_lo
	v_cmpx_eq_u32_e32 0, v0
	s_cbranch_execz .LBB71_27
; %bb.26:
	s_clause 0x1
	s_load_b32 s2, s[0:1], 0xd20
	s_load_b96 s[8:10], s[0:1], 0xd30
	v_and_b32_e32 v0, 0xff, v15
	s_wait_kmcnt 0x0
	s_delay_alu instid0(VALU_DEP_1) | instskip(NEXT) | instid1(VALU_DEP_1)
	v_add_nc_u32_e32 v0, s2, v0
	v_mul_lo_u32 v0, v0, s10
	s_delay_alu instid0(VALU_DEP_1)
	v_add_nc_u32_e32 v0, s6, v0
	s_wait_dscnt 0x0
	global_store_b32 v0, v6, s[8:9] scale_offset
.LBB71_27:
	s_endpgm
.LBB71_28:
	v_mov_b32_e32 v2, 0
	s_delay_alu instid0(VALU_DEP_1)
	v_dual_mov_b32 v3, v2 :: v_dual_mov_b32 v4, v2
	v_mov_b32_e32 v5, v2
	s_and_not1_b32 vcc_lo, exec_lo, s3
	s_cbranch_vccz .LBB71_14
	s_branch .LBB71_19
	.section	.rodata,"a",@progbits
	.p2align	6, 0x0
	.amdhsa_kernel _ZN2at6native12_GLOBAL__N_125multi_tensor_apply_kernelINS1_18TensorListMetadataILi1EEENS0_13LpNormFunctorIfLNS0_8NormTypeE3EN3c104HalfELi1ELi1ELi0EEEJPfiEEEvT_T0_DpT1_
		.amdhsa_group_segment_fixed_size 2048
		.amdhsa_private_segment_fixed_size 0
		.amdhsa_kernarg_size 3648
		.amdhsa_user_sgpr_count 2
		.amdhsa_user_sgpr_dispatch_ptr 0
		.amdhsa_user_sgpr_queue_ptr 0
		.amdhsa_user_sgpr_kernarg_segment_ptr 1
		.amdhsa_user_sgpr_dispatch_id 0
		.amdhsa_user_sgpr_kernarg_preload_length 0
		.amdhsa_user_sgpr_kernarg_preload_offset 0
		.amdhsa_user_sgpr_private_segment_size 0
		.amdhsa_wavefront_size32 1
		.amdhsa_uses_dynamic_stack 0
		.amdhsa_enable_private_segment 0
		.amdhsa_system_sgpr_workgroup_id_x 1
		.amdhsa_system_sgpr_workgroup_id_y 0
		.amdhsa_system_sgpr_workgroup_id_z 0
		.amdhsa_system_sgpr_workgroup_info 0
		.amdhsa_system_vgpr_workitem_id 0
		.amdhsa_next_free_vgpr 22
		.amdhsa_next_free_sgpr 17
		.amdhsa_named_barrier_count 0
		.amdhsa_reserve_vcc 1
		.amdhsa_float_round_mode_32 0
		.amdhsa_float_round_mode_16_64 0
		.amdhsa_float_denorm_mode_32 3
		.amdhsa_float_denorm_mode_16_64 3
		.amdhsa_fp16_overflow 0
		.amdhsa_memory_ordered 1
		.amdhsa_forward_progress 1
		.amdhsa_inst_pref_size 14
		.amdhsa_round_robin_scheduling 0
		.amdhsa_exception_fp_ieee_invalid_op 0
		.amdhsa_exception_fp_denorm_src 0
		.amdhsa_exception_fp_ieee_div_zero 0
		.amdhsa_exception_fp_ieee_overflow 0
		.amdhsa_exception_fp_ieee_underflow 0
		.amdhsa_exception_fp_ieee_inexact 0
		.amdhsa_exception_int_div_zero 0
	.end_amdhsa_kernel
	.section	.text._ZN2at6native12_GLOBAL__N_125multi_tensor_apply_kernelINS1_18TensorListMetadataILi1EEENS0_13LpNormFunctorIfLNS0_8NormTypeE3EN3c104HalfELi1ELi1ELi0EEEJPfiEEEvT_T0_DpT1_,"axG",@progbits,_ZN2at6native12_GLOBAL__N_125multi_tensor_apply_kernelINS1_18TensorListMetadataILi1EEENS0_13LpNormFunctorIfLNS0_8NormTypeE3EN3c104HalfELi1ELi1ELi0EEEJPfiEEEvT_T0_DpT1_,comdat
.Lfunc_end71:
	.size	_ZN2at6native12_GLOBAL__N_125multi_tensor_apply_kernelINS1_18TensorListMetadataILi1EEENS0_13LpNormFunctorIfLNS0_8NormTypeE3EN3c104HalfELi1ELi1ELi0EEEJPfiEEEvT_T0_DpT1_, .Lfunc_end71-_ZN2at6native12_GLOBAL__N_125multi_tensor_apply_kernelINS1_18TensorListMetadataILi1EEENS0_13LpNormFunctorIfLNS0_8NormTypeE3EN3c104HalfELi1ELi1ELi0EEEJPfiEEEvT_T0_DpT1_
                                        ; -- End function
	.set _ZN2at6native12_GLOBAL__N_125multi_tensor_apply_kernelINS1_18TensorListMetadataILi1EEENS0_13LpNormFunctorIfLNS0_8NormTypeE3EN3c104HalfELi1ELi1ELi0EEEJPfiEEEvT_T0_DpT1_.num_vgpr, 22
	.set _ZN2at6native12_GLOBAL__N_125multi_tensor_apply_kernelINS1_18TensorListMetadataILi1EEENS0_13LpNormFunctorIfLNS0_8NormTypeE3EN3c104HalfELi1ELi1ELi0EEEJPfiEEEvT_T0_DpT1_.num_agpr, 0
	.set _ZN2at6native12_GLOBAL__N_125multi_tensor_apply_kernelINS1_18TensorListMetadataILi1EEENS0_13LpNormFunctorIfLNS0_8NormTypeE3EN3c104HalfELi1ELi1ELi0EEEJPfiEEEvT_T0_DpT1_.numbered_sgpr, 17
	.set _ZN2at6native12_GLOBAL__N_125multi_tensor_apply_kernelINS1_18TensorListMetadataILi1EEENS0_13LpNormFunctorIfLNS0_8NormTypeE3EN3c104HalfELi1ELi1ELi0EEEJPfiEEEvT_T0_DpT1_.num_named_barrier, 0
	.set _ZN2at6native12_GLOBAL__N_125multi_tensor_apply_kernelINS1_18TensorListMetadataILi1EEENS0_13LpNormFunctorIfLNS0_8NormTypeE3EN3c104HalfELi1ELi1ELi0EEEJPfiEEEvT_T0_DpT1_.private_seg_size, 0
	.set _ZN2at6native12_GLOBAL__N_125multi_tensor_apply_kernelINS1_18TensorListMetadataILi1EEENS0_13LpNormFunctorIfLNS0_8NormTypeE3EN3c104HalfELi1ELi1ELi0EEEJPfiEEEvT_T0_DpT1_.uses_vcc, 1
	.set _ZN2at6native12_GLOBAL__N_125multi_tensor_apply_kernelINS1_18TensorListMetadataILi1EEENS0_13LpNormFunctorIfLNS0_8NormTypeE3EN3c104HalfELi1ELi1ELi0EEEJPfiEEEvT_T0_DpT1_.uses_flat_scratch, 0
	.set _ZN2at6native12_GLOBAL__N_125multi_tensor_apply_kernelINS1_18TensorListMetadataILi1EEENS0_13LpNormFunctorIfLNS0_8NormTypeE3EN3c104HalfELi1ELi1ELi0EEEJPfiEEEvT_T0_DpT1_.has_dyn_sized_stack, 0
	.set _ZN2at6native12_GLOBAL__N_125multi_tensor_apply_kernelINS1_18TensorListMetadataILi1EEENS0_13LpNormFunctorIfLNS0_8NormTypeE3EN3c104HalfELi1ELi1ELi0EEEJPfiEEEvT_T0_DpT1_.has_recursion, 0
	.set _ZN2at6native12_GLOBAL__N_125multi_tensor_apply_kernelINS1_18TensorListMetadataILi1EEENS0_13LpNormFunctorIfLNS0_8NormTypeE3EN3c104HalfELi1ELi1ELi0EEEJPfiEEEvT_T0_DpT1_.has_indirect_call, 0
	.section	.AMDGPU.csdata,"",@progbits
; Kernel info:
; codeLenInByte = 1776
; TotalNumSgprs: 19
; NumVgprs: 22
; ScratchSize: 0
; MemoryBound: 0
; FloatMode: 240
; IeeeMode: 1
; LDSByteSize: 2048 bytes/workgroup (compile time only)
; SGPRBlocks: 0
; VGPRBlocks: 1
; NumSGPRsForWavesPerEU: 19
; NumVGPRsForWavesPerEU: 22
; NamedBarCnt: 0
; Occupancy: 16
; WaveLimiterHint : 0
; COMPUTE_PGM_RSRC2:SCRATCH_EN: 0
; COMPUTE_PGM_RSRC2:USER_SGPR: 2
; COMPUTE_PGM_RSRC2:TRAP_HANDLER: 0
; COMPUTE_PGM_RSRC2:TGID_X_EN: 1
; COMPUTE_PGM_RSRC2:TGID_Y_EN: 0
; COMPUTE_PGM_RSRC2:TGID_Z_EN: 0
; COMPUTE_PGM_RSRC2:TIDIG_COMP_CNT: 0
	.section	.text._ZN2at6native14lpnorm_cleanupIfLNS0_8NormTypeE0EN3c104HalfELb1EfEEvPKT3_NS0_19TensorListAddressesEi,"axG",@progbits,_ZN2at6native14lpnorm_cleanupIfLNS0_8NormTypeE0EN3c104HalfELb1EfEEvPKT3_NS0_19TensorListAddressesEi,comdat
	.protected	_ZN2at6native14lpnorm_cleanupIfLNS0_8NormTypeE0EN3c104HalfELb1EfEEvPKT3_NS0_19TensorListAddressesEi ; -- Begin function _ZN2at6native14lpnorm_cleanupIfLNS0_8NormTypeE0EN3c104HalfELb1EfEEvPKT3_NS0_19TensorListAddressesEi
	.globl	_ZN2at6native14lpnorm_cleanupIfLNS0_8NormTypeE0EN3c104HalfELb1EfEEvPKT3_NS0_19TensorListAddressesEi
	.p2align	8
	.type	_ZN2at6native14lpnorm_cleanupIfLNS0_8NormTypeE0EN3c104HalfELb1EfEEvPKT3_NS0_19TensorListAddressesEi,@function
_ZN2at6native14lpnorm_cleanupIfLNS0_8NormTypeE0EN3c104HalfELb1EfEEvPKT3_NS0_19TensorListAddressesEi: ; @_ZN2at6native14lpnorm_cleanupIfLNS0_8NormTypeE0EN3c104HalfELb1EfEEvPKT3_NS0_19TensorListAddressesEi
; %bb.0:
	s_load_b32 s2, s[0:1], 0xc88
	s_bfe_u32 s3, ttmp6, 0x4000c
	s_and_b32 s4, ttmp6, 15
	s_add_co_i32 s3, s3, 1
	s_getreg_b32 s5, hwreg(HW_REG_IB_STS2, 6, 4)
	s_mul_i32 s3, ttmp9, s3
	v_mov_b32_e32 v1, 0
	s_add_co_i32 s4, s4, s3
	s_cmp_eq_u32 s5, 0
	s_mov_b32 s5, 0
	s_cselect_b32 s8, ttmp9, s4
	s_mov_b32 s9, exec_lo
	s_wait_kmcnt 0x0
	v_cmpx_gt_u32_e64 s2, v0
	s_cbranch_execz .LBB72_4
; %bb.1:
	s_clause 0x1
	s_load_b64 s[6:7], s[0:1], 0x0
	s_load_b32 s4, s[0:1], 0xc9c
	v_dual_mov_b32 v1, 0 :: v_dual_lshlrev_b32 v2, 2, v0
	s_mul_i32 s10, s2, s8
	s_mov_b32 s11, s5
	s_ashr_i32 s3, s2, 31
	s_delay_alu instid0(VALU_DEP_1)
	v_mov_b32_e32 v3, v1
	s_lshl_b64 s[10:11], s[10:11], 2
	v_mov_b64_e32 v[4:5], v[0:1]
	s_wait_kmcnt 0x0
	s_add_nc_u64 s[6:7], s[6:7], s[10:11]
	s_and_b32 s4, s4, 0xffff
	v_add_nc_u64_e32 v[2:3], s[6:7], v[2:3]
	s_lshl_b32 s6, s4, 2
	s_mov_b32 s7, s5
	s_mov_b32 s10, s5
.LBB72_2:                               ; =>This Inner Loop Header: Depth=1
	global_load_b32 v6, v[2:3], off
	v_add_nc_u64_e32 v[4:5], s[4:5], v[4:5]
	s_wait_xcnt 0x0
	v_add_nc_u64_e32 v[2:3], s[6:7], v[2:3]
	s_delay_alu instid0(VALU_DEP_2)
	v_cmp_le_u64_e32 vcc_lo, s[2:3], v[4:5]
	s_or_b32 s10, vcc_lo, s10
	s_wait_loadcnt 0x0
	v_add_f32_e32 v1, v1, v6
	s_and_not1_b32 exec_lo, exec_lo, s10
	s_cbranch_execnz .LBB72_2
; %bb.3:
	s_or_b32 exec_lo, exec_lo, s10
.LBB72_4:
	s_delay_alu instid0(SALU_CYCLE_1) | instskip(SKIP_4) | instid1(VALU_DEP_1)
	s_or_b32 exec_lo, exec_lo, s9
	v_mbcnt_lo_u32_b32 v5, -1, 0
	s_mov_b32 s2, exec_lo
	s_barrier_signal -1
	s_barrier_wait -1
	v_lshl_or_b32 v2, v5, 2, 64
	v_cmp_gt_u32_e32 vcc_lo, 24, v5
	ds_bpermute_b32 v4, v2, v1
	v_cndmask_b32_e64 v3, 0, 8, vcc_lo
	v_cmp_gt_u32_e32 vcc_lo, 28, v5
	s_delay_alu instid0(VALU_DEP_2)
	v_add_lshl_u32 v3, v3, v5, 2
	s_wait_dscnt 0x0
	v_add_f32_e32 v4, v1, v4
	v_cndmask_b32_e64 v1, 0, 4, vcc_lo
	v_cmp_gt_u32_e32 vcc_lo, 30, v5
	ds_bpermute_b32 v6, v3, v4
	v_add_lshl_u32 v1, v1, v5, 2
	s_wait_dscnt 0x0
	v_add_f32_e32 v6, v4, v6
	v_cndmask_b32_e64 v4, 0, 2, vcc_lo
	v_cmp_ne_u32_e32 vcc_lo, 31, v5
	s_delay_alu instid0(VALU_DEP_2) | instskip(SKIP_1) | instid1(VALU_DEP_1)
	v_add_lshl_u32 v4, v4, v5, 2
	v_add_co_ci_u32_e64 v5, null, 0, v5, vcc_lo
	v_lshlrev_b32_e32 v5, 2, v5
	ds_bpermute_b32 v7, v1, v6
	s_wait_dscnt 0x0
	v_add_f32_e32 v6, v6, v7
	ds_bpermute_b32 v7, v4, v6
	s_wait_dscnt 0x0
	v_dual_add_f32 v7, v6, v7 :: v_dual_bitop2_b32 v6, 31, v0 bitop3:0x40
	ds_bpermute_b32 v8, v5, v7
	v_cmpx_eq_u32_e32 0, v6
	s_cbranch_execz .LBB72_6
; %bb.5:
	s_wait_dscnt 0x0
	v_add_f32_e32 v7, v7, v8
	v_lshrrev_b32_e32 v8, 3, v0
	ds_store_b32 v8, v7
.LBB72_6:
	s_or_b32 exec_lo, exec_lo, s2
	s_wait_dscnt 0x0
	s_barrier_signal -1
	s_barrier_wait -1
	s_load_b32 s2, s[0:1], 0xc9c
	v_mov_b32_e32 v7, 0
	s_wait_kmcnt 0x0
	s_bfe_u32 s2, s2, 0xb0005
	s_delay_alu instid0(SALU_CYCLE_1)
	v_cmp_gt_u32_e32 vcc_lo, s2, v0
	s_and_saveexec_b32 s2, vcc_lo
; %bb.7:
	v_lshlrev_b32_e32 v6, 2, v6
	ds_load_b32 v7, v6
; %bb.8:
	s_or_b32 exec_lo, exec_lo, s2
	s_delay_alu instid0(SALU_CYCLE_1)
	s_mov_b32 s2, exec_lo
	v_cmpx_gt_u32_e32 32, v0
	s_cbranch_execz .LBB72_10
; %bb.9:
	s_wait_dscnt 0x0
	ds_bpermute_b32 v2, v2, v7
	s_wait_dscnt 0x0
	v_add_f32_e32 v2, v7, v2
	ds_bpermute_b32 v3, v3, v2
	s_wait_dscnt 0x0
	v_add_f32_e32 v2, v2, v3
	;; [unrolled: 3-line block ×5, first 2 shown]
.LBB72_10:
	s_or_b32 exec_lo, exec_lo, s2
	s_delay_alu instid0(SALU_CYCLE_1)
	s_mov_b32 s2, exec_lo
	v_cmpx_eq_u32_e32 0, v0
	s_cbranch_execz .LBB72_12
; %bb.11:
	s_load_b64 s[0:1], s[0:1], s8 offset:0x8 scale_offset
	s_wait_dscnt 0x0
	v_cvt_f16_f32_e32 v0, v7
	v_mov_b32_e32 v1, 0
	s_wait_kmcnt 0x0
	global_store_b16 v1, v0, s[0:1]
.LBB72_12:
	s_endpgm
	.section	.rodata,"a",@progbits
	.p2align	6, 0x0
	.amdhsa_kernel _ZN2at6native14lpnorm_cleanupIfLNS0_8NormTypeE0EN3c104HalfELb1EfEEvPKT3_NS0_19TensorListAddressesEi
		.amdhsa_group_segment_fixed_size 2048
		.amdhsa_private_segment_fixed_size 0
		.amdhsa_kernarg_size 3472
		.amdhsa_user_sgpr_count 2
		.amdhsa_user_sgpr_dispatch_ptr 0
		.amdhsa_user_sgpr_queue_ptr 0
		.amdhsa_user_sgpr_kernarg_segment_ptr 1
		.amdhsa_user_sgpr_dispatch_id 0
		.amdhsa_user_sgpr_kernarg_preload_length 0
		.amdhsa_user_sgpr_kernarg_preload_offset 0
		.amdhsa_user_sgpr_private_segment_size 0
		.amdhsa_wavefront_size32 1
		.amdhsa_uses_dynamic_stack 0
		.amdhsa_enable_private_segment 0
		.amdhsa_system_sgpr_workgroup_id_x 1
		.amdhsa_system_sgpr_workgroup_id_y 0
		.amdhsa_system_sgpr_workgroup_id_z 0
		.amdhsa_system_sgpr_workgroup_info 0
		.amdhsa_system_vgpr_workitem_id 0
		.amdhsa_next_free_vgpr 9
		.amdhsa_next_free_sgpr 12
		.amdhsa_named_barrier_count 0
		.amdhsa_reserve_vcc 1
		.amdhsa_float_round_mode_32 0
		.amdhsa_float_round_mode_16_64 0
		.amdhsa_float_denorm_mode_32 3
		.amdhsa_float_denorm_mode_16_64 3
		.amdhsa_fp16_overflow 0
		.amdhsa_memory_ordered 1
		.amdhsa_forward_progress 1
		.amdhsa_inst_pref_size 6
		.amdhsa_round_robin_scheduling 0
		.amdhsa_exception_fp_ieee_invalid_op 0
		.amdhsa_exception_fp_denorm_src 0
		.amdhsa_exception_fp_ieee_div_zero 0
		.amdhsa_exception_fp_ieee_overflow 0
		.amdhsa_exception_fp_ieee_underflow 0
		.amdhsa_exception_fp_ieee_inexact 0
		.amdhsa_exception_int_div_zero 0
	.end_amdhsa_kernel
	.section	.text._ZN2at6native14lpnorm_cleanupIfLNS0_8NormTypeE0EN3c104HalfELb1EfEEvPKT3_NS0_19TensorListAddressesEi,"axG",@progbits,_ZN2at6native14lpnorm_cleanupIfLNS0_8NormTypeE0EN3c104HalfELb1EfEEvPKT3_NS0_19TensorListAddressesEi,comdat
.Lfunc_end72:
	.size	_ZN2at6native14lpnorm_cleanupIfLNS0_8NormTypeE0EN3c104HalfELb1EfEEvPKT3_NS0_19TensorListAddressesEi, .Lfunc_end72-_ZN2at6native14lpnorm_cleanupIfLNS0_8NormTypeE0EN3c104HalfELb1EfEEvPKT3_NS0_19TensorListAddressesEi
                                        ; -- End function
	.set _ZN2at6native14lpnorm_cleanupIfLNS0_8NormTypeE0EN3c104HalfELb1EfEEvPKT3_NS0_19TensorListAddressesEi.num_vgpr, 9
	.set _ZN2at6native14lpnorm_cleanupIfLNS0_8NormTypeE0EN3c104HalfELb1EfEEvPKT3_NS0_19TensorListAddressesEi.num_agpr, 0
	.set _ZN2at6native14lpnorm_cleanupIfLNS0_8NormTypeE0EN3c104HalfELb1EfEEvPKT3_NS0_19TensorListAddressesEi.numbered_sgpr, 12
	.set _ZN2at6native14lpnorm_cleanupIfLNS0_8NormTypeE0EN3c104HalfELb1EfEEvPKT3_NS0_19TensorListAddressesEi.num_named_barrier, 0
	.set _ZN2at6native14lpnorm_cleanupIfLNS0_8NormTypeE0EN3c104HalfELb1EfEEvPKT3_NS0_19TensorListAddressesEi.private_seg_size, 0
	.set _ZN2at6native14lpnorm_cleanupIfLNS0_8NormTypeE0EN3c104HalfELb1EfEEvPKT3_NS0_19TensorListAddressesEi.uses_vcc, 1
	.set _ZN2at6native14lpnorm_cleanupIfLNS0_8NormTypeE0EN3c104HalfELb1EfEEvPKT3_NS0_19TensorListAddressesEi.uses_flat_scratch, 0
	.set _ZN2at6native14lpnorm_cleanupIfLNS0_8NormTypeE0EN3c104HalfELb1EfEEvPKT3_NS0_19TensorListAddressesEi.has_dyn_sized_stack, 0
	.set _ZN2at6native14lpnorm_cleanupIfLNS0_8NormTypeE0EN3c104HalfELb1EfEEvPKT3_NS0_19TensorListAddressesEi.has_recursion, 0
	.set _ZN2at6native14lpnorm_cleanupIfLNS0_8NormTypeE0EN3c104HalfELb1EfEEvPKT3_NS0_19TensorListAddressesEi.has_indirect_call, 0
	.section	.AMDGPU.csdata,"",@progbits
; Kernel info:
; codeLenInByte = 672
; TotalNumSgprs: 14
; NumVgprs: 9
; ScratchSize: 0
; MemoryBound: 0
; FloatMode: 240
; IeeeMode: 1
; LDSByteSize: 2048 bytes/workgroup (compile time only)
; SGPRBlocks: 0
; VGPRBlocks: 0
; NumSGPRsForWavesPerEU: 14
; NumVGPRsForWavesPerEU: 9
; NamedBarCnt: 0
; Occupancy: 16
; WaveLimiterHint : 0
; COMPUTE_PGM_RSRC2:SCRATCH_EN: 0
; COMPUTE_PGM_RSRC2:USER_SGPR: 2
; COMPUTE_PGM_RSRC2:TRAP_HANDLER: 0
; COMPUTE_PGM_RSRC2:TGID_X_EN: 1
; COMPUTE_PGM_RSRC2:TGID_Y_EN: 0
; COMPUTE_PGM_RSRC2:TGID_Z_EN: 0
; COMPUTE_PGM_RSRC2:TIDIG_COMP_CNT: 0
	.section	.text._ZN2at6native14lpnorm_cleanupIfLNS0_8NormTypeE1EN3c104HalfELb1EfEEvPKT3_NS0_19TensorListAddressesEi,"axG",@progbits,_ZN2at6native14lpnorm_cleanupIfLNS0_8NormTypeE1EN3c104HalfELb1EfEEvPKT3_NS0_19TensorListAddressesEi,comdat
	.protected	_ZN2at6native14lpnorm_cleanupIfLNS0_8NormTypeE1EN3c104HalfELb1EfEEvPKT3_NS0_19TensorListAddressesEi ; -- Begin function _ZN2at6native14lpnorm_cleanupIfLNS0_8NormTypeE1EN3c104HalfELb1EfEEvPKT3_NS0_19TensorListAddressesEi
	.globl	_ZN2at6native14lpnorm_cleanupIfLNS0_8NormTypeE1EN3c104HalfELb1EfEEvPKT3_NS0_19TensorListAddressesEi
	.p2align	8
	.type	_ZN2at6native14lpnorm_cleanupIfLNS0_8NormTypeE1EN3c104HalfELb1EfEEvPKT3_NS0_19TensorListAddressesEi,@function
_ZN2at6native14lpnorm_cleanupIfLNS0_8NormTypeE1EN3c104HalfELb1EfEEvPKT3_NS0_19TensorListAddressesEi: ; @_ZN2at6native14lpnorm_cleanupIfLNS0_8NormTypeE1EN3c104HalfELb1EfEEvPKT3_NS0_19TensorListAddressesEi
; %bb.0:
	s_load_b32 s2, s[0:1], 0xc88
	s_bfe_u32 s3, ttmp6, 0x4000c
	s_and_b32 s4, ttmp6, 15
	s_add_co_i32 s3, s3, 1
	s_getreg_b32 s5, hwreg(HW_REG_IB_STS2, 6, 4)
	s_mul_i32 s3, ttmp9, s3
	v_mov_b32_e32 v1, 0
	s_add_co_i32 s4, s4, s3
	s_cmp_eq_u32 s5, 0
	s_mov_b32 s5, 0
	s_cselect_b32 s8, ttmp9, s4
	s_mov_b32 s9, exec_lo
	s_wait_kmcnt 0x0
	v_cmpx_gt_u32_e64 s2, v0
	s_cbranch_execz .LBB73_4
; %bb.1:
	s_clause 0x1
	s_load_b64 s[6:7], s[0:1], 0x0
	s_load_b32 s4, s[0:1], 0xc9c
	v_dual_mov_b32 v1, 0 :: v_dual_lshlrev_b32 v2, 2, v0
	s_mul_i32 s10, s2, s8
	s_mov_b32 s11, s5
	s_ashr_i32 s3, s2, 31
	s_delay_alu instid0(VALU_DEP_1)
	v_mov_b32_e32 v3, v1
	s_lshl_b64 s[10:11], s[10:11], 2
	v_mov_b64_e32 v[4:5], v[0:1]
	s_wait_kmcnt 0x0
	s_add_nc_u64 s[6:7], s[6:7], s[10:11]
	s_and_b32 s4, s4, 0xffff
	v_add_nc_u64_e32 v[2:3], s[6:7], v[2:3]
	s_lshl_b32 s6, s4, 2
	s_mov_b32 s7, s5
	s_mov_b32 s10, s5
.LBB73_2:                               ; =>This Inner Loop Header: Depth=1
	global_load_b32 v6, v[2:3], off
	v_add_nc_u64_e32 v[4:5], s[4:5], v[4:5]
	s_wait_xcnt 0x0
	v_add_nc_u64_e32 v[2:3], s[6:7], v[2:3]
	s_delay_alu instid0(VALU_DEP_2)
	v_cmp_le_u64_e32 vcc_lo, s[2:3], v[4:5]
	s_or_b32 s10, vcc_lo, s10
	s_wait_loadcnt 0x0
	v_add_f32_e32 v1, v1, v6
	s_and_not1_b32 exec_lo, exec_lo, s10
	s_cbranch_execnz .LBB73_2
; %bb.3:
	s_or_b32 exec_lo, exec_lo, s10
.LBB73_4:
	s_delay_alu instid0(SALU_CYCLE_1) | instskip(SKIP_4) | instid1(VALU_DEP_1)
	s_or_b32 exec_lo, exec_lo, s9
	v_mbcnt_lo_u32_b32 v5, -1, 0
	s_mov_b32 s2, exec_lo
	s_barrier_signal -1
	s_barrier_wait -1
	v_lshl_or_b32 v2, v5, 2, 64
	v_cmp_gt_u32_e32 vcc_lo, 24, v5
	ds_bpermute_b32 v4, v2, v1
	v_cndmask_b32_e64 v3, 0, 8, vcc_lo
	v_cmp_gt_u32_e32 vcc_lo, 28, v5
	s_delay_alu instid0(VALU_DEP_2)
	v_add_lshl_u32 v3, v3, v5, 2
	s_wait_dscnt 0x0
	v_add_f32_e32 v4, v1, v4
	v_cndmask_b32_e64 v1, 0, 4, vcc_lo
	v_cmp_gt_u32_e32 vcc_lo, 30, v5
	ds_bpermute_b32 v6, v3, v4
	v_add_lshl_u32 v1, v1, v5, 2
	s_wait_dscnt 0x0
	v_add_f32_e32 v6, v4, v6
	v_cndmask_b32_e64 v4, 0, 2, vcc_lo
	v_cmp_ne_u32_e32 vcc_lo, 31, v5
	s_delay_alu instid0(VALU_DEP_2) | instskip(SKIP_1) | instid1(VALU_DEP_1)
	v_add_lshl_u32 v4, v4, v5, 2
	v_add_co_ci_u32_e64 v5, null, 0, v5, vcc_lo
	v_lshlrev_b32_e32 v5, 2, v5
	ds_bpermute_b32 v7, v1, v6
	s_wait_dscnt 0x0
	v_add_f32_e32 v6, v6, v7
	ds_bpermute_b32 v7, v4, v6
	s_wait_dscnt 0x0
	v_dual_add_f32 v7, v6, v7 :: v_dual_bitop2_b32 v6, 31, v0 bitop3:0x40
	ds_bpermute_b32 v8, v5, v7
	v_cmpx_eq_u32_e32 0, v6
	s_cbranch_execz .LBB73_6
; %bb.5:
	s_wait_dscnt 0x0
	v_add_f32_e32 v7, v7, v8
	v_lshrrev_b32_e32 v8, 3, v0
	ds_store_b32 v8, v7
.LBB73_6:
	s_or_b32 exec_lo, exec_lo, s2
	s_wait_dscnt 0x0
	s_barrier_signal -1
	s_barrier_wait -1
	s_load_b32 s2, s[0:1], 0xc9c
	v_mov_b32_e32 v7, 0
	s_wait_kmcnt 0x0
	s_bfe_u32 s2, s2, 0xb0005
	s_delay_alu instid0(SALU_CYCLE_1)
	v_cmp_gt_u32_e32 vcc_lo, s2, v0
	s_and_saveexec_b32 s2, vcc_lo
; %bb.7:
	v_lshlrev_b32_e32 v6, 2, v6
	ds_load_b32 v7, v6
; %bb.8:
	s_or_b32 exec_lo, exec_lo, s2
	s_delay_alu instid0(SALU_CYCLE_1)
	s_mov_b32 s2, exec_lo
	v_cmpx_gt_u32_e32 32, v0
	s_cbranch_execz .LBB73_10
; %bb.9:
	s_wait_dscnt 0x0
	ds_bpermute_b32 v2, v2, v7
	s_wait_dscnt 0x0
	v_add_f32_e32 v2, v7, v2
	ds_bpermute_b32 v3, v3, v2
	s_wait_dscnt 0x0
	v_add_f32_e32 v2, v2, v3
	ds_bpermute_b32 v1, v1, v2
	s_wait_dscnt 0x0
	v_add_f32_e32 v1, v2, v1
	ds_bpermute_b32 v2, v4, v1
	s_wait_dscnt 0x0
	v_add_f32_e32 v1, v1, v2
	ds_bpermute_b32 v2, v5, v1
	s_wait_dscnt 0x0
	v_add_f32_e32 v7, v1, v2
.LBB73_10:
	s_or_b32 exec_lo, exec_lo, s2
	s_delay_alu instid0(SALU_CYCLE_1)
	s_mov_b32 s2, exec_lo
	v_cmpx_eq_u32_e32 0, v0
	s_cbranch_execz .LBB73_12
; %bb.11:
	s_load_b64 s[0:1], s[0:1], s8 offset:0x8 scale_offset
	s_wait_dscnt 0x0
	v_cvt_f16_f32_e32 v0, v7
	v_mov_b32_e32 v1, 0
	s_wait_kmcnt 0x0
	global_store_b16 v1, v0, s[0:1]
.LBB73_12:
	s_endpgm
	.section	.rodata,"a",@progbits
	.p2align	6, 0x0
	.amdhsa_kernel _ZN2at6native14lpnorm_cleanupIfLNS0_8NormTypeE1EN3c104HalfELb1EfEEvPKT3_NS0_19TensorListAddressesEi
		.amdhsa_group_segment_fixed_size 2048
		.amdhsa_private_segment_fixed_size 0
		.amdhsa_kernarg_size 3472
		.amdhsa_user_sgpr_count 2
		.amdhsa_user_sgpr_dispatch_ptr 0
		.amdhsa_user_sgpr_queue_ptr 0
		.amdhsa_user_sgpr_kernarg_segment_ptr 1
		.amdhsa_user_sgpr_dispatch_id 0
		.amdhsa_user_sgpr_kernarg_preload_length 0
		.amdhsa_user_sgpr_kernarg_preload_offset 0
		.amdhsa_user_sgpr_private_segment_size 0
		.amdhsa_wavefront_size32 1
		.amdhsa_uses_dynamic_stack 0
		.amdhsa_enable_private_segment 0
		.amdhsa_system_sgpr_workgroup_id_x 1
		.amdhsa_system_sgpr_workgroup_id_y 0
		.amdhsa_system_sgpr_workgroup_id_z 0
		.amdhsa_system_sgpr_workgroup_info 0
		.amdhsa_system_vgpr_workitem_id 0
		.amdhsa_next_free_vgpr 9
		.amdhsa_next_free_sgpr 12
		.amdhsa_named_barrier_count 0
		.amdhsa_reserve_vcc 1
		.amdhsa_float_round_mode_32 0
		.amdhsa_float_round_mode_16_64 0
		.amdhsa_float_denorm_mode_32 3
		.amdhsa_float_denorm_mode_16_64 3
		.amdhsa_fp16_overflow 0
		.amdhsa_memory_ordered 1
		.amdhsa_forward_progress 1
		.amdhsa_inst_pref_size 6
		.amdhsa_round_robin_scheduling 0
		.amdhsa_exception_fp_ieee_invalid_op 0
		.amdhsa_exception_fp_denorm_src 0
		.amdhsa_exception_fp_ieee_div_zero 0
		.amdhsa_exception_fp_ieee_overflow 0
		.amdhsa_exception_fp_ieee_underflow 0
		.amdhsa_exception_fp_ieee_inexact 0
		.amdhsa_exception_int_div_zero 0
	.end_amdhsa_kernel
	.section	.text._ZN2at6native14lpnorm_cleanupIfLNS0_8NormTypeE1EN3c104HalfELb1EfEEvPKT3_NS0_19TensorListAddressesEi,"axG",@progbits,_ZN2at6native14lpnorm_cleanupIfLNS0_8NormTypeE1EN3c104HalfELb1EfEEvPKT3_NS0_19TensorListAddressesEi,comdat
.Lfunc_end73:
	.size	_ZN2at6native14lpnorm_cleanupIfLNS0_8NormTypeE1EN3c104HalfELb1EfEEvPKT3_NS0_19TensorListAddressesEi, .Lfunc_end73-_ZN2at6native14lpnorm_cleanupIfLNS0_8NormTypeE1EN3c104HalfELb1EfEEvPKT3_NS0_19TensorListAddressesEi
                                        ; -- End function
	.set _ZN2at6native14lpnorm_cleanupIfLNS0_8NormTypeE1EN3c104HalfELb1EfEEvPKT3_NS0_19TensorListAddressesEi.num_vgpr, 9
	.set _ZN2at6native14lpnorm_cleanupIfLNS0_8NormTypeE1EN3c104HalfELb1EfEEvPKT3_NS0_19TensorListAddressesEi.num_agpr, 0
	.set _ZN2at6native14lpnorm_cleanupIfLNS0_8NormTypeE1EN3c104HalfELb1EfEEvPKT3_NS0_19TensorListAddressesEi.numbered_sgpr, 12
	.set _ZN2at6native14lpnorm_cleanupIfLNS0_8NormTypeE1EN3c104HalfELb1EfEEvPKT3_NS0_19TensorListAddressesEi.num_named_barrier, 0
	.set _ZN2at6native14lpnorm_cleanupIfLNS0_8NormTypeE1EN3c104HalfELb1EfEEvPKT3_NS0_19TensorListAddressesEi.private_seg_size, 0
	.set _ZN2at6native14lpnorm_cleanupIfLNS0_8NormTypeE1EN3c104HalfELb1EfEEvPKT3_NS0_19TensorListAddressesEi.uses_vcc, 1
	.set _ZN2at6native14lpnorm_cleanupIfLNS0_8NormTypeE1EN3c104HalfELb1EfEEvPKT3_NS0_19TensorListAddressesEi.uses_flat_scratch, 0
	.set _ZN2at6native14lpnorm_cleanupIfLNS0_8NormTypeE1EN3c104HalfELb1EfEEvPKT3_NS0_19TensorListAddressesEi.has_dyn_sized_stack, 0
	.set _ZN2at6native14lpnorm_cleanupIfLNS0_8NormTypeE1EN3c104HalfELb1EfEEvPKT3_NS0_19TensorListAddressesEi.has_recursion, 0
	.set _ZN2at6native14lpnorm_cleanupIfLNS0_8NormTypeE1EN3c104HalfELb1EfEEvPKT3_NS0_19TensorListAddressesEi.has_indirect_call, 0
	.section	.AMDGPU.csdata,"",@progbits
; Kernel info:
; codeLenInByte = 672
; TotalNumSgprs: 14
; NumVgprs: 9
; ScratchSize: 0
; MemoryBound: 0
; FloatMode: 240
; IeeeMode: 1
; LDSByteSize: 2048 bytes/workgroup (compile time only)
; SGPRBlocks: 0
; VGPRBlocks: 0
; NumSGPRsForWavesPerEU: 14
; NumVGPRsForWavesPerEU: 9
; NamedBarCnt: 0
; Occupancy: 16
; WaveLimiterHint : 0
; COMPUTE_PGM_RSRC2:SCRATCH_EN: 0
; COMPUTE_PGM_RSRC2:USER_SGPR: 2
; COMPUTE_PGM_RSRC2:TRAP_HANDLER: 0
; COMPUTE_PGM_RSRC2:TGID_X_EN: 1
; COMPUTE_PGM_RSRC2:TGID_Y_EN: 0
; COMPUTE_PGM_RSRC2:TGID_Z_EN: 0
; COMPUTE_PGM_RSRC2:TIDIG_COMP_CNT: 0
	.section	.text._ZN2at6native14lpnorm_cleanupIfLNS0_8NormTypeE2EN3c104HalfELb1EfEEvPKT3_NS0_19TensorListAddressesEi,"axG",@progbits,_ZN2at6native14lpnorm_cleanupIfLNS0_8NormTypeE2EN3c104HalfELb1EfEEvPKT3_NS0_19TensorListAddressesEi,comdat
	.protected	_ZN2at6native14lpnorm_cleanupIfLNS0_8NormTypeE2EN3c104HalfELb1EfEEvPKT3_NS0_19TensorListAddressesEi ; -- Begin function _ZN2at6native14lpnorm_cleanupIfLNS0_8NormTypeE2EN3c104HalfELb1EfEEvPKT3_NS0_19TensorListAddressesEi
	.globl	_ZN2at6native14lpnorm_cleanupIfLNS0_8NormTypeE2EN3c104HalfELb1EfEEvPKT3_NS0_19TensorListAddressesEi
	.p2align	8
	.type	_ZN2at6native14lpnorm_cleanupIfLNS0_8NormTypeE2EN3c104HalfELb1EfEEvPKT3_NS0_19TensorListAddressesEi,@function
_ZN2at6native14lpnorm_cleanupIfLNS0_8NormTypeE2EN3c104HalfELb1EfEEvPKT3_NS0_19TensorListAddressesEi: ; @_ZN2at6native14lpnorm_cleanupIfLNS0_8NormTypeE2EN3c104HalfELb1EfEEvPKT3_NS0_19TensorListAddressesEi
; %bb.0:
	s_load_b32 s2, s[0:1], 0xc88
	s_bfe_u32 s3, ttmp6, 0x4000c
	s_and_b32 s4, ttmp6, 15
	s_add_co_i32 s3, s3, 1
	s_getreg_b32 s5, hwreg(HW_REG_IB_STS2, 6, 4)
	s_mul_i32 s3, ttmp9, s3
	v_mov_b32_e32 v1, 0
	s_add_co_i32 s4, s4, s3
	s_cmp_eq_u32 s5, 0
	s_mov_b32 s5, 0
	s_cselect_b32 s8, ttmp9, s4
	s_mov_b32 s9, exec_lo
	s_wait_kmcnt 0x0
	v_cmpx_gt_u32_e64 s2, v0
	s_cbranch_execz .LBB74_4
; %bb.1:
	s_clause 0x1
	s_load_b64 s[6:7], s[0:1], 0x0
	s_load_b32 s4, s[0:1], 0xc9c
	v_dual_mov_b32 v1, 0 :: v_dual_lshlrev_b32 v2, 2, v0
	s_mul_i32 s10, s2, s8
	s_mov_b32 s11, s5
	s_ashr_i32 s3, s2, 31
	s_delay_alu instid0(VALU_DEP_1)
	v_mov_b32_e32 v3, v1
	s_lshl_b64 s[10:11], s[10:11], 2
	v_mov_b64_e32 v[4:5], v[0:1]
	s_wait_kmcnt 0x0
	s_add_nc_u64 s[6:7], s[6:7], s[10:11]
	s_and_b32 s4, s4, 0xffff
	v_add_nc_u64_e32 v[2:3], s[6:7], v[2:3]
	s_lshl_b32 s6, s4, 2
	s_mov_b32 s7, s5
	s_mov_b32 s10, s5
.LBB74_2:                               ; =>This Inner Loop Header: Depth=1
	global_load_b32 v6, v[2:3], off
	v_add_nc_u64_e32 v[4:5], s[4:5], v[4:5]
	s_wait_xcnt 0x0
	v_add_nc_u64_e32 v[2:3], s[6:7], v[2:3]
	s_delay_alu instid0(VALU_DEP_2)
	v_cmp_le_u64_e32 vcc_lo, s[2:3], v[4:5]
	s_or_b32 s10, vcc_lo, s10
	s_wait_loadcnt 0x0
	v_add_f32_e32 v1, v1, v6
	s_and_not1_b32 exec_lo, exec_lo, s10
	s_cbranch_execnz .LBB74_2
; %bb.3:
	s_or_b32 exec_lo, exec_lo, s10
.LBB74_4:
	s_delay_alu instid0(SALU_CYCLE_1) | instskip(SKIP_4) | instid1(VALU_DEP_1)
	s_or_b32 exec_lo, exec_lo, s9
	v_mbcnt_lo_u32_b32 v5, -1, 0
	s_mov_b32 s2, exec_lo
	s_barrier_signal -1
	s_barrier_wait -1
	v_lshl_or_b32 v2, v5, 2, 64
	v_cmp_gt_u32_e32 vcc_lo, 24, v5
	ds_bpermute_b32 v4, v2, v1
	v_cndmask_b32_e64 v3, 0, 8, vcc_lo
	v_cmp_gt_u32_e32 vcc_lo, 28, v5
	s_delay_alu instid0(VALU_DEP_2)
	v_add_lshl_u32 v3, v3, v5, 2
	s_wait_dscnt 0x0
	v_add_f32_e32 v4, v1, v4
	v_cndmask_b32_e64 v1, 0, 4, vcc_lo
	v_cmp_gt_u32_e32 vcc_lo, 30, v5
	ds_bpermute_b32 v6, v3, v4
	v_add_lshl_u32 v1, v1, v5, 2
	s_wait_dscnt 0x0
	v_add_f32_e32 v6, v4, v6
	v_cndmask_b32_e64 v4, 0, 2, vcc_lo
	v_cmp_ne_u32_e32 vcc_lo, 31, v5
	s_delay_alu instid0(VALU_DEP_2) | instskip(SKIP_1) | instid1(VALU_DEP_1)
	v_add_lshl_u32 v4, v4, v5, 2
	v_add_co_ci_u32_e64 v5, null, 0, v5, vcc_lo
	v_lshlrev_b32_e32 v5, 2, v5
	ds_bpermute_b32 v7, v1, v6
	s_wait_dscnt 0x0
	v_add_f32_e32 v6, v6, v7
	ds_bpermute_b32 v7, v4, v6
	s_wait_dscnt 0x0
	v_dual_add_f32 v7, v6, v7 :: v_dual_bitop2_b32 v6, 31, v0 bitop3:0x40
	ds_bpermute_b32 v8, v5, v7
	v_cmpx_eq_u32_e32 0, v6
	s_cbranch_execz .LBB74_6
; %bb.5:
	s_wait_dscnt 0x0
	v_add_f32_e32 v7, v7, v8
	v_lshrrev_b32_e32 v8, 3, v0
	ds_store_b32 v8, v7
.LBB74_6:
	s_or_b32 exec_lo, exec_lo, s2
	s_wait_dscnt 0x0
	s_barrier_signal -1
	s_barrier_wait -1
	s_load_b32 s2, s[0:1], 0xc9c
	v_mov_b32_e32 v7, 0
	s_wait_kmcnt 0x0
	s_bfe_u32 s2, s2, 0xb0005
	s_delay_alu instid0(SALU_CYCLE_1)
	v_cmp_gt_u32_e32 vcc_lo, s2, v0
	s_and_saveexec_b32 s2, vcc_lo
; %bb.7:
	v_lshlrev_b32_e32 v6, 2, v6
	ds_load_b32 v7, v6
; %bb.8:
	s_or_b32 exec_lo, exec_lo, s2
	s_delay_alu instid0(SALU_CYCLE_1)
	s_mov_b32 s2, exec_lo
	v_cmpx_gt_u32_e32 32, v0
	s_cbranch_execz .LBB74_10
; %bb.9:
	s_wait_dscnt 0x0
	ds_bpermute_b32 v2, v2, v7
	s_wait_dscnt 0x0
	v_add_f32_e32 v2, v7, v2
	ds_bpermute_b32 v3, v3, v2
	s_wait_dscnt 0x0
	v_add_f32_e32 v2, v2, v3
	;; [unrolled: 3-line block ×5, first 2 shown]
.LBB74_10:
	s_or_b32 exec_lo, exec_lo, s2
	s_delay_alu instid0(SALU_CYCLE_1)
	s_mov_b32 s2, exec_lo
	v_cmpx_eq_u32_e32 0, v0
	s_cbranch_execz .LBB74_12
; %bb.11:
	s_wait_dscnt 0x0
	v_mul_f32_e32 v0, 0x4f800000, v7
	v_cmp_gt_f32_e32 vcc_lo, 0xf800000, v7
	s_load_b64 s[0:1], s[0:1], s8 offset:0x8 scale_offset
	s_delay_alu instid0(VALU_DEP_2) | instskip(NEXT) | instid1(VALU_DEP_1)
	v_cndmask_b32_e32 v0, v7, v0, vcc_lo
	v_sqrt_f32_e32 v1, v0
	v_nop
	s_delay_alu instid0(TRANS32_DEP_1) | instskip(NEXT) | instid1(VALU_DEP_1)
	v_dual_add_nc_u32 v2, -1, v1 :: v_dual_add_nc_u32 v3, 1, v1
	v_dual_fma_f32 v4, -v2, v1, v0 :: v_dual_fma_f32 v5, -v3, v1, v0
	s_delay_alu instid0(VALU_DEP_1) | instskip(NEXT) | instid1(VALU_DEP_1)
	v_cmp_ge_f32_e64 s2, 0, v4
	v_cndmask_b32_e64 v1, v1, v2, s2
	s_delay_alu instid0(VALU_DEP_3) | instskip(NEXT) | instid1(VALU_DEP_1)
	v_cmp_lt_f32_e64 s2, 0, v5
	v_cndmask_b32_e64 v1, v1, v3, s2
	s_delay_alu instid0(VALU_DEP_1) | instskip(NEXT) | instid1(VALU_DEP_1)
	v_mul_f32_e32 v2, 0x37800000, v1
	v_cndmask_b32_e32 v1, v1, v2, vcc_lo
	v_cmp_class_f32_e64 vcc_lo, v0, 0x260
	s_delay_alu instid0(VALU_DEP_2) | instskip(NEXT) | instid1(VALU_DEP_1)
	v_dual_cndmask_b32 v0, v1, v0 :: v_dual_mov_b32 v1, 0
	v_cvt_f16_f32_e32 v0, v0
	s_wait_kmcnt 0x0
	global_store_b16 v1, v0, s[0:1]
.LBB74_12:
	s_endpgm
	.section	.rodata,"a",@progbits
	.p2align	6, 0x0
	.amdhsa_kernel _ZN2at6native14lpnorm_cleanupIfLNS0_8NormTypeE2EN3c104HalfELb1EfEEvPKT3_NS0_19TensorListAddressesEi
		.amdhsa_group_segment_fixed_size 2048
		.amdhsa_private_segment_fixed_size 0
		.amdhsa_kernarg_size 3472
		.amdhsa_user_sgpr_count 2
		.amdhsa_user_sgpr_dispatch_ptr 0
		.amdhsa_user_sgpr_queue_ptr 0
		.amdhsa_user_sgpr_kernarg_segment_ptr 1
		.amdhsa_user_sgpr_dispatch_id 0
		.amdhsa_user_sgpr_kernarg_preload_length 0
		.amdhsa_user_sgpr_kernarg_preload_offset 0
		.amdhsa_user_sgpr_private_segment_size 0
		.amdhsa_wavefront_size32 1
		.amdhsa_uses_dynamic_stack 0
		.amdhsa_enable_private_segment 0
		.amdhsa_system_sgpr_workgroup_id_x 1
		.amdhsa_system_sgpr_workgroup_id_y 0
		.amdhsa_system_sgpr_workgroup_id_z 0
		.amdhsa_system_sgpr_workgroup_info 0
		.amdhsa_system_vgpr_workitem_id 0
		.amdhsa_next_free_vgpr 9
		.amdhsa_next_free_sgpr 12
		.amdhsa_named_barrier_count 0
		.amdhsa_reserve_vcc 1
		.amdhsa_float_round_mode_32 0
		.amdhsa_float_round_mode_16_64 0
		.amdhsa_float_denorm_mode_32 3
		.amdhsa_float_denorm_mode_16_64 3
		.amdhsa_fp16_overflow 0
		.amdhsa_memory_ordered 1
		.amdhsa_forward_progress 1
		.amdhsa_inst_pref_size 7
		.amdhsa_round_robin_scheduling 0
		.amdhsa_exception_fp_ieee_invalid_op 0
		.amdhsa_exception_fp_denorm_src 0
		.amdhsa_exception_fp_ieee_div_zero 0
		.amdhsa_exception_fp_ieee_overflow 0
		.amdhsa_exception_fp_ieee_underflow 0
		.amdhsa_exception_fp_ieee_inexact 0
		.amdhsa_exception_int_div_zero 0
	.end_amdhsa_kernel
	.section	.text._ZN2at6native14lpnorm_cleanupIfLNS0_8NormTypeE2EN3c104HalfELb1EfEEvPKT3_NS0_19TensorListAddressesEi,"axG",@progbits,_ZN2at6native14lpnorm_cleanupIfLNS0_8NormTypeE2EN3c104HalfELb1EfEEvPKT3_NS0_19TensorListAddressesEi,comdat
.Lfunc_end74:
	.size	_ZN2at6native14lpnorm_cleanupIfLNS0_8NormTypeE2EN3c104HalfELb1EfEEvPKT3_NS0_19TensorListAddressesEi, .Lfunc_end74-_ZN2at6native14lpnorm_cleanupIfLNS0_8NormTypeE2EN3c104HalfELb1EfEEvPKT3_NS0_19TensorListAddressesEi
                                        ; -- End function
	.set _ZN2at6native14lpnorm_cleanupIfLNS0_8NormTypeE2EN3c104HalfELb1EfEEvPKT3_NS0_19TensorListAddressesEi.num_vgpr, 9
	.set _ZN2at6native14lpnorm_cleanupIfLNS0_8NormTypeE2EN3c104HalfELb1EfEEvPKT3_NS0_19TensorListAddressesEi.num_agpr, 0
	.set _ZN2at6native14lpnorm_cleanupIfLNS0_8NormTypeE2EN3c104HalfELb1EfEEvPKT3_NS0_19TensorListAddressesEi.numbered_sgpr, 12
	.set _ZN2at6native14lpnorm_cleanupIfLNS0_8NormTypeE2EN3c104HalfELb1EfEEvPKT3_NS0_19TensorListAddressesEi.num_named_barrier, 0
	.set _ZN2at6native14lpnorm_cleanupIfLNS0_8NormTypeE2EN3c104HalfELb1EfEEvPKT3_NS0_19TensorListAddressesEi.private_seg_size, 0
	.set _ZN2at6native14lpnorm_cleanupIfLNS0_8NormTypeE2EN3c104HalfELb1EfEEvPKT3_NS0_19TensorListAddressesEi.uses_vcc, 1
	.set _ZN2at6native14lpnorm_cleanupIfLNS0_8NormTypeE2EN3c104HalfELb1EfEEvPKT3_NS0_19TensorListAddressesEi.uses_flat_scratch, 0
	.set _ZN2at6native14lpnorm_cleanupIfLNS0_8NormTypeE2EN3c104HalfELb1EfEEvPKT3_NS0_19TensorListAddressesEi.has_dyn_sized_stack, 0
	.set _ZN2at6native14lpnorm_cleanupIfLNS0_8NormTypeE2EN3c104HalfELb1EfEEvPKT3_NS0_19TensorListAddressesEi.has_recursion, 0
	.set _ZN2at6native14lpnorm_cleanupIfLNS0_8NormTypeE2EN3c104HalfELb1EfEEvPKT3_NS0_19TensorListAddressesEi.has_indirect_call, 0
	.section	.AMDGPU.csdata,"",@progbits
; Kernel info:
; codeLenInByte = 808
; TotalNumSgprs: 14
; NumVgprs: 9
; ScratchSize: 0
; MemoryBound: 0
; FloatMode: 240
; IeeeMode: 1
; LDSByteSize: 2048 bytes/workgroup (compile time only)
; SGPRBlocks: 0
; VGPRBlocks: 0
; NumSGPRsForWavesPerEU: 14
; NumVGPRsForWavesPerEU: 9
; NamedBarCnt: 0
; Occupancy: 16
; WaveLimiterHint : 0
; COMPUTE_PGM_RSRC2:SCRATCH_EN: 0
; COMPUTE_PGM_RSRC2:USER_SGPR: 2
; COMPUTE_PGM_RSRC2:TRAP_HANDLER: 0
; COMPUTE_PGM_RSRC2:TGID_X_EN: 1
; COMPUTE_PGM_RSRC2:TGID_Y_EN: 0
; COMPUTE_PGM_RSRC2:TGID_Z_EN: 0
; COMPUTE_PGM_RSRC2:TIDIG_COMP_CNT: 0
	.section	.text._ZN2at6native14lpnorm_cleanupIfLNS0_8NormTypeE3EN3c104HalfELb1EfEEvPKT3_NS0_19TensorListAddressesEi,"axG",@progbits,_ZN2at6native14lpnorm_cleanupIfLNS0_8NormTypeE3EN3c104HalfELb1EfEEvPKT3_NS0_19TensorListAddressesEi,comdat
	.protected	_ZN2at6native14lpnorm_cleanupIfLNS0_8NormTypeE3EN3c104HalfELb1EfEEvPKT3_NS0_19TensorListAddressesEi ; -- Begin function _ZN2at6native14lpnorm_cleanupIfLNS0_8NormTypeE3EN3c104HalfELb1EfEEvPKT3_NS0_19TensorListAddressesEi
	.globl	_ZN2at6native14lpnorm_cleanupIfLNS0_8NormTypeE3EN3c104HalfELb1EfEEvPKT3_NS0_19TensorListAddressesEi
	.p2align	8
	.type	_ZN2at6native14lpnorm_cleanupIfLNS0_8NormTypeE3EN3c104HalfELb1EfEEvPKT3_NS0_19TensorListAddressesEi,@function
_ZN2at6native14lpnorm_cleanupIfLNS0_8NormTypeE3EN3c104HalfELb1EfEEvPKT3_NS0_19TensorListAddressesEi: ; @_ZN2at6native14lpnorm_cleanupIfLNS0_8NormTypeE3EN3c104HalfELb1EfEEvPKT3_NS0_19TensorListAddressesEi
; %bb.0:
	s_load_b32 s4, s[0:1], 0xc88
	s_bfe_u32 s2, ttmp6, 0x4000c
	s_and_b32 s3, ttmp6, 15
	s_add_co_i32 s2, s2, 1
	s_getreg_b32 s5, hwreg(HW_REG_IB_STS2, 6, 4)
	s_mul_i32 s2, ttmp9, s2
	v_mov_b32_e32 v1, 0
	s_add_co_i32 s3, s3, s2
	s_cmp_eq_u32 s5, 0
	s_mov_b32 s7, 0
	s_cselect_b32 s10, ttmp9, s3
	s_mov_b32 s11, exec_lo
	s_wait_kmcnt 0x0
	v_cmpx_gt_u32_e64 s4, v0
	s_cbranch_execz .LBB75_4
; %bb.1:
	s_clause 0x1
	s_load_b64 s[2:3], s[0:1], 0x0
	s_load_b32 s6, s[0:1], 0xc9c
	v_dual_mov_b32 v1, 0 :: v_dual_lshlrev_b32 v2, 2, v0
	s_mul_i32 s8, s4, s10
	s_mov_b32 s9, s7
	s_ashr_i32 s5, s4, 31
	s_delay_alu instid0(VALU_DEP_1)
	v_mov_b32_e32 v3, v1
	s_lshl_b64 s[8:9], s[8:9], 2
	v_mov_b64_e32 v[4:5], v[0:1]
	s_mov_b32 s12, s7
	s_wait_kmcnt 0x0
	s_add_nc_u64 s[2:3], s[2:3], s[8:9]
	s_and_b32 s6, s6, 0xffff
	v_add_nc_u64_e32 v[2:3], s[2:3], v[2:3]
	s_lshl_b32 s8, s6, 2
	s_mov_b32 s9, s7
.LBB75_2:                               ; =>This Inner Loop Header: Depth=1
	global_load_b32 v6, v[2:3], off
	v_add_nc_u64_e32 v[4:5], s[6:7], v[4:5]
	s_wait_xcnt 0x0
	v_add_nc_u64_e32 v[2:3], s[8:9], v[2:3]
	s_delay_alu instid0(VALU_DEP_2)
	v_cmp_le_u64_e32 vcc_lo, s[4:5], v[4:5]
	s_wait_loadcnt 0x0
	v_cmp_u_f32_e64 s2, v6, v6
	v_cmp_lt_f32_e64 s3, v1, v6
	s_or_b32 s2, s2, s3
	s_or_b32 s12, vcc_lo, s12
	v_cndmask_b32_e64 v1, v1, v6, s2
	s_and_not1_b32 exec_lo, exec_lo, s12
	s_cbranch_execnz .LBB75_2
; %bb.3:
	s_or_b32 exec_lo, exec_lo, s12
.LBB75_4:
	s_delay_alu instid0(SALU_CYCLE_1) | instskip(SKIP_3) | instid1(VALU_DEP_1)
	s_or_b32 exec_lo, exec_lo, s11
	v_mbcnt_lo_u32_b32 v5, -1, 0
	s_barrier_signal -1
	s_barrier_wait -1
	v_lshl_or_b32 v2, v5, 2, 64
	v_cmp_gt_u32_e32 vcc_lo, 24, v5
	v_cmp_ne_u32_e64 s3, 31, v5
	ds_bpermute_b32 v4, v2, v1
	v_cndmask_b32_e64 v3, 0, 8, vcc_lo
	s_delay_alu instid0(VALU_DEP_1)
	v_add_lshl_u32 v3, v3, v5, 2
	s_wait_dscnt 0x0
	v_cmp_u_f32_e32 vcc_lo, v4, v4
	v_cmp_lt_f32_e64 s2, v1, v4
	s_or_b32 vcc_lo, vcc_lo, s2
	v_cndmask_b32_e32 v4, v1, v4, vcc_lo
	v_cmp_gt_u32_e32 vcc_lo, 28, v5
	ds_bpermute_b32 v6, v3, v4
	v_cndmask_b32_e64 v1, 0, 4, vcc_lo
	s_delay_alu instid0(VALU_DEP_1)
	v_add_lshl_u32 v1, v1, v5, 2
	s_wait_dscnt 0x0
	v_cmp_u_f32_e32 vcc_lo, v6, v6
	v_cmp_lt_f32_e64 s2, v4, v6
	s_or_b32 vcc_lo, vcc_lo, s2
	v_cndmask_b32_e32 v6, v4, v6, vcc_lo
	v_cmp_gt_u32_e32 vcc_lo, 30, v5
	v_cndmask_b32_e64 v4, 0, 2, vcc_lo
	s_delay_alu instid0(VALU_DEP_1)
	v_add_lshl_u32 v4, v4, v5, 2
	v_add_co_ci_u32_e64 v5, null, 0, v5, s3
	s_mov_b32 s3, exec_lo
	v_lshlrev_b32_e32 v5, 2, v5
	ds_bpermute_b32 v7, v1, v6
	s_wait_dscnt 0x0
	v_cmp_u_f32_e32 vcc_lo, v7, v7
	v_cmp_lt_f32_e64 s2, v6, v7
	s_or_b32 vcc_lo, vcc_lo, s2
	v_cndmask_b32_e32 v6, v6, v7, vcc_lo
	ds_bpermute_b32 v7, v4, v6
	s_wait_dscnt 0x0
	v_cmp_u_f32_e32 vcc_lo, v7, v7
	v_cmp_lt_f32_e64 s2, v6, v7
	s_or_b32 vcc_lo, vcc_lo, s2
	s_delay_alu instid0(SALU_CYCLE_1)
	v_dual_cndmask_b32 v7, v6, v7, vcc_lo :: v_dual_bitop2_b32 v6, 31, v0 bitop3:0x40
	ds_bpermute_b32 v8, v5, v7
	v_cmpx_eq_u32_e32 0, v6
	s_cbranch_execz .LBB75_6
; %bb.5:
	s_wait_dscnt 0x0
	v_cmp_u_f32_e32 vcc_lo, v8, v8
	v_cmp_lt_f32_e64 s2, v7, v8
	s_or_b32 vcc_lo, vcc_lo, s2
	v_cndmask_b32_e32 v7, v7, v8, vcc_lo
	v_lshrrev_b32_e32 v8, 3, v0
	ds_store_b32 v8, v7
.LBB75_6:
	s_or_b32 exec_lo, exec_lo, s3
	s_wait_dscnt 0x0
	s_barrier_signal -1
	s_barrier_wait -1
	s_load_b32 s2, s[0:1], 0xc9c
	v_mov_b32_e32 v7, 0xff7fffff
	s_wait_kmcnt 0x0
	s_bfe_u32 s2, s2, 0xb0005
	s_delay_alu instid0(SALU_CYCLE_1)
	v_cmp_gt_u32_e32 vcc_lo, s2, v0
	s_and_saveexec_b32 s2, vcc_lo
; %bb.7:
	v_lshlrev_b32_e32 v6, 2, v6
	ds_load_b32 v7, v6
; %bb.8:
	s_or_b32 exec_lo, exec_lo, s2
	s_delay_alu instid0(SALU_CYCLE_1)
	s_mov_b32 s3, exec_lo
	v_cmpx_gt_u32_e32 32, v0
	s_cbranch_execz .LBB75_10
; %bb.9:
	s_wait_dscnt 0x0
	ds_bpermute_b32 v2, v2, v7
	s_wait_dscnt 0x0
	v_cmp_u_f32_e32 vcc_lo, v2, v2
	v_cmp_lt_f32_e64 s2, v7, v2
	s_or_b32 vcc_lo, vcc_lo, s2
	v_cndmask_b32_e32 v2, v7, v2, vcc_lo
	ds_bpermute_b32 v3, v3, v2
	s_wait_dscnt 0x0
	v_cmp_u_f32_e32 vcc_lo, v3, v3
	v_cmp_lt_f32_e64 s2, v2, v3
	s_or_b32 vcc_lo, vcc_lo, s2
	v_cndmask_b32_e32 v2, v2, v3, vcc_lo
	;; [unrolled: 6-line block ×5, first 2 shown]
.LBB75_10:
	s_or_b32 exec_lo, exec_lo, s3
	s_delay_alu instid0(SALU_CYCLE_1)
	s_mov_b32 s2, exec_lo
	v_cmpx_eq_u32_e32 0, v0
	s_cbranch_execz .LBB75_12
; %bb.11:
	s_load_b64 s[0:1], s[0:1], s10 offset:0x8 scale_offset
	s_wait_dscnt 0x0
	v_cvt_f16_f32_e32 v0, v7
	v_mov_b32_e32 v1, 0
	s_wait_kmcnt 0x0
	global_store_b16 v1, v0, s[0:1]
.LBB75_12:
	s_endpgm
	.section	.rodata,"a",@progbits
	.p2align	6, 0x0
	.amdhsa_kernel _ZN2at6native14lpnorm_cleanupIfLNS0_8NormTypeE3EN3c104HalfELb1EfEEvPKT3_NS0_19TensorListAddressesEi
		.amdhsa_group_segment_fixed_size 2048
		.amdhsa_private_segment_fixed_size 0
		.amdhsa_kernarg_size 3472
		.amdhsa_user_sgpr_count 2
		.amdhsa_user_sgpr_dispatch_ptr 0
		.amdhsa_user_sgpr_queue_ptr 0
		.amdhsa_user_sgpr_kernarg_segment_ptr 1
		.amdhsa_user_sgpr_dispatch_id 0
		.amdhsa_user_sgpr_kernarg_preload_length 0
		.amdhsa_user_sgpr_kernarg_preload_offset 0
		.amdhsa_user_sgpr_private_segment_size 0
		.amdhsa_wavefront_size32 1
		.amdhsa_uses_dynamic_stack 0
		.amdhsa_enable_private_segment 0
		.amdhsa_system_sgpr_workgroup_id_x 1
		.amdhsa_system_sgpr_workgroup_id_y 0
		.amdhsa_system_sgpr_workgroup_id_z 0
		.amdhsa_system_sgpr_workgroup_info 0
		.amdhsa_system_vgpr_workitem_id 0
		.amdhsa_next_free_vgpr 9
		.amdhsa_next_free_sgpr 13
		.amdhsa_named_barrier_count 0
		.amdhsa_reserve_vcc 1
		.amdhsa_float_round_mode_32 0
		.amdhsa_float_round_mode_16_64 0
		.amdhsa_float_denorm_mode_32 3
		.amdhsa_float_denorm_mode_16_64 3
		.amdhsa_fp16_overflow 0
		.amdhsa_memory_ordered 1
		.amdhsa_forward_progress 1
		.amdhsa_inst_pref_size 7
		.amdhsa_round_robin_scheduling 0
		.amdhsa_exception_fp_ieee_invalid_op 0
		.amdhsa_exception_fp_denorm_src 0
		.amdhsa_exception_fp_ieee_div_zero 0
		.amdhsa_exception_fp_ieee_overflow 0
		.amdhsa_exception_fp_ieee_underflow 0
		.amdhsa_exception_fp_ieee_inexact 0
		.amdhsa_exception_int_div_zero 0
	.end_amdhsa_kernel
	.section	.text._ZN2at6native14lpnorm_cleanupIfLNS0_8NormTypeE3EN3c104HalfELb1EfEEvPKT3_NS0_19TensorListAddressesEi,"axG",@progbits,_ZN2at6native14lpnorm_cleanupIfLNS0_8NormTypeE3EN3c104HalfELb1EfEEvPKT3_NS0_19TensorListAddressesEi,comdat
.Lfunc_end75:
	.size	_ZN2at6native14lpnorm_cleanupIfLNS0_8NormTypeE3EN3c104HalfELb1EfEEvPKT3_NS0_19TensorListAddressesEi, .Lfunc_end75-_ZN2at6native14lpnorm_cleanupIfLNS0_8NormTypeE3EN3c104HalfELb1EfEEvPKT3_NS0_19TensorListAddressesEi
                                        ; -- End function
	.set _ZN2at6native14lpnorm_cleanupIfLNS0_8NormTypeE3EN3c104HalfELb1EfEEvPKT3_NS0_19TensorListAddressesEi.num_vgpr, 9
	.set _ZN2at6native14lpnorm_cleanupIfLNS0_8NormTypeE3EN3c104HalfELb1EfEEvPKT3_NS0_19TensorListAddressesEi.num_agpr, 0
	.set _ZN2at6native14lpnorm_cleanupIfLNS0_8NormTypeE3EN3c104HalfELb1EfEEvPKT3_NS0_19TensorListAddressesEi.numbered_sgpr, 13
	.set _ZN2at6native14lpnorm_cleanupIfLNS0_8NormTypeE3EN3c104HalfELb1EfEEvPKT3_NS0_19TensorListAddressesEi.num_named_barrier, 0
	.set _ZN2at6native14lpnorm_cleanupIfLNS0_8NormTypeE3EN3c104HalfELb1EfEEvPKT3_NS0_19TensorListAddressesEi.private_seg_size, 0
	.set _ZN2at6native14lpnorm_cleanupIfLNS0_8NormTypeE3EN3c104HalfELb1EfEEvPKT3_NS0_19TensorListAddressesEi.uses_vcc, 1
	.set _ZN2at6native14lpnorm_cleanupIfLNS0_8NormTypeE3EN3c104HalfELb1EfEEvPKT3_NS0_19TensorListAddressesEi.uses_flat_scratch, 0
	.set _ZN2at6native14lpnorm_cleanupIfLNS0_8NormTypeE3EN3c104HalfELb1EfEEvPKT3_NS0_19TensorListAddressesEi.has_dyn_sized_stack, 0
	.set _ZN2at6native14lpnorm_cleanupIfLNS0_8NormTypeE3EN3c104HalfELb1EfEEvPKT3_NS0_19TensorListAddressesEi.has_recursion, 0
	.set _ZN2at6native14lpnorm_cleanupIfLNS0_8NormTypeE3EN3c104HalfELb1EfEEvPKT3_NS0_19TensorListAddressesEi.has_indirect_call, 0
	.section	.AMDGPU.csdata,"",@progbits
; Kernel info:
; codeLenInByte = 872
; TotalNumSgprs: 15
; NumVgprs: 9
; ScratchSize: 0
; MemoryBound: 0
; FloatMode: 240
; IeeeMode: 1
; LDSByteSize: 2048 bytes/workgroup (compile time only)
; SGPRBlocks: 0
; VGPRBlocks: 0
; NumSGPRsForWavesPerEU: 15
; NumVGPRsForWavesPerEU: 9
; NamedBarCnt: 0
; Occupancy: 16
; WaveLimiterHint : 0
; COMPUTE_PGM_RSRC2:SCRATCH_EN: 0
; COMPUTE_PGM_RSRC2:USER_SGPR: 2
; COMPUTE_PGM_RSRC2:TRAP_HANDLER: 0
; COMPUTE_PGM_RSRC2:TGID_X_EN: 1
; COMPUTE_PGM_RSRC2:TGID_Y_EN: 0
; COMPUTE_PGM_RSRC2:TGID_Z_EN: 0
; COMPUTE_PGM_RSRC2:TIDIG_COMP_CNT: 0
	.section	.text._ZN2at6native12_GLOBAL__N_125multi_tensor_apply_kernelINS1_18TensorListMetadataILi1EEENS0_13LpNormFunctorIfLNS0_8NormTypeE0EN3c108BFloat16ELi1ELi1ELi0EEEJPfiEEEvT_T0_DpT1_,"axG",@progbits,_ZN2at6native12_GLOBAL__N_125multi_tensor_apply_kernelINS1_18TensorListMetadataILi1EEENS0_13LpNormFunctorIfLNS0_8NormTypeE0EN3c108BFloat16ELi1ELi1ELi0EEEJPfiEEEvT_T0_DpT1_,comdat
	.globl	_ZN2at6native12_GLOBAL__N_125multi_tensor_apply_kernelINS1_18TensorListMetadataILi1EEENS0_13LpNormFunctorIfLNS0_8NormTypeE0EN3c108BFloat16ELi1ELi1ELi0EEEJPfiEEEvT_T0_DpT1_ ; -- Begin function _ZN2at6native12_GLOBAL__N_125multi_tensor_apply_kernelINS1_18TensorListMetadataILi1EEENS0_13LpNormFunctorIfLNS0_8NormTypeE0EN3c108BFloat16ELi1ELi1ELi0EEEJPfiEEEvT_T0_DpT1_
	.p2align	8
	.type	_ZN2at6native12_GLOBAL__N_125multi_tensor_apply_kernelINS1_18TensorListMetadataILi1EEENS0_13LpNormFunctorIfLNS0_8NormTypeE0EN3c108BFloat16ELi1ELi1ELi0EEEJPfiEEEvT_T0_DpT1_,@function
_ZN2at6native12_GLOBAL__N_125multi_tensor_apply_kernelINS1_18TensorListMetadataILi1EEENS0_13LpNormFunctorIfLNS0_8NormTypeE0EN3c108BFloat16ELi1ELi1ELi0EEEJPfiEEEvT_T0_DpT1_: ; @_ZN2at6native12_GLOBAL__N_125multi_tensor_apply_kernelINS1_18TensorListMetadataILi1EEENS0_13LpNormFunctorIfLNS0_8NormTypeE0EN3c108BFloat16ELi1ELi1ELi0EEEJPfiEEEvT_T0_DpT1_
; %bb.0:
	s_bfe_u32 s2, ttmp6, 0x4000c
	s_and_b32 s3, ttmp6, 15
	s_add_co_i32 s2, s2, 1
	s_getreg_b32 s4, hwreg(HW_REG_IB_STS2, 6, 4)
	s_mul_i32 s2, ttmp9, s2
	s_delay_alu instid0(SALU_CYCLE_1)
	s_add_co_i32 s3, s3, s2
	s_cmp_eq_u32 s4, 0
	s_cselect_b32 s2, ttmp9, s3
	s_mov_b32 s3, 0
	v_mov_b32_e32 v1, s2
	s_add_nc_u64 s[4:5], s[0:1], s[2:3]
	s_mul_u64 s[6:7], s[2:3], 3
	s_delay_alu instid0(SALU_CYCLE_1) | instskip(SKIP_4) | instid1(SALU_CYCLE_1)
	s_add_nc_u64 s[4:5], s[4:5], s[6:7]
	global_load_u8 v13, v1, s[0:1] offset:1760
	s_load_b32 s4, s[4:5], 0x820
	s_wait_kmcnt 0x0
	s_ashr_i32 s5, s4, 31
	s_lshl_b64 s[10:11], s[4:5], 18
	s_lshl_b64 s[12:13], s[4:5], 16
	s_wait_loadcnt 0x0
	v_readfirstlane_b32 s2, v13
	s_and_b32 s2, s2, 0xff
	s_clause 0x1
	s_load_b64 s[6:7], s[0:1], s2 offset:0x0 scale_offset
	s_load_b64 s[8:9], s[0:1], s2 offset:0x370 scale_offset
	s_wait_kmcnt 0x0
	s_add_nc_u64 s[6:7], s[6:7], s[10:11]
	s_and_b32 s2, s8, 3
	s_and_b64 s[10:11], s[6:7], 15
	s_sub_nc_u64 s[8:9], s[8:9], s[12:13]
	s_or_b64 s[10:11], s[2:3], s[10:11]
	s_delay_alu instid0(SALU_CYCLE_1)
	s_cmp_eq_u64 s[10:11], 0
	s_cbranch_scc1 .LBB76_12
; %bb.1:
	v_cmp_lt_i64_e64 s2, s[8:9], 1
	s_and_b32 vcc_lo, exec_lo, s2
	s_cbranch_vccnz .LBB76_28
; %bb.2:
	s_load_b32 s2, s[0:1], 0xd4c
	v_min_i64 v[10:11], 0x10000, s[8:9]
	s_mov_b32 s11, 0
	s_mov_b64 s[12:13], 0
	s_wait_kmcnt 0x0
	s_and_b32 s2, s2, 0xffff
	s_delay_alu instid0(SALU_CYCLE_1) | instskip(SKIP_3) | instid1(VALU_DEP_3)
	v_dual_mov_b32 v7, 0 :: v_dual_add_nc_u32 v16, s2, v0
	v_mad_u32 v12, s2, 3, v0
	v_lshl_add_u32 v14, s2, 1, v0
	s_lshl_b32 s10, s2, 2
	v_dual_mov_b32 v6, v7 :: v_dual_mov_b32 v8, v7
	v_mov_b32_e32 v9, v7
	s_delay_alu instid0(VALU_DEP_2) | instskip(NEXT) | instid1(VALU_DEP_2)
	v_mov_b64_e32 v[2:3], v[6:7]
	v_mov_b64_e32 v[4:5], v[8:9]
	s_branch .LBB76_4
.LBB76_3:                               ;   in Loop: Header=BB76_4 Depth=1
	s_or_b32 exec_lo, exec_lo, s2
	s_add_nc_u64 s[12:13], s[12:13], s[10:11]
	s_delay_alu instid0(SALU_CYCLE_1)
	v_cmp_lt_i64_e32 vcc_lo, s[12:13], v[10:11]
	s_cbranch_vccz .LBB76_13
.LBB76_4:                               ; =>This Inner Loop Header: Depth=1
	v_add_nc_u32_e32 v6, s12, v0
	s_delay_alu instid0(VALU_DEP_1) | instskip(SKIP_2) | instid1(SALU_CYCLE_1)
	v_cmp_gt_i64_e32 vcc_lo, s[8:9], v[6:7]
	v_cmp_gt_u32_e64 s2, 0x10000, v6
	s_and_b32 s5, s2, vcc_lo
	s_and_saveexec_b32 s2, s5
	s_cbranch_execz .LBB76_6
; %bb.5:                                ;   in Loop: Header=BB76_4 Depth=1
	v_lshl_add_u64 v[8:9], v[6:7], 2, s[6:7]
	global_load_b32 v1, v[8:9], off
	s_wait_loadcnt 0x0
	v_cmp_neq_f32_e32 vcc_lo, 0, v1
	v_cndmask_b32_e64 v1, 0, 1.0, vcc_lo
	s_delay_alu instid0(VALU_DEP_1)
	v_add_f32_e32 v2, v2, v1
.LBB76_6:                               ;   in Loop: Header=BB76_4 Depth=1
	s_or_b32 exec_lo, exec_lo, s2
	v_add_nc_u32_e32 v6, s12, v16
	s_delay_alu instid0(VALU_DEP_1) | instskip(SKIP_2) | instid1(SALU_CYCLE_1)
	v_cmp_gt_i64_e32 vcc_lo, s[8:9], v[6:7]
	v_cmp_gt_u32_e64 s2, 0x10000, v6
	s_and_b32 s5, s2, vcc_lo
	s_and_saveexec_b32 s2, s5
	s_cbranch_execz .LBB76_8
; %bb.7:                                ;   in Loop: Header=BB76_4 Depth=1
	v_lshl_add_u64 v[8:9], v[6:7], 2, s[6:7]
	global_load_b32 v1, v[8:9], off
	s_wait_loadcnt 0x0
	v_cmp_neq_f32_e32 vcc_lo, 0, v1
	v_cndmask_b32_e64 v1, 0, 1.0, vcc_lo
	s_delay_alu instid0(VALU_DEP_1)
	v_add_f32_e32 v3, v3, v1
.LBB76_8:                               ;   in Loop: Header=BB76_4 Depth=1
	s_or_b32 exec_lo, exec_lo, s2
	v_add_nc_u32_e32 v6, s12, v14
	s_delay_alu instid0(VALU_DEP_1) | instskip(SKIP_2) | instid1(SALU_CYCLE_1)
	v_cmp_gt_i64_e32 vcc_lo, s[8:9], v[6:7]
	v_cmp_gt_u32_e64 s2, 0x10000, v6
	s_and_b32 s5, s2, vcc_lo
	s_and_saveexec_b32 s2, s5
	s_cbranch_execz .LBB76_10
; %bb.9:                                ;   in Loop: Header=BB76_4 Depth=1
	v_lshl_add_u64 v[8:9], v[6:7], 2, s[6:7]
	global_load_b32 v1, v[8:9], off
	s_wait_loadcnt 0x0
	v_cmp_neq_f32_e32 vcc_lo, 0, v1
	v_cndmask_b32_e64 v1, 0, 1.0, vcc_lo
	s_delay_alu instid0(VALU_DEP_1)
	v_add_f32_e32 v4, v4, v1
.LBB76_10:                              ;   in Loop: Header=BB76_4 Depth=1
	s_or_b32 exec_lo, exec_lo, s2
	v_add_nc_u32_e32 v6, s12, v12
	s_delay_alu instid0(VALU_DEP_1) | instskip(SKIP_2) | instid1(SALU_CYCLE_1)
	v_cmp_gt_i64_e32 vcc_lo, s[8:9], v[6:7]
	v_cmp_gt_u32_e64 s2, 0x10000, v6
	s_and_b32 s5, s2, vcc_lo
	s_and_saveexec_b32 s2, s5
	s_cbranch_execz .LBB76_3
; %bb.11:                               ;   in Loop: Header=BB76_4 Depth=1
	v_lshl_add_u64 v[8:9], v[6:7], 2, s[6:7]
	global_load_b32 v1, v[8:9], off
	s_wait_loadcnt 0x0
	v_cmp_neq_f32_e32 vcc_lo, 0, v1
	v_cndmask_b32_e64 v1, 0, 1.0, vcc_lo
	s_delay_alu instid0(VALU_DEP_1)
	v_add_f32_e32 v5, v5, v1
	s_branch .LBB76_3
.LBB76_12:
	s_mov_b32 s3, -1
                                        ; implicit-def: $vgpr2_vgpr3_vgpr4_vgpr5
.LBB76_13:
	s_delay_alu instid0(SALU_CYCLE_1)
	s_and_not1_b32 vcc_lo, exec_lo, s3
	s_cbranch_vccnz .LBB76_19
.LBB76_14:
	v_min_i64 v[6:7], 0x10000, s[8:9]
	v_dual_mov_b32 v2, 0 :: v_dual_lshlrev_b32 v4, 2, v0
	s_mov_b32 s9, 0
	s_delay_alu instid0(VALU_DEP_1) | instskip(NEXT) | instid1(VALU_DEP_1)
	v_dual_mov_b32 v5, v2 :: v_dual_mov_b32 v3, v2
	v_cmp_lt_i64_e32 vcc_lo, v[4:5], v[6:7]
	v_mov_b32_e32 v4, v2
	s_and_saveexec_b32 s3, vcc_lo
	s_cbranch_execz .LBB76_18
; %bb.15:
	s_load_b32 s2, s[0:1], 0xd4c
	v_dual_mov_b32 v5, v2 :: v_dual_lshlrev_b32 v4, 4, v0
	v_dual_mov_b32 v1, v2 :: v_dual_mov_b32 v3, v2
	s_mov_b32 s5, s9
	s_delay_alu instid0(VALU_DEP_2) | instskip(NEXT) | instid1(VALU_DEP_2)
	v_add_nc_u64_e32 v[8:9], s[6:7], v[4:5]
	v_mov_b64_e32 v[10:11], v[0:1]
	v_mov_b32_e32 v4, v2
	s_mov_b32 s7, s9
	s_delay_alu instid0(VALU_DEP_3) | instskip(SKIP_2) | instid1(SALU_CYCLE_1)
	v_add_nc_u64_e32 v[8:9], 8, v[8:9]
	s_wait_kmcnt 0x0
	s_and_b32 s8, s2, 0xffff
	s_lshl_b32 s6, s8, 4
.LBB76_16:                              ; =>This Inner Loop Header: Depth=1
	global_load_b128 v[14:17], v[8:9], off offset:-8
	v_add_nc_u64_e32 v[10:11], s[8:9], v[10:11]
	s_wait_xcnt 0x0
	v_add_nc_u64_e32 v[8:9], s[6:7], v[8:9]
	s_delay_alu instid0(VALU_DEP_2) | instskip(NEXT) | instid1(VALU_DEP_1)
	v_lshlrev_b64_e32 v[18:19], 2, v[10:11]
	v_cmp_ge_i64_e32 vcc_lo, v[18:19], v[6:7]
	s_or_b32 s5, vcc_lo, s5
	s_wait_loadcnt 0x0
	v_cmp_eq_f32_e64 s2, 0, v15
	s_delay_alu instid0(VALU_DEP_1) | instskip(SKIP_1) | instid1(VALU_DEP_1)
	v_cndmask_b32_e64 v15, 1.0, 0, s2
	v_cmp_eq_f32_e64 s2, 0, v17
	v_cndmask_b32_e64 v17, 1.0, 0, s2
	v_cmp_eq_f32_e64 s2, 0, v16
	s_delay_alu instid0(VALU_DEP_1) | instskip(SKIP_1) | instid1(VALU_DEP_2)
	v_cndmask_b32_e64 v16, 1.0, 0, s2
	v_cmp_eq_f32_e64 s2, 0, v14
	v_pk_add_f32 v[4:5], v[4:5], v[16:17]
	s_delay_alu instid0(VALU_DEP_2) | instskip(NEXT) | instid1(VALU_DEP_1)
	v_cndmask_b32_e64 v14, 1.0, 0, s2
	v_pk_add_f32 v[2:3], v[2:3], v[14:15]
	s_and_not1_b32 exec_lo, exec_lo, s5
	s_cbranch_execnz .LBB76_16
; %bb.17:
	s_or_b32 exec_lo, exec_lo, s5
.LBB76_18:
	s_delay_alu instid0(SALU_CYCLE_1)
	s_or_b32 exec_lo, exec_lo, s3
.LBB76_19:
	v_add_f32_e32 v1, 0, v2
	v_mbcnt_lo_u32_b32 v6, -1, 0
	s_mov_b32 s2, exec_lo
	s_barrier_signal -1
	s_delay_alu instid0(VALU_DEP_2) | instskip(NEXT) | instid1(VALU_DEP_2)
	v_add_f32_e32 v1, v3, v1
	v_cmp_gt_u32_e32 vcc_lo, 24, v6
	s_barrier_wait -1
	s_delay_alu instid0(VALU_DEP_2) | instskip(SKIP_1) | instid1(VALU_DEP_2)
	v_add_f32_e32 v2, v4, v1
	v_lshl_or_b32 v1, v6, 2, 64
	v_add_f32_e32 v3, v5, v2
	v_cndmask_b32_e64 v2, 0, 8, vcc_lo
	v_cmp_gt_u32_e32 vcc_lo, 28, v6
	ds_bpermute_b32 v4, v1, v3
	v_add_lshl_u32 v2, v2, v6, 2
	s_wait_dscnt 0x0
	v_add_f32_e32 v4, v3, v4
	v_cndmask_b32_e64 v3, 0, 4, vcc_lo
	v_cmp_gt_u32_e32 vcc_lo, 30, v6
	ds_bpermute_b32 v5, v2, v4
	v_add_lshl_u32 v3, v3, v6, 2
	s_wait_dscnt 0x0
	v_add_f32_e32 v5, v4, v5
	v_cndmask_b32_e64 v4, 0, 2, vcc_lo
	v_cmp_ne_u32_e32 vcc_lo, 31, v6
	ds_bpermute_b32 v7, v3, v5
	v_add_lshl_u32 v4, v4, v6, 2
	v_add_co_ci_u32_e64 v8, null, 0, v6, vcc_lo
	s_wait_dscnt 0x0
	v_add_f32_e32 v5, v5, v7
	ds_bpermute_b32 v7, v4, v5
	s_wait_dscnt 0x0
	v_dual_add_f32 v6, v5, v7 :: v_dual_lshlrev_b32 v5, 2, v8
	v_and_b32_e32 v7, 31, v0
	ds_bpermute_b32 v8, v5, v6
	v_cmpx_eq_u32_e32 0, v7
	s_cbranch_execz .LBB76_21
; %bb.20:
	v_lshrrev_b32_e32 v9, 3, v0
	s_wait_dscnt 0x0
	v_add_f32_e32 v6, v6, v8
	ds_store_b32 v9, v6
.LBB76_21:
	s_or_b32 exec_lo, exec_lo, s2
	s_wait_dscnt 0x0
	s_barrier_signal -1
	s_barrier_wait -1
	s_load_b32 s2, s[0:1], 0xd4c
	v_mov_b32_e32 v6, 0
	s_wait_kmcnt 0x0
	s_bfe_u32 s2, s2, 0xb0005
	s_delay_alu instid0(SALU_CYCLE_1)
	v_cmp_gt_u32_e32 vcc_lo, s2, v0
	s_and_saveexec_b32 s2, vcc_lo
; %bb.22:
	v_lshlrev_b32_e32 v6, 2, v7
	ds_load_b32 v6, v6
; %bb.23:
	s_or_b32 exec_lo, exec_lo, s2
	s_delay_alu instid0(SALU_CYCLE_1)
	s_mov_b32 s2, exec_lo
	v_cmpx_gt_u32_e32 32, v0
	s_cbranch_execz .LBB76_25
; %bb.24:
	s_wait_dscnt 0x0
	ds_bpermute_b32 v1, v1, v6
	s_wait_dscnt 0x0
	v_add_f32_e32 v1, v6, v1
	ds_bpermute_b32 v2, v2, v1
	s_wait_dscnt 0x0
	v_add_f32_e32 v1, v1, v2
	;; [unrolled: 3-line block ×5, first 2 shown]
.LBB76_25:
	s_or_b32 exec_lo, exec_lo, s2
	s_delay_alu instid0(SALU_CYCLE_1)
	s_mov_b32 s2, exec_lo
	v_cmpx_eq_u32_e32 0, v0
	s_cbranch_execz .LBB76_27
; %bb.26:
	s_clause 0x1
	s_load_b32 s2, s[0:1], 0xd20
	s_load_b96 s[8:10], s[0:1], 0xd30
	v_and_b32_e32 v0, 0xff, v13
	s_wait_kmcnt 0x0
	s_delay_alu instid0(VALU_DEP_1) | instskip(NEXT) | instid1(VALU_DEP_1)
	v_add_nc_u32_e32 v0, s2, v0
	v_mul_lo_u32 v0, v0, s10
	s_delay_alu instid0(VALU_DEP_1)
	v_add_nc_u32_e32 v0, s4, v0
	s_wait_dscnt 0x0
	global_store_b32 v0, v6, s[8:9] scale_offset
.LBB76_27:
	s_endpgm
.LBB76_28:
	v_mov_b32_e32 v2, 0
	s_delay_alu instid0(VALU_DEP_1)
	v_dual_mov_b32 v3, v2 :: v_dual_mov_b32 v4, v2
	v_mov_b32_e32 v5, v2
	s_and_not1_b32 vcc_lo, exec_lo, s3
	s_cbranch_vccz .LBB76_14
	s_branch .LBB76_19
	.section	.rodata,"a",@progbits
	.p2align	6, 0x0
	.amdhsa_kernel _ZN2at6native12_GLOBAL__N_125multi_tensor_apply_kernelINS1_18TensorListMetadataILi1EEENS0_13LpNormFunctorIfLNS0_8NormTypeE0EN3c108BFloat16ELi1ELi1ELi0EEEJPfiEEEvT_T0_DpT1_
		.amdhsa_group_segment_fixed_size 2048
		.amdhsa_private_segment_fixed_size 0
		.amdhsa_kernarg_size 3648
		.amdhsa_user_sgpr_count 2
		.amdhsa_user_sgpr_dispatch_ptr 0
		.amdhsa_user_sgpr_queue_ptr 0
		.amdhsa_user_sgpr_kernarg_segment_ptr 1
		.amdhsa_user_sgpr_dispatch_id 0
		.amdhsa_user_sgpr_kernarg_preload_length 0
		.amdhsa_user_sgpr_kernarg_preload_offset 0
		.amdhsa_user_sgpr_private_segment_size 0
		.amdhsa_wavefront_size32 1
		.amdhsa_uses_dynamic_stack 0
		.amdhsa_enable_private_segment 0
		.amdhsa_system_sgpr_workgroup_id_x 1
		.amdhsa_system_sgpr_workgroup_id_y 0
		.amdhsa_system_sgpr_workgroup_id_z 0
		.amdhsa_system_sgpr_workgroup_info 0
		.amdhsa_system_vgpr_workitem_id 0
		.amdhsa_next_free_vgpr 20
		.amdhsa_next_free_sgpr 14
		.amdhsa_named_barrier_count 0
		.amdhsa_reserve_vcc 1
		.amdhsa_float_round_mode_32 0
		.amdhsa_float_round_mode_16_64 0
		.amdhsa_float_denorm_mode_32 3
		.amdhsa_float_denorm_mode_16_64 3
		.amdhsa_fp16_overflow 0
		.amdhsa_memory_ordered 1
		.amdhsa_forward_progress 1
		.amdhsa_inst_pref_size 12
		.amdhsa_round_robin_scheduling 0
		.amdhsa_exception_fp_ieee_invalid_op 0
		.amdhsa_exception_fp_denorm_src 0
		.amdhsa_exception_fp_ieee_div_zero 0
		.amdhsa_exception_fp_ieee_overflow 0
		.amdhsa_exception_fp_ieee_underflow 0
		.amdhsa_exception_fp_ieee_inexact 0
		.amdhsa_exception_int_div_zero 0
	.end_amdhsa_kernel
	.section	.text._ZN2at6native12_GLOBAL__N_125multi_tensor_apply_kernelINS1_18TensorListMetadataILi1EEENS0_13LpNormFunctorIfLNS0_8NormTypeE0EN3c108BFloat16ELi1ELi1ELi0EEEJPfiEEEvT_T0_DpT1_,"axG",@progbits,_ZN2at6native12_GLOBAL__N_125multi_tensor_apply_kernelINS1_18TensorListMetadataILi1EEENS0_13LpNormFunctorIfLNS0_8NormTypeE0EN3c108BFloat16ELi1ELi1ELi0EEEJPfiEEEvT_T0_DpT1_,comdat
.Lfunc_end76:
	.size	_ZN2at6native12_GLOBAL__N_125multi_tensor_apply_kernelINS1_18TensorListMetadataILi1EEENS0_13LpNormFunctorIfLNS0_8NormTypeE0EN3c108BFloat16ELi1ELi1ELi0EEEJPfiEEEvT_T0_DpT1_, .Lfunc_end76-_ZN2at6native12_GLOBAL__N_125multi_tensor_apply_kernelINS1_18TensorListMetadataILi1EEENS0_13LpNormFunctorIfLNS0_8NormTypeE0EN3c108BFloat16ELi1ELi1ELi0EEEJPfiEEEvT_T0_DpT1_
                                        ; -- End function
	.set _ZN2at6native12_GLOBAL__N_125multi_tensor_apply_kernelINS1_18TensorListMetadataILi1EEENS0_13LpNormFunctorIfLNS0_8NormTypeE0EN3c108BFloat16ELi1ELi1ELi0EEEJPfiEEEvT_T0_DpT1_.num_vgpr, 20
	.set _ZN2at6native12_GLOBAL__N_125multi_tensor_apply_kernelINS1_18TensorListMetadataILi1EEENS0_13LpNormFunctorIfLNS0_8NormTypeE0EN3c108BFloat16ELi1ELi1ELi0EEEJPfiEEEvT_T0_DpT1_.num_agpr, 0
	.set _ZN2at6native12_GLOBAL__N_125multi_tensor_apply_kernelINS1_18TensorListMetadataILi1EEENS0_13LpNormFunctorIfLNS0_8NormTypeE0EN3c108BFloat16ELi1ELi1ELi0EEEJPfiEEEvT_T0_DpT1_.numbered_sgpr, 14
	.set _ZN2at6native12_GLOBAL__N_125multi_tensor_apply_kernelINS1_18TensorListMetadataILi1EEENS0_13LpNormFunctorIfLNS0_8NormTypeE0EN3c108BFloat16ELi1ELi1ELi0EEEJPfiEEEvT_T0_DpT1_.num_named_barrier, 0
	.set _ZN2at6native12_GLOBAL__N_125multi_tensor_apply_kernelINS1_18TensorListMetadataILi1EEENS0_13LpNormFunctorIfLNS0_8NormTypeE0EN3c108BFloat16ELi1ELi1ELi0EEEJPfiEEEvT_T0_DpT1_.private_seg_size, 0
	.set _ZN2at6native12_GLOBAL__N_125multi_tensor_apply_kernelINS1_18TensorListMetadataILi1EEENS0_13LpNormFunctorIfLNS0_8NormTypeE0EN3c108BFloat16ELi1ELi1ELi0EEEJPfiEEEvT_T0_DpT1_.uses_vcc, 1
	.set _ZN2at6native12_GLOBAL__N_125multi_tensor_apply_kernelINS1_18TensorListMetadataILi1EEENS0_13LpNormFunctorIfLNS0_8NormTypeE0EN3c108BFloat16ELi1ELi1ELi0EEEJPfiEEEvT_T0_DpT1_.uses_flat_scratch, 0
	.set _ZN2at6native12_GLOBAL__N_125multi_tensor_apply_kernelINS1_18TensorListMetadataILi1EEENS0_13LpNormFunctorIfLNS0_8NormTypeE0EN3c108BFloat16ELi1ELi1ELi0EEEJPfiEEEvT_T0_DpT1_.has_dyn_sized_stack, 0
	.set _ZN2at6native12_GLOBAL__N_125multi_tensor_apply_kernelINS1_18TensorListMetadataILi1EEENS0_13LpNormFunctorIfLNS0_8NormTypeE0EN3c108BFloat16ELi1ELi1ELi0EEEJPfiEEEvT_T0_DpT1_.has_recursion, 0
	.set _ZN2at6native12_GLOBAL__N_125multi_tensor_apply_kernelINS1_18TensorListMetadataILi1EEENS0_13LpNormFunctorIfLNS0_8NormTypeE0EN3c108BFloat16ELi1ELi1ELi0EEEJPfiEEEvT_T0_DpT1_.has_indirect_call, 0
	.section	.AMDGPU.csdata,"",@progbits
; Kernel info:
; codeLenInByte = 1484
; TotalNumSgprs: 16
; NumVgprs: 20
; ScratchSize: 0
; MemoryBound: 0
; FloatMode: 240
; IeeeMode: 1
; LDSByteSize: 2048 bytes/workgroup (compile time only)
; SGPRBlocks: 0
; VGPRBlocks: 1
; NumSGPRsForWavesPerEU: 16
; NumVGPRsForWavesPerEU: 20
; NamedBarCnt: 0
; Occupancy: 16
; WaveLimiterHint : 0
; COMPUTE_PGM_RSRC2:SCRATCH_EN: 0
; COMPUTE_PGM_RSRC2:USER_SGPR: 2
; COMPUTE_PGM_RSRC2:TRAP_HANDLER: 0
; COMPUTE_PGM_RSRC2:TGID_X_EN: 1
; COMPUTE_PGM_RSRC2:TGID_Y_EN: 0
; COMPUTE_PGM_RSRC2:TGID_Z_EN: 0
; COMPUTE_PGM_RSRC2:TIDIG_COMP_CNT: 0
	.section	.text._ZN2at6native12_GLOBAL__N_125multi_tensor_apply_kernelINS1_18TensorListMetadataILi1EEENS0_13LpNormFunctorIfLNS0_8NormTypeE1EN3c108BFloat16ELi1ELi1ELi0EEEJPfiEEEvT_T0_DpT1_,"axG",@progbits,_ZN2at6native12_GLOBAL__N_125multi_tensor_apply_kernelINS1_18TensorListMetadataILi1EEENS0_13LpNormFunctorIfLNS0_8NormTypeE1EN3c108BFloat16ELi1ELi1ELi0EEEJPfiEEEvT_T0_DpT1_,comdat
	.globl	_ZN2at6native12_GLOBAL__N_125multi_tensor_apply_kernelINS1_18TensorListMetadataILi1EEENS0_13LpNormFunctorIfLNS0_8NormTypeE1EN3c108BFloat16ELi1ELi1ELi0EEEJPfiEEEvT_T0_DpT1_ ; -- Begin function _ZN2at6native12_GLOBAL__N_125multi_tensor_apply_kernelINS1_18TensorListMetadataILi1EEENS0_13LpNormFunctorIfLNS0_8NormTypeE1EN3c108BFloat16ELi1ELi1ELi0EEEJPfiEEEvT_T0_DpT1_
	.p2align	8
	.type	_ZN2at6native12_GLOBAL__N_125multi_tensor_apply_kernelINS1_18TensorListMetadataILi1EEENS0_13LpNormFunctorIfLNS0_8NormTypeE1EN3c108BFloat16ELi1ELi1ELi0EEEJPfiEEEvT_T0_DpT1_,@function
_ZN2at6native12_GLOBAL__N_125multi_tensor_apply_kernelINS1_18TensorListMetadataILi1EEENS0_13LpNormFunctorIfLNS0_8NormTypeE1EN3c108BFloat16ELi1ELi1ELi0EEEJPfiEEEvT_T0_DpT1_: ; @_ZN2at6native12_GLOBAL__N_125multi_tensor_apply_kernelINS1_18TensorListMetadataILi1EEENS0_13LpNormFunctorIfLNS0_8NormTypeE1EN3c108BFloat16ELi1ELi1ELi0EEEJPfiEEEvT_T0_DpT1_
; %bb.0:
	s_bfe_u32 s2, ttmp6, 0x4000c
	s_and_b32 s3, ttmp6, 15
	s_add_co_i32 s2, s2, 1
	s_getreg_b32 s4, hwreg(HW_REG_IB_STS2, 6, 4)
	s_mul_i32 s2, ttmp9, s2
	s_delay_alu instid0(SALU_CYCLE_1)
	s_add_co_i32 s3, s3, s2
	s_cmp_eq_u32 s4, 0
	s_cselect_b32 s2, ttmp9, s3
	s_mov_b32 s3, 0
	v_mov_b32_e32 v1, s2
	s_add_nc_u64 s[4:5], s[0:1], s[2:3]
	s_mul_u64 s[6:7], s[2:3], 3
	s_delay_alu instid0(SALU_CYCLE_1) | instskip(SKIP_4) | instid1(SALU_CYCLE_1)
	s_add_nc_u64 s[4:5], s[4:5], s[6:7]
	global_load_u8 v13, v1, s[0:1] offset:1760
	s_load_b32 s4, s[4:5], 0x820
	s_wait_kmcnt 0x0
	s_ashr_i32 s5, s4, 31
	s_lshl_b64 s[10:11], s[4:5], 18
	s_lshl_b64 s[12:13], s[4:5], 16
	s_wait_loadcnt 0x0
	v_readfirstlane_b32 s2, v13
	s_and_b32 s2, s2, 0xff
	s_clause 0x1
	s_load_b64 s[6:7], s[0:1], s2 offset:0x0 scale_offset
	s_load_b64 s[8:9], s[0:1], s2 offset:0x370 scale_offset
	s_wait_kmcnt 0x0
	s_add_nc_u64 s[6:7], s[6:7], s[10:11]
	s_and_b32 s2, s8, 3
	s_and_b64 s[10:11], s[6:7], 15
	s_sub_nc_u64 s[8:9], s[8:9], s[12:13]
	s_or_b64 s[10:11], s[2:3], s[10:11]
	s_delay_alu instid0(SALU_CYCLE_1)
	s_cmp_eq_u64 s[10:11], 0
	s_cbranch_scc1 .LBB77_12
; %bb.1:
	v_cmp_lt_i64_e64 s2, s[8:9], 1
	s_and_b32 vcc_lo, exec_lo, s2
	s_cbranch_vccnz .LBB77_28
; %bb.2:
	s_load_b32 s2, s[0:1], 0xd4c
	v_min_i64 v[10:11], 0x10000, s[8:9]
	s_mov_b32 s11, 0
	s_mov_b64 s[12:13], 0
	s_wait_kmcnt 0x0
	s_and_b32 s2, s2, 0xffff
	s_delay_alu instid0(SALU_CYCLE_1) | instskip(SKIP_3) | instid1(VALU_DEP_3)
	v_dual_mov_b32 v7, 0 :: v_dual_add_nc_u32 v16, s2, v0
	v_mad_u32 v12, s2, 3, v0
	v_lshl_add_u32 v14, s2, 1, v0
	s_lshl_b32 s10, s2, 2
	v_dual_mov_b32 v6, v7 :: v_dual_mov_b32 v8, v7
	v_mov_b32_e32 v9, v7
	s_delay_alu instid0(VALU_DEP_2) | instskip(NEXT) | instid1(VALU_DEP_2)
	v_mov_b64_e32 v[2:3], v[6:7]
	v_mov_b64_e32 v[4:5], v[8:9]
	s_branch .LBB77_4
.LBB77_3:                               ;   in Loop: Header=BB77_4 Depth=1
	s_or_b32 exec_lo, exec_lo, s2
	s_add_nc_u64 s[12:13], s[12:13], s[10:11]
	s_delay_alu instid0(SALU_CYCLE_1)
	v_cmp_lt_i64_e32 vcc_lo, s[12:13], v[10:11]
	s_cbranch_vccz .LBB77_13
.LBB77_4:                               ; =>This Inner Loop Header: Depth=1
	v_add_nc_u32_e32 v6, s12, v0
	s_delay_alu instid0(VALU_DEP_1) | instskip(SKIP_2) | instid1(SALU_CYCLE_1)
	v_cmp_gt_i64_e32 vcc_lo, s[8:9], v[6:7]
	v_cmp_gt_u32_e64 s2, 0x10000, v6
	s_and_b32 s5, s2, vcc_lo
	s_and_saveexec_b32 s2, s5
	s_cbranch_execz .LBB77_6
; %bb.5:                                ;   in Loop: Header=BB77_4 Depth=1
	v_lshl_add_u64 v[8:9], v[6:7], 2, s[6:7]
	global_load_b32 v1, v[8:9], off
	s_wait_loadcnt 0x0
	v_add_f32_e64 v2, v2, |v1|
.LBB77_6:                               ;   in Loop: Header=BB77_4 Depth=1
	s_or_b32 exec_lo, exec_lo, s2
	v_add_nc_u32_e32 v6, s12, v16
	s_delay_alu instid0(VALU_DEP_1) | instskip(SKIP_2) | instid1(SALU_CYCLE_1)
	v_cmp_gt_i64_e32 vcc_lo, s[8:9], v[6:7]
	v_cmp_gt_u32_e64 s2, 0x10000, v6
	s_and_b32 s5, s2, vcc_lo
	s_and_saveexec_b32 s2, s5
	s_cbranch_execz .LBB77_8
; %bb.7:                                ;   in Loop: Header=BB77_4 Depth=1
	v_lshl_add_u64 v[8:9], v[6:7], 2, s[6:7]
	global_load_b32 v1, v[8:9], off
	s_wait_loadcnt 0x0
	v_add_f32_e64 v3, v3, |v1|
.LBB77_8:                               ;   in Loop: Header=BB77_4 Depth=1
	s_or_b32 exec_lo, exec_lo, s2
	v_add_nc_u32_e32 v6, s12, v14
	s_delay_alu instid0(VALU_DEP_1) | instskip(SKIP_2) | instid1(SALU_CYCLE_1)
	v_cmp_gt_i64_e32 vcc_lo, s[8:9], v[6:7]
	v_cmp_gt_u32_e64 s2, 0x10000, v6
	s_and_b32 s5, s2, vcc_lo
	s_and_saveexec_b32 s2, s5
	s_cbranch_execz .LBB77_10
; %bb.9:                                ;   in Loop: Header=BB77_4 Depth=1
	v_lshl_add_u64 v[8:9], v[6:7], 2, s[6:7]
	global_load_b32 v1, v[8:9], off
	s_wait_loadcnt 0x0
	v_add_f32_e64 v4, v4, |v1|
.LBB77_10:                              ;   in Loop: Header=BB77_4 Depth=1
	s_or_b32 exec_lo, exec_lo, s2
	v_add_nc_u32_e32 v6, s12, v12
	s_delay_alu instid0(VALU_DEP_1) | instskip(SKIP_2) | instid1(SALU_CYCLE_1)
	v_cmp_gt_i64_e32 vcc_lo, s[8:9], v[6:7]
	v_cmp_gt_u32_e64 s2, 0x10000, v6
	s_and_b32 s5, s2, vcc_lo
	s_and_saveexec_b32 s2, s5
	s_cbranch_execz .LBB77_3
; %bb.11:                               ;   in Loop: Header=BB77_4 Depth=1
	v_lshl_add_u64 v[8:9], v[6:7], 2, s[6:7]
	global_load_b32 v1, v[8:9], off
	s_wait_loadcnt 0x0
	v_add_f32_e64 v5, v5, |v1|
	s_branch .LBB77_3
.LBB77_12:
	s_mov_b32 s3, -1
                                        ; implicit-def: $vgpr2_vgpr3_vgpr4_vgpr5
.LBB77_13:
	s_delay_alu instid0(SALU_CYCLE_1)
	s_and_not1_b32 vcc_lo, exec_lo, s3
	s_cbranch_vccnz .LBB77_19
.LBB77_14:
	v_min_i64 v[6:7], 0x10000, s[8:9]
	v_dual_mov_b32 v2, 0 :: v_dual_lshlrev_b32 v4, 2, v0
	s_mov_b32 s3, 0
	s_delay_alu instid0(VALU_DEP_1) | instskip(NEXT) | instid1(VALU_DEP_1)
	v_dual_mov_b32 v5, v2 :: v_dual_mov_b32 v3, v2
	v_cmp_lt_i64_e32 vcc_lo, v[4:5], v[6:7]
	v_mov_b32_e32 v4, v2
	s_and_saveexec_b32 s5, vcc_lo
	s_cbranch_execz .LBB77_18
; %bb.15:
	s_load_b32 s2, s[0:1], 0xd4c
	v_dual_mov_b32 v5, v2 :: v_dual_lshlrev_b32 v4, 4, v0
	v_dual_mov_b32 v1, v2 :: v_dual_mov_b32 v3, v2
	s_mov_b32 s8, s3
	s_delay_alu instid0(VALU_DEP_2) | instskip(NEXT) | instid1(VALU_DEP_2)
	v_add_nc_u64_e32 v[8:9], s[6:7], v[4:5]
	v_mov_b64_e32 v[10:11], v[0:1]
	v_mov_b32_e32 v4, v2
	s_mov_b32 s7, s3
	s_delay_alu instid0(VALU_DEP_3) | instskip(SKIP_2) | instid1(SALU_CYCLE_1)
	v_add_nc_u64_e32 v[8:9], 8, v[8:9]
	s_wait_kmcnt 0x0
	s_and_b32 s2, s2, 0xffff
	s_lshl_b32 s6, s2, 4
.LBB77_16:                              ; =>This Inner Loop Header: Depth=1
	global_load_b128 v[14:17], v[8:9], off offset:-8
	v_add_nc_u64_e32 v[10:11], s[2:3], v[10:11]
	s_wait_xcnt 0x0
	v_add_nc_u64_e32 v[8:9], s[6:7], v[8:9]
	s_delay_alu instid0(VALU_DEP_2) | instskip(NEXT) | instid1(VALU_DEP_1)
	v_lshlrev_b64_e32 v[18:19], 2, v[10:11]
	v_cmp_ge_i64_e32 vcc_lo, v[18:19], v[6:7]
	s_or_b32 s8, vcc_lo, s8
	s_wait_loadcnt 0x0
	v_and_b32_e32 v15, 0x7fffffff, v15
	v_and_b32_e32 v17, 0x7fffffff, v17
	;; [unrolled: 1-line block ×4, first 2 shown]
	s_delay_alu instid0(VALU_DEP_2) | instskip(NEXT) | instid1(VALU_DEP_2)
	v_pk_add_f32 v[4:5], v[4:5], v[16:17]
	v_pk_add_f32 v[2:3], v[2:3], v[14:15]
	s_and_not1_b32 exec_lo, exec_lo, s8
	s_cbranch_execnz .LBB77_16
; %bb.17:
	s_or_b32 exec_lo, exec_lo, s8
.LBB77_18:
	s_delay_alu instid0(SALU_CYCLE_1)
	s_or_b32 exec_lo, exec_lo, s5
.LBB77_19:
	v_add_f32_e32 v1, 0, v2
	v_mbcnt_lo_u32_b32 v6, -1, 0
	s_mov_b32 s2, exec_lo
	s_barrier_signal -1
	s_delay_alu instid0(VALU_DEP_2) | instskip(NEXT) | instid1(VALU_DEP_2)
	v_add_f32_e32 v1, v3, v1
	v_cmp_gt_u32_e32 vcc_lo, 24, v6
	s_barrier_wait -1
	s_delay_alu instid0(VALU_DEP_2) | instskip(SKIP_1) | instid1(VALU_DEP_2)
	v_add_f32_e32 v2, v4, v1
	v_lshl_or_b32 v1, v6, 2, 64
	v_add_f32_e32 v3, v5, v2
	v_cndmask_b32_e64 v2, 0, 8, vcc_lo
	v_cmp_gt_u32_e32 vcc_lo, 28, v6
	ds_bpermute_b32 v4, v1, v3
	v_add_lshl_u32 v2, v2, v6, 2
	s_wait_dscnt 0x0
	v_add_f32_e32 v4, v3, v4
	v_cndmask_b32_e64 v3, 0, 4, vcc_lo
	v_cmp_gt_u32_e32 vcc_lo, 30, v6
	ds_bpermute_b32 v5, v2, v4
	v_add_lshl_u32 v3, v3, v6, 2
	s_wait_dscnt 0x0
	v_add_f32_e32 v5, v4, v5
	v_cndmask_b32_e64 v4, 0, 2, vcc_lo
	v_cmp_ne_u32_e32 vcc_lo, 31, v6
	ds_bpermute_b32 v7, v3, v5
	v_add_lshl_u32 v4, v4, v6, 2
	v_add_co_ci_u32_e64 v8, null, 0, v6, vcc_lo
	s_wait_dscnt 0x0
	v_add_f32_e32 v5, v5, v7
	ds_bpermute_b32 v7, v4, v5
	s_wait_dscnt 0x0
	v_dual_add_f32 v6, v5, v7 :: v_dual_lshlrev_b32 v5, 2, v8
	v_and_b32_e32 v7, 31, v0
	ds_bpermute_b32 v8, v5, v6
	v_cmpx_eq_u32_e32 0, v7
	s_cbranch_execz .LBB77_21
; %bb.20:
	v_lshrrev_b32_e32 v9, 3, v0
	s_wait_dscnt 0x0
	v_add_f32_e32 v6, v6, v8
	ds_store_b32 v9, v6
.LBB77_21:
	s_or_b32 exec_lo, exec_lo, s2
	s_wait_dscnt 0x0
	s_barrier_signal -1
	s_barrier_wait -1
	s_load_b32 s2, s[0:1], 0xd4c
	v_mov_b32_e32 v6, 0
	s_wait_kmcnt 0x0
	s_bfe_u32 s2, s2, 0xb0005
	s_delay_alu instid0(SALU_CYCLE_1)
	v_cmp_gt_u32_e32 vcc_lo, s2, v0
	s_and_saveexec_b32 s2, vcc_lo
; %bb.22:
	v_lshlrev_b32_e32 v6, 2, v7
	ds_load_b32 v6, v6
; %bb.23:
	s_or_b32 exec_lo, exec_lo, s2
	s_delay_alu instid0(SALU_CYCLE_1)
	s_mov_b32 s2, exec_lo
	v_cmpx_gt_u32_e32 32, v0
	s_cbranch_execz .LBB77_25
; %bb.24:
	s_wait_dscnt 0x0
	ds_bpermute_b32 v1, v1, v6
	s_wait_dscnt 0x0
	v_add_f32_e32 v1, v6, v1
	ds_bpermute_b32 v2, v2, v1
	s_wait_dscnt 0x0
	v_add_f32_e32 v1, v1, v2
	;; [unrolled: 3-line block ×5, first 2 shown]
.LBB77_25:
	s_or_b32 exec_lo, exec_lo, s2
	s_delay_alu instid0(SALU_CYCLE_1)
	s_mov_b32 s2, exec_lo
	v_cmpx_eq_u32_e32 0, v0
	s_cbranch_execz .LBB77_27
; %bb.26:
	s_clause 0x1
	s_load_b32 s2, s[0:1], 0xd20
	s_load_b96 s[8:10], s[0:1], 0xd30
	v_and_b32_e32 v0, 0xff, v13
	s_wait_kmcnt 0x0
	s_delay_alu instid0(VALU_DEP_1) | instskip(NEXT) | instid1(VALU_DEP_1)
	v_add_nc_u32_e32 v0, s2, v0
	v_mul_lo_u32 v0, v0, s10
	s_delay_alu instid0(VALU_DEP_1)
	v_add_nc_u32_e32 v0, s4, v0
	s_wait_dscnt 0x0
	global_store_b32 v0, v6, s[8:9] scale_offset
.LBB77_27:
	s_endpgm
.LBB77_28:
	v_mov_b32_e32 v2, 0
	s_delay_alu instid0(VALU_DEP_1)
	v_dual_mov_b32 v3, v2 :: v_dual_mov_b32 v4, v2
	v_mov_b32_e32 v5, v2
	s_and_not1_b32 vcc_lo, exec_lo, s3
	s_cbranch_vccz .LBB77_14
	s_branch .LBB77_19
	.section	.rodata,"a",@progbits
	.p2align	6, 0x0
	.amdhsa_kernel _ZN2at6native12_GLOBAL__N_125multi_tensor_apply_kernelINS1_18TensorListMetadataILi1EEENS0_13LpNormFunctorIfLNS0_8NormTypeE1EN3c108BFloat16ELi1ELi1ELi0EEEJPfiEEEvT_T0_DpT1_
		.amdhsa_group_segment_fixed_size 2048
		.amdhsa_private_segment_fixed_size 0
		.amdhsa_kernarg_size 3648
		.amdhsa_user_sgpr_count 2
		.amdhsa_user_sgpr_dispatch_ptr 0
		.amdhsa_user_sgpr_queue_ptr 0
		.amdhsa_user_sgpr_kernarg_segment_ptr 1
		.amdhsa_user_sgpr_dispatch_id 0
		.amdhsa_user_sgpr_kernarg_preload_length 0
		.amdhsa_user_sgpr_kernarg_preload_offset 0
		.amdhsa_user_sgpr_private_segment_size 0
		.amdhsa_wavefront_size32 1
		.amdhsa_uses_dynamic_stack 0
		.amdhsa_enable_private_segment 0
		.amdhsa_system_sgpr_workgroup_id_x 1
		.amdhsa_system_sgpr_workgroup_id_y 0
		.amdhsa_system_sgpr_workgroup_id_z 0
		.amdhsa_system_sgpr_workgroup_info 0
		.amdhsa_system_vgpr_workitem_id 0
		.amdhsa_next_free_vgpr 20
		.amdhsa_next_free_sgpr 14
		.amdhsa_named_barrier_count 0
		.amdhsa_reserve_vcc 1
		.amdhsa_float_round_mode_32 0
		.amdhsa_float_round_mode_16_64 0
		.amdhsa_float_denorm_mode_32 3
		.amdhsa_float_denorm_mode_16_64 3
		.amdhsa_fp16_overflow 0
		.amdhsa_memory_ordered 1
		.amdhsa_forward_progress 1
		.amdhsa_inst_pref_size 11
		.amdhsa_round_robin_scheduling 0
		.amdhsa_exception_fp_ieee_invalid_op 0
		.amdhsa_exception_fp_denorm_src 0
		.amdhsa_exception_fp_ieee_div_zero 0
		.amdhsa_exception_fp_ieee_overflow 0
		.amdhsa_exception_fp_ieee_underflow 0
		.amdhsa_exception_fp_ieee_inexact 0
		.amdhsa_exception_int_div_zero 0
	.end_amdhsa_kernel
	.section	.text._ZN2at6native12_GLOBAL__N_125multi_tensor_apply_kernelINS1_18TensorListMetadataILi1EEENS0_13LpNormFunctorIfLNS0_8NormTypeE1EN3c108BFloat16ELi1ELi1ELi0EEEJPfiEEEvT_T0_DpT1_,"axG",@progbits,_ZN2at6native12_GLOBAL__N_125multi_tensor_apply_kernelINS1_18TensorListMetadataILi1EEENS0_13LpNormFunctorIfLNS0_8NormTypeE1EN3c108BFloat16ELi1ELi1ELi0EEEJPfiEEEvT_T0_DpT1_,comdat
.Lfunc_end77:
	.size	_ZN2at6native12_GLOBAL__N_125multi_tensor_apply_kernelINS1_18TensorListMetadataILi1EEENS0_13LpNormFunctorIfLNS0_8NormTypeE1EN3c108BFloat16ELi1ELi1ELi0EEEJPfiEEEvT_T0_DpT1_, .Lfunc_end77-_ZN2at6native12_GLOBAL__N_125multi_tensor_apply_kernelINS1_18TensorListMetadataILi1EEENS0_13LpNormFunctorIfLNS0_8NormTypeE1EN3c108BFloat16ELi1ELi1ELi0EEEJPfiEEEvT_T0_DpT1_
                                        ; -- End function
	.set _ZN2at6native12_GLOBAL__N_125multi_tensor_apply_kernelINS1_18TensorListMetadataILi1EEENS0_13LpNormFunctorIfLNS0_8NormTypeE1EN3c108BFloat16ELi1ELi1ELi0EEEJPfiEEEvT_T0_DpT1_.num_vgpr, 20
	.set _ZN2at6native12_GLOBAL__N_125multi_tensor_apply_kernelINS1_18TensorListMetadataILi1EEENS0_13LpNormFunctorIfLNS0_8NormTypeE1EN3c108BFloat16ELi1ELi1ELi0EEEJPfiEEEvT_T0_DpT1_.num_agpr, 0
	.set _ZN2at6native12_GLOBAL__N_125multi_tensor_apply_kernelINS1_18TensorListMetadataILi1EEENS0_13LpNormFunctorIfLNS0_8NormTypeE1EN3c108BFloat16ELi1ELi1ELi0EEEJPfiEEEvT_T0_DpT1_.numbered_sgpr, 14
	.set _ZN2at6native12_GLOBAL__N_125multi_tensor_apply_kernelINS1_18TensorListMetadataILi1EEENS0_13LpNormFunctorIfLNS0_8NormTypeE1EN3c108BFloat16ELi1ELi1ELi0EEEJPfiEEEvT_T0_DpT1_.num_named_barrier, 0
	.set _ZN2at6native12_GLOBAL__N_125multi_tensor_apply_kernelINS1_18TensorListMetadataILi1EEENS0_13LpNormFunctorIfLNS0_8NormTypeE1EN3c108BFloat16ELi1ELi1ELi0EEEJPfiEEEvT_T0_DpT1_.private_seg_size, 0
	.set _ZN2at6native12_GLOBAL__N_125multi_tensor_apply_kernelINS1_18TensorListMetadataILi1EEENS0_13LpNormFunctorIfLNS0_8NormTypeE1EN3c108BFloat16ELi1ELi1ELi0EEEJPfiEEEvT_T0_DpT1_.uses_vcc, 1
	.set _ZN2at6native12_GLOBAL__N_125multi_tensor_apply_kernelINS1_18TensorListMetadataILi1EEENS0_13LpNormFunctorIfLNS0_8NormTypeE1EN3c108BFloat16ELi1ELi1ELi0EEEJPfiEEEvT_T0_DpT1_.uses_flat_scratch, 0
	.set _ZN2at6native12_GLOBAL__N_125multi_tensor_apply_kernelINS1_18TensorListMetadataILi1EEENS0_13LpNormFunctorIfLNS0_8NormTypeE1EN3c108BFloat16ELi1ELi1ELi0EEEJPfiEEEvT_T0_DpT1_.has_dyn_sized_stack, 0
	.set _ZN2at6native12_GLOBAL__N_125multi_tensor_apply_kernelINS1_18TensorListMetadataILi1EEENS0_13LpNormFunctorIfLNS0_8NormTypeE1EN3c108BFloat16ELi1ELi1ELi0EEEJPfiEEEvT_T0_DpT1_.has_recursion, 0
	.set _ZN2at6native12_GLOBAL__N_125multi_tensor_apply_kernelINS1_18TensorListMetadataILi1EEENS0_13LpNormFunctorIfLNS0_8NormTypeE1EN3c108BFloat16ELi1ELi1ELi0EEEJPfiEEEvT_T0_DpT1_.has_indirect_call, 0
	.section	.AMDGPU.csdata,"",@progbits
; Kernel info:
; codeLenInByte = 1396
; TotalNumSgprs: 16
; NumVgprs: 20
; ScratchSize: 0
; MemoryBound: 0
; FloatMode: 240
; IeeeMode: 1
; LDSByteSize: 2048 bytes/workgroup (compile time only)
; SGPRBlocks: 0
; VGPRBlocks: 1
; NumSGPRsForWavesPerEU: 16
; NumVGPRsForWavesPerEU: 20
; NamedBarCnt: 0
; Occupancy: 16
; WaveLimiterHint : 0
; COMPUTE_PGM_RSRC2:SCRATCH_EN: 0
; COMPUTE_PGM_RSRC2:USER_SGPR: 2
; COMPUTE_PGM_RSRC2:TRAP_HANDLER: 0
; COMPUTE_PGM_RSRC2:TGID_X_EN: 1
; COMPUTE_PGM_RSRC2:TGID_Y_EN: 0
; COMPUTE_PGM_RSRC2:TGID_Z_EN: 0
; COMPUTE_PGM_RSRC2:TIDIG_COMP_CNT: 0
	.section	.text._ZN2at6native12_GLOBAL__N_125multi_tensor_apply_kernelINS1_18TensorListMetadataILi1EEENS0_13LpNormFunctorIfLNS0_8NormTypeE2EN3c108BFloat16ELi1ELi1ELi0EEEJPfiEEEvT_T0_DpT1_,"axG",@progbits,_ZN2at6native12_GLOBAL__N_125multi_tensor_apply_kernelINS1_18TensorListMetadataILi1EEENS0_13LpNormFunctorIfLNS0_8NormTypeE2EN3c108BFloat16ELi1ELi1ELi0EEEJPfiEEEvT_T0_DpT1_,comdat
	.globl	_ZN2at6native12_GLOBAL__N_125multi_tensor_apply_kernelINS1_18TensorListMetadataILi1EEENS0_13LpNormFunctorIfLNS0_8NormTypeE2EN3c108BFloat16ELi1ELi1ELi0EEEJPfiEEEvT_T0_DpT1_ ; -- Begin function _ZN2at6native12_GLOBAL__N_125multi_tensor_apply_kernelINS1_18TensorListMetadataILi1EEENS0_13LpNormFunctorIfLNS0_8NormTypeE2EN3c108BFloat16ELi1ELi1ELi0EEEJPfiEEEvT_T0_DpT1_
	.p2align	8
	.type	_ZN2at6native12_GLOBAL__N_125multi_tensor_apply_kernelINS1_18TensorListMetadataILi1EEENS0_13LpNormFunctorIfLNS0_8NormTypeE2EN3c108BFloat16ELi1ELi1ELi0EEEJPfiEEEvT_T0_DpT1_,@function
_ZN2at6native12_GLOBAL__N_125multi_tensor_apply_kernelINS1_18TensorListMetadataILi1EEENS0_13LpNormFunctorIfLNS0_8NormTypeE2EN3c108BFloat16ELi1ELi1ELi0EEEJPfiEEEvT_T0_DpT1_: ; @_ZN2at6native12_GLOBAL__N_125multi_tensor_apply_kernelINS1_18TensorListMetadataILi1EEENS0_13LpNormFunctorIfLNS0_8NormTypeE2EN3c108BFloat16ELi1ELi1ELi0EEEJPfiEEEvT_T0_DpT1_
; %bb.0:
	s_bfe_u32 s2, ttmp6, 0x4000c
	s_and_b32 s3, ttmp6, 15
	s_add_co_i32 s2, s2, 1
	s_getreg_b32 s4, hwreg(HW_REG_IB_STS2, 6, 4)
	s_mul_i32 s2, ttmp9, s2
	s_delay_alu instid0(SALU_CYCLE_1)
	s_add_co_i32 s3, s3, s2
	s_cmp_eq_u32 s4, 0
	s_cselect_b32 s2, ttmp9, s3
	s_mov_b32 s3, 0
	v_mov_b32_e32 v1, s2
	s_add_nc_u64 s[4:5], s[0:1], s[2:3]
	s_mul_u64 s[6:7], s[2:3], 3
	s_delay_alu instid0(SALU_CYCLE_1) | instskip(SKIP_4) | instid1(SALU_CYCLE_1)
	s_add_nc_u64 s[4:5], s[4:5], s[6:7]
	global_load_u8 v13, v1, s[0:1] offset:1760
	s_load_b32 s4, s[4:5], 0x820
	s_wait_kmcnt 0x0
	s_ashr_i32 s5, s4, 31
	s_lshl_b64 s[10:11], s[4:5], 18
	s_lshl_b64 s[12:13], s[4:5], 16
	s_wait_loadcnt 0x0
	v_readfirstlane_b32 s2, v13
	s_and_b32 s2, s2, 0xff
	s_clause 0x1
	s_load_b64 s[6:7], s[0:1], s2 offset:0x0 scale_offset
	s_load_b64 s[8:9], s[0:1], s2 offset:0x370 scale_offset
	s_wait_kmcnt 0x0
	s_add_nc_u64 s[6:7], s[6:7], s[10:11]
	s_and_b32 s2, s8, 3
	s_and_b64 s[10:11], s[6:7], 15
	s_sub_nc_u64 s[8:9], s[8:9], s[12:13]
	s_or_b64 s[10:11], s[2:3], s[10:11]
	s_delay_alu instid0(SALU_CYCLE_1)
	s_cmp_eq_u64 s[10:11], 0
	s_cbranch_scc1 .LBB78_12
; %bb.1:
	v_cmp_lt_i64_e64 s2, s[8:9], 1
	s_and_b32 vcc_lo, exec_lo, s2
	s_cbranch_vccnz .LBB78_28
; %bb.2:
	s_load_b32 s2, s[0:1], 0xd4c
	v_min_i64 v[10:11], 0x10000, s[8:9]
	s_mov_b32 s11, 0
	s_mov_b64 s[12:13], 0
	s_wait_kmcnt 0x0
	s_and_b32 s2, s2, 0xffff
	s_delay_alu instid0(SALU_CYCLE_1) | instskip(SKIP_3) | instid1(VALU_DEP_3)
	v_dual_mov_b32 v7, 0 :: v_dual_add_nc_u32 v16, s2, v0
	v_mad_u32 v12, s2, 3, v0
	v_lshl_add_u32 v14, s2, 1, v0
	s_lshl_b32 s10, s2, 2
	v_dual_mov_b32 v6, v7 :: v_dual_mov_b32 v8, v7
	v_mov_b32_e32 v9, v7
	s_delay_alu instid0(VALU_DEP_2) | instskip(NEXT) | instid1(VALU_DEP_2)
	v_mov_b64_e32 v[2:3], v[6:7]
	v_mov_b64_e32 v[4:5], v[8:9]
	s_branch .LBB78_4
.LBB78_3:                               ;   in Loop: Header=BB78_4 Depth=1
	s_or_b32 exec_lo, exec_lo, s2
	s_add_nc_u64 s[12:13], s[12:13], s[10:11]
	s_delay_alu instid0(SALU_CYCLE_1)
	v_cmp_lt_i64_e32 vcc_lo, s[12:13], v[10:11]
	s_cbranch_vccz .LBB78_13
.LBB78_4:                               ; =>This Inner Loop Header: Depth=1
	v_add_nc_u32_e32 v6, s12, v0
	s_delay_alu instid0(VALU_DEP_1) | instskip(SKIP_2) | instid1(SALU_CYCLE_1)
	v_cmp_gt_i64_e32 vcc_lo, s[8:9], v[6:7]
	v_cmp_gt_u32_e64 s2, 0x10000, v6
	s_and_b32 s5, s2, vcc_lo
	s_and_saveexec_b32 s2, s5
	s_cbranch_execz .LBB78_6
; %bb.5:                                ;   in Loop: Header=BB78_4 Depth=1
	v_lshl_add_u64 v[8:9], v[6:7], 2, s[6:7]
	global_load_b32 v1, v[8:9], off
	s_wait_loadcnt 0x0
	v_fma_f32 v2, v1, v1, v2
.LBB78_6:                               ;   in Loop: Header=BB78_4 Depth=1
	s_or_b32 exec_lo, exec_lo, s2
	v_add_nc_u32_e32 v6, s12, v16
	s_delay_alu instid0(VALU_DEP_1) | instskip(SKIP_2) | instid1(SALU_CYCLE_1)
	v_cmp_gt_i64_e32 vcc_lo, s[8:9], v[6:7]
	v_cmp_gt_u32_e64 s2, 0x10000, v6
	s_and_b32 s5, s2, vcc_lo
	s_and_saveexec_b32 s2, s5
	s_cbranch_execz .LBB78_8
; %bb.7:                                ;   in Loop: Header=BB78_4 Depth=1
	v_lshl_add_u64 v[8:9], v[6:7], 2, s[6:7]
	global_load_b32 v1, v[8:9], off
	s_wait_loadcnt 0x0
	v_fma_f32 v3, v1, v1, v3
.LBB78_8:                               ;   in Loop: Header=BB78_4 Depth=1
	s_or_b32 exec_lo, exec_lo, s2
	v_add_nc_u32_e32 v6, s12, v14
	s_delay_alu instid0(VALU_DEP_1) | instskip(SKIP_2) | instid1(SALU_CYCLE_1)
	v_cmp_gt_i64_e32 vcc_lo, s[8:9], v[6:7]
	v_cmp_gt_u32_e64 s2, 0x10000, v6
	s_and_b32 s5, s2, vcc_lo
	s_and_saveexec_b32 s2, s5
	s_cbranch_execz .LBB78_10
; %bb.9:                                ;   in Loop: Header=BB78_4 Depth=1
	v_lshl_add_u64 v[8:9], v[6:7], 2, s[6:7]
	global_load_b32 v1, v[8:9], off
	s_wait_loadcnt 0x0
	v_fma_f32 v4, v1, v1, v4
.LBB78_10:                              ;   in Loop: Header=BB78_4 Depth=1
	s_or_b32 exec_lo, exec_lo, s2
	v_add_nc_u32_e32 v6, s12, v12
	s_delay_alu instid0(VALU_DEP_1) | instskip(SKIP_2) | instid1(SALU_CYCLE_1)
	v_cmp_gt_i64_e32 vcc_lo, s[8:9], v[6:7]
	v_cmp_gt_u32_e64 s2, 0x10000, v6
	s_and_b32 s5, s2, vcc_lo
	s_and_saveexec_b32 s2, s5
	s_cbranch_execz .LBB78_3
; %bb.11:                               ;   in Loop: Header=BB78_4 Depth=1
	v_lshl_add_u64 v[8:9], v[6:7], 2, s[6:7]
	global_load_b32 v1, v[8:9], off
	s_wait_loadcnt 0x0
	v_fma_f32 v5, v1, v1, v5
	s_branch .LBB78_3
.LBB78_12:
	s_mov_b32 s3, -1
                                        ; implicit-def: $vgpr2_vgpr3_vgpr4_vgpr5
.LBB78_13:
	s_delay_alu instid0(SALU_CYCLE_1)
	s_and_not1_b32 vcc_lo, exec_lo, s3
	s_cbranch_vccnz .LBB78_19
.LBB78_14:
	v_min_i64 v[6:7], 0x10000, s[8:9]
	v_dual_mov_b32 v2, 0 :: v_dual_lshlrev_b32 v4, 2, v0
	s_mov_b32 s3, 0
	s_delay_alu instid0(VALU_DEP_1) | instskip(NEXT) | instid1(VALU_DEP_1)
	v_dual_mov_b32 v5, v2 :: v_dual_mov_b32 v3, v2
	v_cmp_lt_i64_e32 vcc_lo, v[4:5], v[6:7]
	v_mov_b32_e32 v4, v2
	s_and_saveexec_b32 s5, vcc_lo
	s_cbranch_execz .LBB78_18
; %bb.15:
	s_load_b32 s2, s[0:1], 0xd4c
	v_dual_mov_b32 v5, v2 :: v_dual_lshlrev_b32 v4, 4, v0
	v_dual_mov_b32 v1, v2 :: v_dual_mov_b32 v3, v2
	s_mov_b32 s8, s3
	s_delay_alu instid0(VALU_DEP_2) | instskip(NEXT) | instid1(VALU_DEP_2)
	v_add_nc_u64_e32 v[8:9], s[6:7], v[4:5]
	v_mov_b64_e32 v[10:11], v[0:1]
	v_mov_b32_e32 v4, v2
	s_mov_b32 s7, s3
	s_delay_alu instid0(VALU_DEP_3) | instskip(SKIP_2) | instid1(SALU_CYCLE_1)
	v_add_nc_u64_e32 v[8:9], 8, v[8:9]
	s_wait_kmcnt 0x0
	s_and_b32 s2, s2, 0xffff
	s_lshl_b32 s6, s2, 4
.LBB78_16:                              ; =>This Inner Loop Header: Depth=1
	global_load_b128 v[14:17], v[8:9], off offset:-8
	v_add_nc_u64_e32 v[10:11], s[2:3], v[10:11]
	s_wait_xcnt 0x0
	v_add_nc_u64_e32 v[8:9], s[6:7], v[8:9]
	s_delay_alu instid0(VALU_DEP_2) | instskip(NEXT) | instid1(VALU_DEP_1)
	v_lshlrev_b64_e32 v[18:19], 2, v[10:11]
	v_cmp_ge_i64_e32 vcc_lo, v[18:19], v[6:7]
	s_or_b32 s8, vcc_lo, s8
	s_wait_loadcnt 0x0
	v_pk_fma_f32 v[4:5], v[16:17], v[16:17], v[4:5]
	v_pk_fma_f32 v[2:3], v[14:15], v[14:15], v[2:3]
	s_and_not1_b32 exec_lo, exec_lo, s8
	s_cbranch_execnz .LBB78_16
; %bb.17:
	s_or_b32 exec_lo, exec_lo, s8
.LBB78_18:
	s_delay_alu instid0(SALU_CYCLE_1)
	s_or_b32 exec_lo, exec_lo, s5
.LBB78_19:
	v_add_f32_e32 v1, 0, v2
	v_mbcnt_lo_u32_b32 v6, -1, 0
	s_mov_b32 s2, exec_lo
	s_barrier_signal -1
	s_delay_alu instid0(VALU_DEP_2) | instskip(NEXT) | instid1(VALU_DEP_2)
	v_add_f32_e32 v1, v3, v1
	v_cmp_gt_u32_e32 vcc_lo, 24, v6
	s_barrier_wait -1
	s_delay_alu instid0(VALU_DEP_2) | instskip(SKIP_1) | instid1(VALU_DEP_2)
	v_add_f32_e32 v2, v4, v1
	v_lshl_or_b32 v1, v6, 2, 64
	v_add_f32_e32 v3, v5, v2
	v_cndmask_b32_e64 v2, 0, 8, vcc_lo
	v_cmp_gt_u32_e32 vcc_lo, 28, v6
	ds_bpermute_b32 v4, v1, v3
	v_add_lshl_u32 v2, v2, v6, 2
	s_wait_dscnt 0x0
	v_add_f32_e32 v4, v3, v4
	v_cndmask_b32_e64 v3, 0, 4, vcc_lo
	v_cmp_gt_u32_e32 vcc_lo, 30, v6
	ds_bpermute_b32 v5, v2, v4
	v_add_lshl_u32 v3, v3, v6, 2
	s_wait_dscnt 0x0
	v_add_f32_e32 v5, v4, v5
	v_cndmask_b32_e64 v4, 0, 2, vcc_lo
	v_cmp_ne_u32_e32 vcc_lo, 31, v6
	ds_bpermute_b32 v7, v3, v5
	v_add_lshl_u32 v4, v4, v6, 2
	v_add_co_ci_u32_e64 v8, null, 0, v6, vcc_lo
	s_wait_dscnt 0x0
	v_add_f32_e32 v5, v5, v7
	ds_bpermute_b32 v7, v4, v5
	s_wait_dscnt 0x0
	v_dual_add_f32 v6, v5, v7 :: v_dual_lshlrev_b32 v5, 2, v8
	v_and_b32_e32 v7, 31, v0
	ds_bpermute_b32 v8, v5, v6
	v_cmpx_eq_u32_e32 0, v7
	s_cbranch_execz .LBB78_21
; %bb.20:
	v_lshrrev_b32_e32 v9, 3, v0
	s_wait_dscnt 0x0
	v_add_f32_e32 v6, v6, v8
	ds_store_b32 v9, v6
.LBB78_21:
	s_or_b32 exec_lo, exec_lo, s2
	s_wait_dscnt 0x0
	s_barrier_signal -1
	s_barrier_wait -1
	s_load_b32 s2, s[0:1], 0xd4c
	v_mov_b32_e32 v6, 0
	s_wait_kmcnt 0x0
	s_bfe_u32 s2, s2, 0xb0005
	s_delay_alu instid0(SALU_CYCLE_1)
	v_cmp_gt_u32_e32 vcc_lo, s2, v0
	s_and_saveexec_b32 s2, vcc_lo
; %bb.22:
	v_lshlrev_b32_e32 v6, 2, v7
	ds_load_b32 v6, v6
; %bb.23:
	s_or_b32 exec_lo, exec_lo, s2
	s_delay_alu instid0(SALU_CYCLE_1)
	s_mov_b32 s2, exec_lo
	v_cmpx_gt_u32_e32 32, v0
	s_cbranch_execz .LBB78_25
; %bb.24:
	s_wait_dscnt 0x0
	ds_bpermute_b32 v1, v1, v6
	s_wait_dscnt 0x0
	v_add_f32_e32 v1, v6, v1
	ds_bpermute_b32 v2, v2, v1
	s_wait_dscnt 0x0
	v_add_f32_e32 v1, v1, v2
	;; [unrolled: 3-line block ×5, first 2 shown]
.LBB78_25:
	s_or_b32 exec_lo, exec_lo, s2
	s_delay_alu instid0(SALU_CYCLE_1)
	s_mov_b32 s2, exec_lo
	v_cmpx_eq_u32_e32 0, v0
	s_cbranch_execz .LBB78_27
; %bb.26:
	s_clause 0x1
	s_load_b32 s2, s[0:1], 0xd20
	s_load_b96 s[8:10], s[0:1], 0xd30
	v_and_b32_e32 v0, 0xff, v13
	s_wait_kmcnt 0x0
	s_delay_alu instid0(VALU_DEP_1) | instskip(NEXT) | instid1(VALU_DEP_1)
	v_add_nc_u32_e32 v0, s2, v0
	v_mul_lo_u32 v0, v0, s10
	s_delay_alu instid0(VALU_DEP_1)
	v_add_nc_u32_e32 v0, s4, v0
	s_wait_dscnt 0x0
	global_store_b32 v0, v6, s[8:9] scale_offset
.LBB78_27:
	s_endpgm
.LBB78_28:
	v_mov_b32_e32 v2, 0
	s_delay_alu instid0(VALU_DEP_1)
	v_dual_mov_b32 v3, v2 :: v_dual_mov_b32 v4, v2
	v_mov_b32_e32 v5, v2
	s_and_not1_b32 vcc_lo, exec_lo, s3
	s_cbranch_vccz .LBB78_14
	s_branch .LBB78_19
	.section	.rodata,"a",@progbits
	.p2align	6, 0x0
	.amdhsa_kernel _ZN2at6native12_GLOBAL__N_125multi_tensor_apply_kernelINS1_18TensorListMetadataILi1EEENS0_13LpNormFunctorIfLNS0_8NormTypeE2EN3c108BFloat16ELi1ELi1ELi0EEEJPfiEEEvT_T0_DpT1_
		.amdhsa_group_segment_fixed_size 2048
		.amdhsa_private_segment_fixed_size 0
		.amdhsa_kernarg_size 3648
		.amdhsa_user_sgpr_count 2
		.amdhsa_user_sgpr_dispatch_ptr 0
		.amdhsa_user_sgpr_queue_ptr 0
		.amdhsa_user_sgpr_kernarg_segment_ptr 1
		.amdhsa_user_sgpr_dispatch_id 0
		.amdhsa_user_sgpr_kernarg_preload_length 0
		.amdhsa_user_sgpr_kernarg_preload_offset 0
		.amdhsa_user_sgpr_private_segment_size 0
		.amdhsa_wavefront_size32 1
		.amdhsa_uses_dynamic_stack 0
		.amdhsa_enable_private_segment 0
		.amdhsa_system_sgpr_workgroup_id_x 1
		.amdhsa_system_sgpr_workgroup_id_y 0
		.amdhsa_system_sgpr_workgroup_id_z 0
		.amdhsa_system_sgpr_workgroup_info 0
		.amdhsa_system_vgpr_workitem_id 0
		.amdhsa_next_free_vgpr 20
		.amdhsa_next_free_sgpr 14
		.amdhsa_named_barrier_count 0
		.amdhsa_reserve_vcc 1
		.amdhsa_float_round_mode_32 0
		.amdhsa_float_round_mode_16_64 0
		.amdhsa_float_denorm_mode_32 3
		.amdhsa_float_denorm_mode_16_64 3
		.amdhsa_fp16_overflow 0
		.amdhsa_memory_ordered 1
		.amdhsa_forward_progress 1
		.amdhsa_inst_pref_size 11
		.amdhsa_round_robin_scheduling 0
		.amdhsa_exception_fp_ieee_invalid_op 0
		.amdhsa_exception_fp_denorm_src 0
		.amdhsa_exception_fp_ieee_div_zero 0
		.amdhsa_exception_fp_ieee_overflow 0
		.amdhsa_exception_fp_ieee_underflow 0
		.amdhsa_exception_fp_ieee_inexact 0
		.amdhsa_exception_int_div_zero 0
	.end_amdhsa_kernel
	.section	.text._ZN2at6native12_GLOBAL__N_125multi_tensor_apply_kernelINS1_18TensorListMetadataILi1EEENS0_13LpNormFunctorIfLNS0_8NormTypeE2EN3c108BFloat16ELi1ELi1ELi0EEEJPfiEEEvT_T0_DpT1_,"axG",@progbits,_ZN2at6native12_GLOBAL__N_125multi_tensor_apply_kernelINS1_18TensorListMetadataILi1EEENS0_13LpNormFunctorIfLNS0_8NormTypeE2EN3c108BFloat16ELi1ELi1ELi0EEEJPfiEEEvT_T0_DpT1_,comdat
.Lfunc_end78:
	.size	_ZN2at6native12_GLOBAL__N_125multi_tensor_apply_kernelINS1_18TensorListMetadataILi1EEENS0_13LpNormFunctorIfLNS0_8NormTypeE2EN3c108BFloat16ELi1ELi1ELi0EEEJPfiEEEvT_T0_DpT1_, .Lfunc_end78-_ZN2at6native12_GLOBAL__N_125multi_tensor_apply_kernelINS1_18TensorListMetadataILi1EEENS0_13LpNormFunctorIfLNS0_8NormTypeE2EN3c108BFloat16ELi1ELi1ELi0EEEJPfiEEEvT_T0_DpT1_
                                        ; -- End function
	.set _ZN2at6native12_GLOBAL__N_125multi_tensor_apply_kernelINS1_18TensorListMetadataILi1EEENS0_13LpNormFunctorIfLNS0_8NormTypeE2EN3c108BFloat16ELi1ELi1ELi0EEEJPfiEEEvT_T0_DpT1_.num_vgpr, 20
	.set _ZN2at6native12_GLOBAL__N_125multi_tensor_apply_kernelINS1_18TensorListMetadataILi1EEENS0_13LpNormFunctorIfLNS0_8NormTypeE2EN3c108BFloat16ELi1ELi1ELi0EEEJPfiEEEvT_T0_DpT1_.num_agpr, 0
	.set _ZN2at6native12_GLOBAL__N_125multi_tensor_apply_kernelINS1_18TensorListMetadataILi1EEENS0_13LpNormFunctorIfLNS0_8NormTypeE2EN3c108BFloat16ELi1ELi1ELi0EEEJPfiEEEvT_T0_DpT1_.numbered_sgpr, 14
	.set _ZN2at6native12_GLOBAL__N_125multi_tensor_apply_kernelINS1_18TensorListMetadataILi1EEENS0_13LpNormFunctorIfLNS0_8NormTypeE2EN3c108BFloat16ELi1ELi1ELi0EEEJPfiEEEvT_T0_DpT1_.num_named_barrier, 0
	.set _ZN2at6native12_GLOBAL__N_125multi_tensor_apply_kernelINS1_18TensorListMetadataILi1EEENS0_13LpNormFunctorIfLNS0_8NormTypeE2EN3c108BFloat16ELi1ELi1ELi0EEEJPfiEEEvT_T0_DpT1_.private_seg_size, 0
	.set _ZN2at6native12_GLOBAL__N_125multi_tensor_apply_kernelINS1_18TensorListMetadataILi1EEENS0_13LpNormFunctorIfLNS0_8NormTypeE2EN3c108BFloat16ELi1ELi1ELi0EEEJPfiEEEvT_T0_DpT1_.uses_vcc, 1
	.set _ZN2at6native12_GLOBAL__N_125multi_tensor_apply_kernelINS1_18TensorListMetadataILi1EEENS0_13LpNormFunctorIfLNS0_8NormTypeE2EN3c108BFloat16ELi1ELi1ELi0EEEJPfiEEEvT_T0_DpT1_.uses_flat_scratch, 0
	.set _ZN2at6native12_GLOBAL__N_125multi_tensor_apply_kernelINS1_18TensorListMetadataILi1EEENS0_13LpNormFunctorIfLNS0_8NormTypeE2EN3c108BFloat16ELi1ELi1ELi0EEEJPfiEEEvT_T0_DpT1_.has_dyn_sized_stack, 0
	.set _ZN2at6native12_GLOBAL__N_125multi_tensor_apply_kernelINS1_18TensorListMetadataILi1EEENS0_13LpNormFunctorIfLNS0_8NormTypeE2EN3c108BFloat16ELi1ELi1ELi0EEEJPfiEEEvT_T0_DpT1_.has_recursion, 0
	.set _ZN2at6native12_GLOBAL__N_125multi_tensor_apply_kernelINS1_18TensorListMetadataILi1EEENS0_13LpNormFunctorIfLNS0_8NormTypeE2EN3c108BFloat16ELi1ELi1ELi0EEEJPfiEEEvT_T0_DpT1_.has_indirect_call, 0
	.section	.AMDGPU.csdata,"",@progbits
; Kernel info:
; codeLenInByte = 1360
; TotalNumSgprs: 16
; NumVgprs: 20
; ScratchSize: 0
; MemoryBound: 0
; FloatMode: 240
; IeeeMode: 1
; LDSByteSize: 2048 bytes/workgroup (compile time only)
; SGPRBlocks: 0
; VGPRBlocks: 1
; NumSGPRsForWavesPerEU: 16
; NumVGPRsForWavesPerEU: 20
; NamedBarCnt: 0
; Occupancy: 16
; WaveLimiterHint : 0
; COMPUTE_PGM_RSRC2:SCRATCH_EN: 0
; COMPUTE_PGM_RSRC2:USER_SGPR: 2
; COMPUTE_PGM_RSRC2:TRAP_HANDLER: 0
; COMPUTE_PGM_RSRC2:TGID_X_EN: 1
; COMPUTE_PGM_RSRC2:TGID_Y_EN: 0
; COMPUTE_PGM_RSRC2:TGID_Z_EN: 0
; COMPUTE_PGM_RSRC2:TIDIG_COMP_CNT: 0
	.section	.text._ZN2at6native12_GLOBAL__N_125multi_tensor_apply_kernelINS1_18TensorListMetadataILi1EEENS0_13LpNormFunctorIfLNS0_8NormTypeE3EN3c108BFloat16ELi1ELi1ELi0EEEJPfiEEEvT_T0_DpT1_,"axG",@progbits,_ZN2at6native12_GLOBAL__N_125multi_tensor_apply_kernelINS1_18TensorListMetadataILi1EEENS0_13LpNormFunctorIfLNS0_8NormTypeE3EN3c108BFloat16ELi1ELi1ELi0EEEJPfiEEEvT_T0_DpT1_,comdat
	.globl	_ZN2at6native12_GLOBAL__N_125multi_tensor_apply_kernelINS1_18TensorListMetadataILi1EEENS0_13LpNormFunctorIfLNS0_8NormTypeE3EN3c108BFloat16ELi1ELi1ELi0EEEJPfiEEEvT_T0_DpT1_ ; -- Begin function _ZN2at6native12_GLOBAL__N_125multi_tensor_apply_kernelINS1_18TensorListMetadataILi1EEENS0_13LpNormFunctorIfLNS0_8NormTypeE3EN3c108BFloat16ELi1ELi1ELi0EEEJPfiEEEvT_T0_DpT1_
	.p2align	8
	.type	_ZN2at6native12_GLOBAL__N_125multi_tensor_apply_kernelINS1_18TensorListMetadataILi1EEENS0_13LpNormFunctorIfLNS0_8NormTypeE3EN3c108BFloat16ELi1ELi1ELi0EEEJPfiEEEvT_T0_DpT1_,@function
_ZN2at6native12_GLOBAL__N_125multi_tensor_apply_kernelINS1_18TensorListMetadataILi1EEENS0_13LpNormFunctorIfLNS0_8NormTypeE3EN3c108BFloat16ELi1ELi1ELi0EEEJPfiEEEvT_T0_DpT1_: ; @_ZN2at6native12_GLOBAL__N_125multi_tensor_apply_kernelINS1_18TensorListMetadataILi1EEENS0_13LpNormFunctorIfLNS0_8NormTypeE3EN3c108BFloat16ELi1ELi1ELi0EEEJPfiEEEvT_T0_DpT1_
; %bb.0:
	s_bfe_u32 s2, ttmp6, 0x4000c
	s_and_b32 s3, ttmp6, 15
	s_add_co_i32 s2, s2, 1
	s_getreg_b32 s4, hwreg(HW_REG_IB_STS2, 6, 4)
	s_mul_i32 s2, ttmp9, s2
	s_delay_alu instid0(SALU_CYCLE_1)
	s_add_co_i32 s3, s3, s2
	s_cmp_eq_u32 s4, 0
	s_cselect_b32 s2, ttmp9, s3
	s_mov_b32 s3, 0
	v_mov_b32_e32 v1, s2
	s_add_nc_u64 s[4:5], s[0:1], s[2:3]
	s_mul_u64 s[6:7], s[2:3], 3
	s_delay_alu instid0(SALU_CYCLE_1) | instskip(SKIP_4) | instid1(SALU_CYCLE_1)
	s_add_nc_u64 s[4:5], s[4:5], s[6:7]
	global_load_u8 v15, v1, s[0:1] offset:1760
	s_load_b32 s6, s[4:5], 0x820
	s_wait_kmcnt 0x0
	s_ashr_i32 s7, s6, 31
	s_lshl_b64 s[10:11], s[6:7], 18
	s_lshl_b64 s[12:13], s[6:7], 16
	s_wait_loadcnt 0x0
	v_readfirstlane_b32 s2, v15
	s_and_b32 s2, s2, 0xff
	s_clause 0x1
	s_load_b64 s[4:5], s[0:1], s2 offset:0x0 scale_offset
	s_load_b64 s[8:9], s[0:1], s2 offset:0x370 scale_offset
	s_wait_kmcnt 0x0
	s_add_nc_u64 s[4:5], s[4:5], s[10:11]
	s_and_b32 s2, s8, 3
	s_and_b64 s[10:11], s[4:5], 15
	s_sub_nc_u64 s[8:9], s[8:9], s[12:13]
	s_or_b64 s[10:11], s[2:3], s[10:11]
	s_delay_alu instid0(SALU_CYCLE_1)
	s_cmp_eq_u64 s[10:11], 0
	s_cbranch_scc1 .LBB79_12
; %bb.1:
	v_cmp_lt_i64_e64 s2, s[8:9], 1
	s_and_b32 vcc_lo, exec_lo, s2
	s_cbranch_vccnz .LBB79_28
; %bb.2:
	s_load_b32 s2, s[0:1], 0xd4c
	v_min_i64 v[10:11], 0x10000, s[8:9]
	s_mov_b32 s11, 0
	s_mov_b64 s[12:13], 0
	s_wait_kmcnt 0x0
	s_and_b32 s2, s2, 0xffff
	s_delay_alu instid0(SALU_CYCLE_1) | instskip(SKIP_3) | instid1(VALU_DEP_3)
	v_dual_mov_b32 v7, 0 :: v_dual_add_nc_u32 v16, s2, v0
	v_mad_u32 v12, s2, 3, v0
	v_lshl_add_u32 v14, s2, 1, v0
	s_lshl_b32 s10, s2, 2
	v_dual_mov_b32 v6, v7 :: v_dual_mov_b32 v8, v7
	v_mov_b32_e32 v9, v7
	s_delay_alu instid0(VALU_DEP_2) | instskip(NEXT) | instid1(VALU_DEP_2)
	v_mov_b64_e32 v[2:3], v[6:7]
	v_mov_b64_e32 v[4:5], v[8:9]
	s_branch .LBB79_4
.LBB79_3:                               ;   in Loop: Header=BB79_4 Depth=1
	s_or_b32 exec_lo, exec_lo, s2
	s_add_nc_u64 s[12:13], s[12:13], s[10:11]
	s_delay_alu instid0(SALU_CYCLE_1)
	v_cmp_lt_i64_e32 vcc_lo, s[12:13], v[10:11]
	s_cbranch_vccz .LBB79_13
.LBB79_4:                               ; =>This Inner Loop Header: Depth=1
	v_add_nc_u32_e32 v6, s12, v0
	s_delay_alu instid0(VALU_DEP_1) | instskip(SKIP_2) | instid1(SALU_CYCLE_1)
	v_cmp_gt_i64_e32 vcc_lo, s[8:9], v[6:7]
	v_cmp_gt_u32_e64 s2, 0x10000, v6
	s_and_b32 s7, s2, vcc_lo
	s_and_saveexec_b32 s2, s7
	s_cbranch_execz .LBB79_6
; %bb.5:                                ;   in Loop: Header=BB79_4 Depth=1
	v_lshl_add_u64 v[8:9], v[6:7], 2, s[4:5]
	global_load_b32 v1, v[8:9], off
	s_wait_loadcnt 0x0
	v_cmp_u_f32_e32 vcc_lo, v1, v1
	v_cmp_lt_f32_e64 s7, v2, |v1|
	s_or_b32 s7, vcc_lo, s7
	s_delay_alu instid0(SALU_CYCLE_1)
	v_cndmask_b32_e64 v2, v2, |v1|, s7
.LBB79_6:                               ;   in Loop: Header=BB79_4 Depth=1
	s_or_b32 exec_lo, exec_lo, s2
	v_add_nc_u32_e32 v6, s12, v16
	s_delay_alu instid0(VALU_DEP_1) | instskip(SKIP_2) | instid1(SALU_CYCLE_1)
	v_cmp_gt_i64_e32 vcc_lo, s[8:9], v[6:7]
	v_cmp_gt_u32_e64 s2, 0x10000, v6
	s_and_b32 s7, s2, vcc_lo
	s_and_saveexec_b32 s2, s7
	s_cbranch_execz .LBB79_8
; %bb.7:                                ;   in Loop: Header=BB79_4 Depth=1
	v_lshl_add_u64 v[8:9], v[6:7], 2, s[4:5]
	global_load_b32 v1, v[8:9], off
	s_wait_loadcnt 0x0
	v_cmp_u_f32_e32 vcc_lo, v1, v1
	v_cmp_lt_f32_e64 s7, v3, |v1|
	s_or_b32 s7, vcc_lo, s7
	s_delay_alu instid0(SALU_CYCLE_1)
	v_cndmask_b32_e64 v3, v3, |v1|, s7
.LBB79_8:                               ;   in Loop: Header=BB79_4 Depth=1
	s_or_b32 exec_lo, exec_lo, s2
	v_add_nc_u32_e32 v6, s12, v14
	s_delay_alu instid0(VALU_DEP_1) | instskip(SKIP_2) | instid1(SALU_CYCLE_1)
	v_cmp_gt_i64_e32 vcc_lo, s[8:9], v[6:7]
	v_cmp_gt_u32_e64 s2, 0x10000, v6
	s_and_b32 s7, s2, vcc_lo
	s_and_saveexec_b32 s2, s7
	s_cbranch_execz .LBB79_10
; %bb.9:                                ;   in Loop: Header=BB79_4 Depth=1
	v_lshl_add_u64 v[8:9], v[6:7], 2, s[4:5]
	global_load_b32 v1, v[8:9], off
	s_wait_loadcnt 0x0
	v_cmp_u_f32_e32 vcc_lo, v1, v1
	v_cmp_lt_f32_e64 s7, v4, |v1|
	s_or_b32 s7, vcc_lo, s7
	s_delay_alu instid0(SALU_CYCLE_1)
	v_cndmask_b32_e64 v4, v4, |v1|, s7
.LBB79_10:                              ;   in Loop: Header=BB79_4 Depth=1
	s_or_b32 exec_lo, exec_lo, s2
	v_add_nc_u32_e32 v6, s12, v12
	s_delay_alu instid0(VALU_DEP_1) | instskip(SKIP_2) | instid1(SALU_CYCLE_1)
	v_cmp_gt_i64_e32 vcc_lo, s[8:9], v[6:7]
	v_cmp_gt_u32_e64 s2, 0x10000, v6
	s_and_b32 s7, s2, vcc_lo
	s_and_saveexec_b32 s2, s7
	s_cbranch_execz .LBB79_3
; %bb.11:                               ;   in Loop: Header=BB79_4 Depth=1
	v_lshl_add_u64 v[8:9], v[6:7], 2, s[4:5]
	global_load_b32 v1, v[8:9], off
	s_wait_loadcnt 0x0
	v_cmp_u_f32_e32 vcc_lo, v1, v1
	v_cmp_lt_f32_e64 s7, v5, |v1|
	s_or_b32 s7, vcc_lo, s7
	s_delay_alu instid0(SALU_CYCLE_1)
	v_cndmask_b32_e64 v5, v5, |v1|, s7
	s_branch .LBB79_3
.LBB79_12:
	s_mov_b32 s3, -1
                                        ; implicit-def: $vgpr2_vgpr3_vgpr4_vgpr5
.LBB79_13:
	s_delay_alu instid0(SALU_CYCLE_1)
	s_and_not1_b32 vcc_lo, exec_lo, s3
	s_cbranch_vccnz .LBB79_19
.LBB79_14:
	v_min_i64 v[8:9], 0x10000, s[8:9]
	v_dual_mov_b32 v3, 0 :: v_dual_lshlrev_b32 v2, 2, v0
	s_mov_b32 s9, 0
	s_delay_alu instid0(VALU_DEP_1) | instskip(NEXT) | instid1(VALU_DEP_2)
	v_dual_mov_b32 v5, v3 :: v_dual_mov_b32 v4, v3
	v_cmp_lt_i64_e32 vcc_lo, v[2:3], v[8:9]
	v_mov_b32_e32 v2, v3
	s_and_saveexec_b32 s7, vcc_lo
	s_cbranch_execz .LBB79_18
; %bb.15:
	s_load_b32 s2, s[0:1], 0xd4c
	v_dual_mov_b32 v1, v3 :: v_dual_lshlrev_b32 v2, 4, v0
	v_dual_mov_b32 v5, 0 :: v_dual_mov_b32 v6, 0
	v_mov_b32_e32 v7, 0
	s_delay_alu instid0(VALU_DEP_3) | instskip(NEXT) | instid1(VALU_DEP_4)
	v_add_nc_u64_e32 v[10:11], s[4:5], v[2:3]
	v_mov_b64_e32 v[12:13], v[0:1]
	s_mov_b32 s11, s9
	s_mov_b32 s12, s9
	s_delay_alu instid0(VALU_DEP_2) | instskip(SKIP_2) | instid1(SALU_CYCLE_1)
	v_add_nc_u64_e32 v[10:11], 8, v[10:11]
	s_wait_kmcnt 0x0
	s_and_b32 s8, s2, 0xffff
	s_lshl_b32 s10, s8, 4
.LBB79_16:                              ; =>This Inner Loop Header: Depth=1
	global_load_b128 v[16:19], v[10:11], off offset:-8
	v_add_nc_u64_e32 v[12:13], s[8:9], v[12:13]
	s_wait_xcnt 0x0
	v_add_nc_u64_e32 v[10:11], s[10:11], v[10:11]
	s_delay_alu instid0(VALU_DEP_2) | instskip(NEXT) | instid1(VALU_DEP_1)
	v_lshlrev_b64_e32 v[20:21], 2, v[12:13]
	v_cmp_ge_i64_e32 vcc_lo, v[20:21], v[8:9]
	s_wait_loadcnt 0x0
	v_cmp_u_f32_e64 s2, v19, v19
	v_cmp_lt_f32_e64 s13, v7, |v19|
	v_cmp_u_f32_e64 s3, v18, v18
	v_cmp_lt_f32_e64 s14, v6, |v18|
	;; [unrolled: 2-line block ×3, first 2 shown]
	s_or_b32 s2, s2, s13
	v_cmp_u_f32_e64 s5, v16, v16
	v_cmp_lt_f32_e64 s16, v3, |v16|
	v_cndmask_b32_e64 v7, v7, |v19|, s2
	s_or_b32 s2, s3, s14
	s_delay_alu instid0(SALU_CYCLE_1) | instskip(SKIP_1) | instid1(SALU_CYCLE_1)
	v_cndmask_b32_e64 v6, v6, |v18|, s2
	s_or_b32 s2, s4, s15
	v_cndmask_b32_e64 v5, v5, |v17|, s2
	s_or_b32 s2, s5, s16
	s_or_b32 s12, vcc_lo, s12
	v_cndmask_b32_e64 v3, v3, |v16|, s2
	s_and_not1_b32 exec_lo, exec_lo, s12
	s_cbranch_execnz .LBB79_16
; %bb.17:
	s_or_b32 exec_lo, exec_lo, s12
	s_delay_alu instid0(VALU_DEP_1) | instskip(NEXT) | instid1(VALU_DEP_1)
	v_mov_b32_e32 v4, v3
	v_mov_b64_e32 v[2:3], v[4:5]
	v_mov_b64_e32 v[4:5], v[6:7]
.LBB79_18:
	s_or_b32 exec_lo, exec_lo, s7
.LBB79_19:
	s_delay_alu instid0(VALU_DEP_1)
	v_cmp_nge_f32_e32 vcc_lo, 0, v2
	v_mbcnt_lo_u32_b32 v6, -1, 0
	s_barrier_signal -1
	s_barrier_wait -1
	v_cndmask_b32_e32 v1, 0, v2, vcc_lo
	v_cmp_u_f32_e32 vcc_lo, v3, v3
	v_cmp_ne_u32_e64 s3, 31, v6
	s_delay_alu instid0(VALU_DEP_3) | instskip(NEXT) | instid1(VALU_DEP_2)
	v_cmp_lt_f32_e64 s2, v1, v3
	v_add_co_ci_u32_e64 v8, null, 0, v6, s3
	s_mov_b32 s3, exec_lo
	s_or_b32 vcc_lo, vcc_lo, s2
	v_cndmask_b32_e32 v1, v1, v3, vcc_lo
	v_cmp_u_f32_e32 vcc_lo, v4, v4
	s_delay_alu instid0(VALU_DEP_2) | instskip(SKIP_4) | instid1(VALU_DEP_3)
	v_cmp_lt_f32_e64 s2, v1, v4
	s_or_b32 vcc_lo, vcc_lo, s2
	v_cndmask_b32_e32 v2, v1, v4, vcc_lo
	v_cmp_u_f32_e32 vcc_lo, v5, v5
	v_lshl_or_b32 v1, v6, 2, 64
	v_cmp_lt_f32_e64 s2, v2, v5
	s_or_b32 vcc_lo, vcc_lo, s2
	v_cndmask_b32_e32 v3, v2, v5, vcc_lo
	v_cmp_gt_u32_e32 vcc_lo, 24, v6
	ds_bpermute_b32 v4, v1, v3
	v_cndmask_b32_e64 v2, 0, 8, vcc_lo
	s_delay_alu instid0(VALU_DEP_1)
	v_add_lshl_u32 v2, v2, v6, 2
	s_wait_dscnt 0x0
	v_cmp_u_f32_e32 vcc_lo, v4, v4
	v_cmp_lt_f32_e64 s2, v3, v4
	s_or_b32 vcc_lo, vcc_lo, s2
	v_cndmask_b32_e32 v4, v3, v4, vcc_lo
	v_cmp_gt_u32_e32 vcc_lo, 28, v6
	ds_bpermute_b32 v5, v2, v4
	v_cndmask_b32_e64 v3, 0, 4, vcc_lo
	s_delay_alu instid0(VALU_DEP_1)
	v_add_lshl_u32 v3, v3, v6, 2
	s_wait_dscnt 0x0
	v_cmp_u_f32_e32 vcc_lo, v5, v5
	;; [unrolled: 10-line block ×3, first 2 shown]
	v_cmp_lt_f32_e64 s2, v5, v7
	s_or_b32 vcc_lo, vcc_lo, s2
	v_cndmask_b32_e32 v5, v5, v7, vcc_lo
	ds_bpermute_b32 v7, v4, v5
	s_wait_dscnt 0x0
	v_cmp_u_f32_e32 vcc_lo, v7, v7
	v_cmp_lt_f32_e64 s2, v5, v7
	s_or_b32 vcc_lo, vcc_lo, s2
	v_dual_cndmask_b32 v6, v5, v7 :: v_dual_lshlrev_b32 v5, 2, v8
	v_and_b32_e32 v7, 31, v0
	ds_bpermute_b32 v8, v5, v6
	v_cmpx_eq_u32_e32 0, v7
	s_cbranch_execz .LBB79_21
; %bb.20:
	s_wait_dscnt 0x0
	v_cmp_u_f32_e32 vcc_lo, v8, v8
	v_cmp_lt_f32_e64 s2, v6, v8
	v_lshrrev_b32_e32 v9, 3, v0
	s_or_b32 vcc_lo, vcc_lo, s2
	v_cndmask_b32_e32 v6, v6, v8, vcc_lo
	ds_store_b32 v9, v6
.LBB79_21:
	s_or_b32 exec_lo, exec_lo, s3
	s_wait_dscnt 0x0
	s_barrier_signal -1
	s_barrier_wait -1
	s_load_b32 s2, s[0:1], 0xd4c
	v_mov_b32_e32 v6, 0xff7fffff
	s_wait_kmcnt 0x0
	s_bfe_u32 s2, s2, 0xb0005
	s_delay_alu instid0(SALU_CYCLE_1)
	v_cmp_gt_u32_e32 vcc_lo, s2, v0
	s_and_saveexec_b32 s2, vcc_lo
; %bb.22:
	v_lshlrev_b32_e32 v6, 2, v7
	ds_load_b32 v6, v6
; %bb.23:
	s_or_b32 exec_lo, exec_lo, s2
	s_delay_alu instid0(SALU_CYCLE_1)
	s_mov_b32 s3, exec_lo
	v_cmpx_gt_u32_e32 32, v0
	s_cbranch_execz .LBB79_25
; %bb.24:
	s_wait_dscnt 0x0
	ds_bpermute_b32 v1, v1, v6
	s_wait_dscnt 0x0
	v_cmp_u_f32_e32 vcc_lo, v1, v1
	v_cmp_lt_f32_e64 s2, v6, v1
	s_or_b32 vcc_lo, vcc_lo, s2
	v_cndmask_b32_e32 v1, v6, v1, vcc_lo
	ds_bpermute_b32 v2, v2, v1
	s_wait_dscnt 0x0
	v_cmp_u_f32_e32 vcc_lo, v2, v2
	v_cmp_lt_f32_e64 s2, v1, v2
	s_or_b32 vcc_lo, vcc_lo, s2
	v_cndmask_b32_e32 v1, v1, v2, vcc_lo
	;; [unrolled: 6-line block ×5, first 2 shown]
.LBB79_25:
	s_or_b32 exec_lo, exec_lo, s3
	s_delay_alu instid0(SALU_CYCLE_1)
	s_mov_b32 s2, exec_lo
	v_cmpx_eq_u32_e32 0, v0
	s_cbranch_execz .LBB79_27
; %bb.26:
	s_clause 0x1
	s_load_b32 s2, s[0:1], 0xd20
	s_load_b96 s[8:10], s[0:1], 0xd30
	v_and_b32_e32 v0, 0xff, v15
	s_wait_kmcnt 0x0
	s_delay_alu instid0(VALU_DEP_1) | instskip(NEXT) | instid1(VALU_DEP_1)
	v_add_nc_u32_e32 v0, s2, v0
	v_mul_lo_u32 v0, v0, s10
	s_delay_alu instid0(VALU_DEP_1)
	v_add_nc_u32_e32 v0, s6, v0
	s_wait_dscnt 0x0
	global_store_b32 v0, v6, s[8:9] scale_offset
.LBB79_27:
	s_endpgm
.LBB79_28:
	v_mov_b32_e32 v2, 0
	s_delay_alu instid0(VALU_DEP_1)
	v_dual_mov_b32 v3, v2 :: v_dual_mov_b32 v4, v2
	v_mov_b32_e32 v5, v2
	s_and_not1_b32 vcc_lo, exec_lo, s3
	s_cbranch_vccz .LBB79_14
	s_branch .LBB79_19
	.section	.rodata,"a",@progbits
	.p2align	6, 0x0
	.amdhsa_kernel _ZN2at6native12_GLOBAL__N_125multi_tensor_apply_kernelINS1_18TensorListMetadataILi1EEENS0_13LpNormFunctorIfLNS0_8NormTypeE3EN3c108BFloat16ELi1ELi1ELi0EEEJPfiEEEvT_T0_DpT1_
		.amdhsa_group_segment_fixed_size 2048
		.amdhsa_private_segment_fixed_size 0
		.amdhsa_kernarg_size 3648
		.amdhsa_user_sgpr_count 2
		.amdhsa_user_sgpr_dispatch_ptr 0
		.amdhsa_user_sgpr_queue_ptr 0
		.amdhsa_user_sgpr_kernarg_segment_ptr 1
		.amdhsa_user_sgpr_dispatch_id 0
		.amdhsa_user_sgpr_kernarg_preload_length 0
		.amdhsa_user_sgpr_kernarg_preload_offset 0
		.amdhsa_user_sgpr_private_segment_size 0
		.amdhsa_wavefront_size32 1
		.amdhsa_uses_dynamic_stack 0
		.amdhsa_enable_private_segment 0
		.amdhsa_system_sgpr_workgroup_id_x 1
		.amdhsa_system_sgpr_workgroup_id_y 0
		.amdhsa_system_sgpr_workgroup_id_z 0
		.amdhsa_system_sgpr_workgroup_info 0
		.amdhsa_system_vgpr_workitem_id 0
		.amdhsa_next_free_vgpr 22
		.amdhsa_next_free_sgpr 17
		.amdhsa_named_barrier_count 0
		.amdhsa_reserve_vcc 1
		.amdhsa_float_round_mode_32 0
		.amdhsa_float_round_mode_16_64 0
		.amdhsa_float_denorm_mode_32 3
		.amdhsa_float_denorm_mode_16_64 3
		.amdhsa_fp16_overflow 0
		.amdhsa_memory_ordered 1
		.amdhsa_forward_progress 1
		.amdhsa_inst_pref_size 14
		.amdhsa_round_robin_scheduling 0
		.amdhsa_exception_fp_ieee_invalid_op 0
		.amdhsa_exception_fp_denorm_src 0
		.amdhsa_exception_fp_ieee_div_zero 0
		.amdhsa_exception_fp_ieee_overflow 0
		.amdhsa_exception_fp_ieee_underflow 0
		.amdhsa_exception_fp_ieee_inexact 0
		.amdhsa_exception_int_div_zero 0
	.end_amdhsa_kernel
	.section	.text._ZN2at6native12_GLOBAL__N_125multi_tensor_apply_kernelINS1_18TensorListMetadataILi1EEENS0_13LpNormFunctorIfLNS0_8NormTypeE3EN3c108BFloat16ELi1ELi1ELi0EEEJPfiEEEvT_T0_DpT1_,"axG",@progbits,_ZN2at6native12_GLOBAL__N_125multi_tensor_apply_kernelINS1_18TensorListMetadataILi1EEENS0_13LpNormFunctorIfLNS0_8NormTypeE3EN3c108BFloat16ELi1ELi1ELi0EEEJPfiEEEvT_T0_DpT1_,comdat
.Lfunc_end79:
	.size	_ZN2at6native12_GLOBAL__N_125multi_tensor_apply_kernelINS1_18TensorListMetadataILi1EEENS0_13LpNormFunctorIfLNS0_8NormTypeE3EN3c108BFloat16ELi1ELi1ELi0EEEJPfiEEEvT_T0_DpT1_, .Lfunc_end79-_ZN2at6native12_GLOBAL__N_125multi_tensor_apply_kernelINS1_18TensorListMetadataILi1EEENS0_13LpNormFunctorIfLNS0_8NormTypeE3EN3c108BFloat16ELi1ELi1ELi0EEEJPfiEEEvT_T0_DpT1_
                                        ; -- End function
	.set _ZN2at6native12_GLOBAL__N_125multi_tensor_apply_kernelINS1_18TensorListMetadataILi1EEENS0_13LpNormFunctorIfLNS0_8NormTypeE3EN3c108BFloat16ELi1ELi1ELi0EEEJPfiEEEvT_T0_DpT1_.num_vgpr, 22
	.set _ZN2at6native12_GLOBAL__N_125multi_tensor_apply_kernelINS1_18TensorListMetadataILi1EEENS0_13LpNormFunctorIfLNS0_8NormTypeE3EN3c108BFloat16ELi1ELi1ELi0EEEJPfiEEEvT_T0_DpT1_.num_agpr, 0
	.set _ZN2at6native12_GLOBAL__N_125multi_tensor_apply_kernelINS1_18TensorListMetadataILi1EEENS0_13LpNormFunctorIfLNS0_8NormTypeE3EN3c108BFloat16ELi1ELi1ELi0EEEJPfiEEEvT_T0_DpT1_.numbered_sgpr, 17
	.set _ZN2at6native12_GLOBAL__N_125multi_tensor_apply_kernelINS1_18TensorListMetadataILi1EEENS0_13LpNormFunctorIfLNS0_8NormTypeE3EN3c108BFloat16ELi1ELi1ELi0EEEJPfiEEEvT_T0_DpT1_.num_named_barrier, 0
	.set _ZN2at6native12_GLOBAL__N_125multi_tensor_apply_kernelINS1_18TensorListMetadataILi1EEENS0_13LpNormFunctorIfLNS0_8NormTypeE3EN3c108BFloat16ELi1ELi1ELi0EEEJPfiEEEvT_T0_DpT1_.private_seg_size, 0
	.set _ZN2at6native12_GLOBAL__N_125multi_tensor_apply_kernelINS1_18TensorListMetadataILi1EEENS0_13LpNormFunctorIfLNS0_8NormTypeE3EN3c108BFloat16ELi1ELi1ELi0EEEJPfiEEEvT_T0_DpT1_.uses_vcc, 1
	.set _ZN2at6native12_GLOBAL__N_125multi_tensor_apply_kernelINS1_18TensorListMetadataILi1EEENS0_13LpNormFunctorIfLNS0_8NormTypeE3EN3c108BFloat16ELi1ELi1ELi0EEEJPfiEEEvT_T0_DpT1_.uses_flat_scratch, 0
	.set _ZN2at6native12_GLOBAL__N_125multi_tensor_apply_kernelINS1_18TensorListMetadataILi1EEENS0_13LpNormFunctorIfLNS0_8NormTypeE3EN3c108BFloat16ELi1ELi1ELi0EEEJPfiEEEvT_T0_DpT1_.has_dyn_sized_stack, 0
	.set _ZN2at6native12_GLOBAL__N_125multi_tensor_apply_kernelINS1_18TensorListMetadataILi1EEENS0_13LpNormFunctorIfLNS0_8NormTypeE3EN3c108BFloat16ELi1ELi1ELi0EEEJPfiEEEvT_T0_DpT1_.has_recursion, 0
	.set _ZN2at6native12_GLOBAL__N_125multi_tensor_apply_kernelINS1_18TensorListMetadataILi1EEENS0_13LpNormFunctorIfLNS0_8NormTypeE3EN3c108BFloat16ELi1ELi1ELi0EEEJPfiEEEvT_T0_DpT1_.has_indirect_call, 0
	.section	.AMDGPU.csdata,"",@progbits
; Kernel info:
; codeLenInByte = 1776
; TotalNumSgprs: 19
; NumVgprs: 22
; ScratchSize: 0
; MemoryBound: 0
; FloatMode: 240
; IeeeMode: 1
; LDSByteSize: 2048 bytes/workgroup (compile time only)
; SGPRBlocks: 0
; VGPRBlocks: 1
; NumSGPRsForWavesPerEU: 19
; NumVGPRsForWavesPerEU: 22
; NamedBarCnt: 0
; Occupancy: 16
; WaveLimiterHint : 0
; COMPUTE_PGM_RSRC2:SCRATCH_EN: 0
; COMPUTE_PGM_RSRC2:USER_SGPR: 2
; COMPUTE_PGM_RSRC2:TRAP_HANDLER: 0
; COMPUTE_PGM_RSRC2:TGID_X_EN: 1
; COMPUTE_PGM_RSRC2:TGID_Y_EN: 0
; COMPUTE_PGM_RSRC2:TGID_Z_EN: 0
; COMPUTE_PGM_RSRC2:TIDIG_COMP_CNT: 0
	.section	.text._ZN2at6native14lpnorm_cleanupIfLNS0_8NormTypeE0EN3c108BFloat16ELb1EfEEvPKT3_NS0_19TensorListAddressesEi,"axG",@progbits,_ZN2at6native14lpnorm_cleanupIfLNS0_8NormTypeE0EN3c108BFloat16ELb1EfEEvPKT3_NS0_19TensorListAddressesEi,comdat
	.protected	_ZN2at6native14lpnorm_cleanupIfLNS0_8NormTypeE0EN3c108BFloat16ELb1EfEEvPKT3_NS0_19TensorListAddressesEi ; -- Begin function _ZN2at6native14lpnorm_cleanupIfLNS0_8NormTypeE0EN3c108BFloat16ELb1EfEEvPKT3_NS0_19TensorListAddressesEi
	.globl	_ZN2at6native14lpnorm_cleanupIfLNS0_8NormTypeE0EN3c108BFloat16ELb1EfEEvPKT3_NS0_19TensorListAddressesEi
	.p2align	8
	.type	_ZN2at6native14lpnorm_cleanupIfLNS0_8NormTypeE0EN3c108BFloat16ELb1EfEEvPKT3_NS0_19TensorListAddressesEi,@function
_ZN2at6native14lpnorm_cleanupIfLNS0_8NormTypeE0EN3c108BFloat16ELb1EfEEvPKT3_NS0_19TensorListAddressesEi: ; @_ZN2at6native14lpnorm_cleanupIfLNS0_8NormTypeE0EN3c108BFloat16ELb1EfEEvPKT3_NS0_19TensorListAddressesEi
; %bb.0:
	s_load_b32 s2, s[0:1], 0xc88
	s_bfe_u32 s3, ttmp6, 0x4000c
	s_and_b32 s4, ttmp6, 15
	s_add_co_i32 s3, s3, 1
	s_getreg_b32 s5, hwreg(HW_REG_IB_STS2, 6, 4)
	s_mul_i32 s3, ttmp9, s3
	v_mov_b32_e32 v1, 0
	s_add_co_i32 s4, s4, s3
	s_cmp_eq_u32 s5, 0
	s_mov_b32 s5, 0
	s_cselect_b32 s8, ttmp9, s4
	s_mov_b32 s9, exec_lo
	s_wait_kmcnt 0x0
	v_cmpx_gt_u32_e64 s2, v0
	s_cbranch_execz .LBB80_4
; %bb.1:
	s_clause 0x1
	s_load_b64 s[6:7], s[0:1], 0x0
	s_load_b32 s4, s[0:1], 0xc9c
	v_dual_mov_b32 v1, 0 :: v_dual_lshlrev_b32 v2, 2, v0
	s_mul_i32 s10, s2, s8
	s_mov_b32 s11, s5
	s_ashr_i32 s3, s2, 31
	s_delay_alu instid0(VALU_DEP_1)
	v_mov_b32_e32 v3, v1
	s_lshl_b64 s[10:11], s[10:11], 2
	v_mov_b64_e32 v[4:5], v[0:1]
	s_wait_kmcnt 0x0
	s_add_nc_u64 s[6:7], s[6:7], s[10:11]
	s_and_b32 s4, s4, 0xffff
	v_add_nc_u64_e32 v[2:3], s[6:7], v[2:3]
	s_lshl_b32 s6, s4, 2
	s_mov_b32 s7, s5
	s_mov_b32 s10, s5
.LBB80_2:                               ; =>This Inner Loop Header: Depth=1
	global_load_b32 v6, v[2:3], off
	v_add_nc_u64_e32 v[4:5], s[4:5], v[4:5]
	s_wait_xcnt 0x0
	v_add_nc_u64_e32 v[2:3], s[6:7], v[2:3]
	s_delay_alu instid0(VALU_DEP_2)
	v_cmp_le_u64_e32 vcc_lo, s[2:3], v[4:5]
	s_or_b32 s10, vcc_lo, s10
	s_wait_loadcnt 0x0
	v_add_f32_e32 v1, v1, v6
	s_and_not1_b32 exec_lo, exec_lo, s10
	s_cbranch_execnz .LBB80_2
; %bb.3:
	s_or_b32 exec_lo, exec_lo, s10
.LBB80_4:
	s_delay_alu instid0(SALU_CYCLE_1) | instskip(SKIP_4) | instid1(VALU_DEP_1)
	s_or_b32 exec_lo, exec_lo, s9
	v_mbcnt_lo_u32_b32 v5, -1, 0
	s_mov_b32 s2, exec_lo
	s_barrier_signal -1
	s_barrier_wait -1
	v_lshl_or_b32 v2, v5, 2, 64
	v_cmp_gt_u32_e32 vcc_lo, 24, v5
	ds_bpermute_b32 v4, v2, v1
	v_cndmask_b32_e64 v3, 0, 8, vcc_lo
	v_cmp_gt_u32_e32 vcc_lo, 28, v5
	s_delay_alu instid0(VALU_DEP_2)
	v_add_lshl_u32 v3, v3, v5, 2
	s_wait_dscnt 0x0
	v_add_f32_e32 v4, v1, v4
	v_cndmask_b32_e64 v1, 0, 4, vcc_lo
	v_cmp_gt_u32_e32 vcc_lo, 30, v5
	ds_bpermute_b32 v6, v3, v4
	v_add_lshl_u32 v1, v1, v5, 2
	s_wait_dscnt 0x0
	v_add_f32_e32 v6, v4, v6
	v_cndmask_b32_e64 v4, 0, 2, vcc_lo
	v_cmp_ne_u32_e32 vcc_lo, 31, v5
	s_delay_alu instid0(VALU_DEP_2) | instskip(SKIP_1) | instid1(VALU_DEP_1)
	v_add_lshl_u32 v4, v4, v5, 2
	v_add_co_ci_u32_e64 v5, null, 0, v5, vcc_lo
	v_lshlrev_b32_e32 v5, 2, v5
	ds_bpermute_b32 v7, v1, v6
	s_wait_dscnt 0x0
	v_add_f32_e32 v6, v6, v7
	ds_bpermute_b32 v7, v4, v6
	s_wait_dscnt 0x0
	v_dual_add_f32 v6, v6, v7 :: v_dual_bitop2_b32 v7, 31, v0 bitop3:0x40
	ds_bpermute_b32 v8, v5, v6
	v_cmpx_eq_u32_e32 0, v7
	s_cbranch_execz .LBB80_6
; %bb.5:
	s_wait_dscnt 0x0
	v_add_f32_e32 v6, v6, v8
	v_lshrrev_b32_e32 v8, 3, v0
	ds_store_b32 v8, v6
.LBB80_6:
	s_or_b32 exec_lo, exec_lo, s2
	s_wait_dscnt 0x0
	s_barrier_signal -1
	s_barrier_wait -1
	s_load_b32 s2, s[0:1], 0xc9c
	v_mov_b32_e32 v6, 0
	s_wait_kmcnt 0x0
	s_bfe_u32 s2, s2, 0xb0005
	s_delay_alu instid0(SALU_CYCLE_1)
	v_cmp_gt_u32_e32 vcc_lo, s2, v0
	s_and_saveexec_b32 s2, vcc_lo
; %bb.7:
	v_lshlrev_b32_e32 v6, 2, v7
	ds_load_b32 v6, v6
; %bb.8:
	s_or_b32 exec_lo, exec_lo, s2
	s_delay_alu instid0(SALU_CYCLE_1)
	s_mov_b32 s2, exec_lo
	v_cmpx_gt_u32_e32 32, v0
	s_cbranch_execz .LBB80_10
; %bb.9:
	s_wait_dscnt 0x0
	ds_bpermute_b32 v2, v2, v6
	s_wait_dscnt 0x0
	v_add_f32_e32 v2, v6, v2
	ds_bpermute_b32 v3, v3, v2
	s_wait_dscnt 0x0
	v_add_f32_e32 v2, v2, v3
	;; [unrolled: 3-line block ×5, first 2 shown]
.LBB80_10:
	s_or_b32 exec_lo, exec_lo, s2
	s_delay_alu instid0(SALU_CYCLE_1)
	s_mov_b32 s2, exec_lo
	v_cmpx_eq_u32_e32 0, v0
	s_cbranch_execz .LBB80_12
; %bb.11:
	s_wait_dscnt 0x0
	v_bfe_u32 v0, v6, 16, 1
	s_load_b64 s[0:1], s[0:1], s8 offset:0x8 scale_offset
	v_cmp_o_f32_e32 vcc_lo, v6, v6
	v_mov_b32_e32 v1, 0
	s_delay_alu instid0(VALU_DEP_3) | instskip(NEXT) | instid1(VALU_DEP_1)
	v_add3_u32 v0, v6, v0, 0x7fff
	v_lshrrev_b32_e32 v0, 16, v0
	s_delay_alu instid0(VALU_DEP_1)
	v_cndmask_b32_e32 v0, 0x7fc0, v0, vcc_lo
	s_wait_kmcnt 0x0
	global_store_b16 v1, v0, s[0:1]
.LBB80_12:
	s_endpgm
	.section	.rodata,"a",@progbits
	.p2align	6, 0x0
	.amdhsa_kernel _ZN2at6native14lpnorm_cleanupIfLNS0_8NormTypeE0EN3c108BFloat16ELb1EfEEvPKT3_NS0_19TensorListAddressesEi
		.amdhsa_group_segment_fixed_size 2048
		.amdhsa_private_segment_fixed_size 0
		.amdhsa_kernarg_size 3472
		.amdhsa_user_sgpr_count 2
		.amdhsa_user_sgpr_dispatch_ptr 0
		.amdhsa_user_sgpr_queue_ptr 0
		.amdhsa_user_sgpr_kernarg_segment_ptr 1
		.amdhsa_user_sgpr_dispatch_id 0
		.amdhsa_user_sgpr_kernarg_preload_length 0
		.amdhsa_user_sgpr_kernarg_preload_offset 0
		.amdhsa_user_sgpr_private_segment_size 0
		.amdhsa_wavefront_size32 1
		.amdhsa_uses_dynamic_stack 0
		.amdhsa_enable_private_segment 0
		.amdhsa_system_sgpr_workgroup_id_x 1
		.amdhsa_system_sgpr_workgroup_id_y 0
		.amdhsa_system_sgpr_workgroup_id_z 0
		.amdhsa_system_sgpr_workgroup_info 0
		.amdhsa_system_vgpr_workitem_id 0
		.amdhsa_next_free_vgpr 9
		.amdhsa_next_free_sgpr 12
		.amdhsa_named_barrier_count 0
		.amdhsa_reserve_vcc 1
		.amdhsa_float_round_mode_32 0
		.amdhsa_float_round_mode_16_64 0
		.amdhsa_float_denorm_mode_32 3
		.amdhsa_float_denorm_mode_16_64 3
		.amdhsa_fp16_overflow 0
		.amdhsa_memory_ordered 1
		.amdhsa_forward_progress 1
		.amdhsa_inst_pref_size 6
		.amdhsa_round_robin_scheduling 0
		.amdhsa_exception_fp_ieee_invalid_op 0
		.amdhsa_exception_fp_denorm_src 0
		.amdhsa_exception_fp_ieee_div_zero 0
		.amdhsa_exception_fp_ieee_overflow 0
		.amdhsa_exception_fp_ieee_underflow 0
		.amdhsa_exception_fp_ieee_inexact 0
		.amdhsa_exception_int_div_zero 0
	.end_amdhsa_kernel
	.section	.text._ZN2at6native14lpnorm_cleanupIfLNS0_8NormTypeE0EN3c108BFloat16ELb1EfEEvPKT3_NS0_19TensorListAddressesEi,"axG",@progbits,_ZN2at6native14lpnorm_cleanupIfLNS0_8NormTypeE0EN3c108BFloat16ELb1EfEEvPKT3_NS0_19TensorListAddressesEi,comdat
.Lfunc_end80:
	.size	_ZN2at6native14lpnorm_cleanupIfLNS0_8NormTypeE0EN3c108BFloat16ELb1EfEEvPKT3_NS0_19TensorListAddressesEi, .Lfunc_end80-_ZN2at6native14lpnorm_cleanupIfLNS0_8NormTypeE0EN3c108BFloat16ELb1EfEEvPKT3_NS0_19TensorListAddressesEi
                                        ; -- End function
	.set _ZN2at6native14lpnorm_cleanupIfLNS0_8NormTypeE0EN3c108BFloat16ELb1EfEEvPKT3_NS0_19TensorListAddressesEi.num_vgpr, 9
	.set _ZN2at6native14lpnorm_cleanupIfLNS0_8NormTypeE0EN3c108BFloat16ELb1EfEEvPKT3_NS0_19TensorListAddressesEi.num_agpr, 0
	.set _ZN2at6native14lpnorm_cleanupIfLNS0_8NormTypeE0EN3c108BFloat16ELb1EfEEvPKT3_NS0_19TensorListAddressesEi.numbered_sgpr, 12
	.set _ZN2at6native14lpnorm_cleanupIfLNS0_8NormTypeE0EN3c108BFloat16ELb1EfEEvPKT3_NS0_19TensorListAddressesEi.num_named_barrier, 0
	.set _ZN2at6native14lpnorm_cleanupIfLNS0_8NormTypeE0EN3c108BFloat16ELb1EfEEvPKT3_NS0_19TensorListAddressesEi.private_seg_size, 0
	.set _ZN2at6native14lpnorm_cleanupIfLNS0_8NormTypeE0EN3c108BFloat16ELb1EfEEvPKT3_NS0_19TensorListAddressesEi.uses_vcc, 1
	.set _ZN2at6native14lpnorm_cleanupIfLNS0_8NormTypeE0EN3c108BFloat16ELb1EfEEvPKT3_NS0_19TensorListAddressesEi.uses_flat_scratch, 0
	.set _ZN2at6native14lpnorm_cleanupIfLNS0_8NormTypeE0EN3c108BFloat16ELb1EfEEvPKT3_NS0_19TensorListAddressesEi.has_dyn_sized_stack, 0
	.set _ZN2at6native14lpnorm_cleanupIfLNS0_8NormTypeE0EN3c108BFloat16ELb1EfEEvPKT3_NS0_19TensorListAddressesEi.has_recursion, 0
	.set _ZN2at6native14lpnorm_cleanupIfLNS0_8NormTypeE0EN3c108BFloat16ELb1EfEEvPKT3_NS0_19TensorListAddressesEi.has_indirect_call, 0
	.section	.AMDGPU.csdata,"",@progbits
; Kernel info:
; codeLenInByte = 712
; TotalNumSgprs: 14
; NumVgprs: 9
; ScratchSize: 0
; MemoryBound: 0
; FloatMode: 240
; IeeeMode: 1
; LDSByteSize: 2048 bytes/workgroup (compile time only)
; SGPRBlocks: 0
; VGPRBlocks: 0
; NumSGPRsForWavesPerEU: 14
; NumVGPRsForWavesPerEU: 9
; NamedBarCnt: 0
; Occupancy: 16
; WaveLimiterHint : 0
; COMPUTE_PGM_RSRC2:SCRATCH_EN: 0
; COMPUTE_PGM_RSRC2:USER_SGPR: 2
; COMPUTE_PGM_RSRC2:TRAP_HANDLER: 0
; COMPUTE_PGM_RSRC2:TGID_X_EN: 1
; COMPUTE_PGM_RSRC2:TGID_Y_EN: 0
; COMPUTE_PGM_RSRC2:TGID_Z_EN: 0
; COMPUTE_PGM_RSRC2:TIDIG_COMP_CNT: 0
	.section	.text._ZN2at6native14lpnorm_cleanupIfLNS0_8NormTypeE1EN3c108BFloat16ELb1EfEEvPKT3_NS0_19TensorListAddressesEi,"axG",@progbits,_ZN2at6native14lpnorm_cleanupIfLNS0_8NormTypeE1EN3c108BFloat16ELb1EfEEvPKT3_NS0_19TensorListAddressesEi,comdat
	.protected	_ZN2at6native14lpnorm_cleanupIfLNS0_8NormTypeE1EN3c108BFloat16ELb1EfEEvPKT3_NS0_19TensorListAddressesEi ; -- Begin function _ZN2at6native14lpnorm_cleanupIfLNS0_8NormTypeE1EN3c108BFloat16ELb1EfEEvPKT3_NS0_19TensorListAddressesEi
	.globl	_ZN2at6native14lpnorm_cleanupIfLNS0_8NormTypeE1EN3c108BFloat16ELb1EfEEvPKT3_NS0_19TensorListAddressesEi
	.p2align	8
	.type	_ZN2at6native14lpnorm_cleanupIfLNS0_8NormTypeE1EN3c108BFloat16ELb1EfEEvPKT3_NS0_19TensorListAddressesEi,@function
_ZN2at6native14lpnorm_cleanupIfLNS0_8NormTypeE1EN3c108BFloat16ELb1EfEEvPKT3_NS0_19TensorListAddressesEi: ; @_ZN2at6native14lpnorm_cleanupIfLNS0_8NormTypeE1EN3c108BFloat16ELb1EfEEvPKT3_NS0_19TensorListAddressesEi
; %bb.0:
	s_load_b32 s2, s[0:1], 0xc88
	s_bfe_u32 s3, ttmp6, 0x4000c
	s_and_b32 s4, ttmp6, 15
	s_add_co_i32 s3, s3, 1
	s_getreg_b32 s5, hwreg(HW_REG_IB_STS2, 6, 4)
	s_mul_i32 s3, ttmp9, s3
	v_mov_b32_e32 v1, 0
	s_add_co_i32 s4, s4, s3
	s_cmp_eq_u32 s5, 0
	s_mov_b32 s5, 0
	s_cselect_b32 s8, ttmp9, s4
	s_mov_b32 s9, exec_lo
	s_wait_kmcnt 0x0
	v_cmpx_gt_u32_e64 s2, v0
	s_cbranch_execz .LBB81_4
; %bb.1:
	s_clause 0x1
	s_load_b64 s[6:7], s[0:1], 0x0
	s_load_b32 s4, s[0:1], 0xc9c
	v_dual_mov_b32 v1, 0 :: v_dual_lshlrev_b32 v2, 2, v0
	s_mul_i32 s10, s2, s8
	s_mov_b32 s11, s5
	s_ashr_i32 s3, s2, 31
	s_delay_alu instid0(VALU_DEP_1)
	v_mov_b32_e32 v3, v1
	s_lshl_b64 s[10:11], s[10:11], 2
	v_mov_b64_e32 v[4:5], v[0:1]
	s_wait_kmcnt 0x0
	s_add_nc_u64 s[6:7], s[6:7], s[10:11]
	s_and_b32 s4, s4, 0xffff
	v_add_nc_u64_e32 v[2:3], s[6:7], v[2:3]
	s_lshl_b32 s6, s4, 2
	s_mov_b32 s7, s5
	s_mov_b32 s10, s5
.LBB81_2:                               ; =>This Inner Loop Header: Depth=1
	global_load_b32 v6, v[2:3], off
	v_add_nc_u64_e32 v[4:5], s[4:5], v[4:5]
	s_wait_xcnt 0x0
	v_add_nc_u64_e32 v[2:3], s[6:7], v[2:3]
	s_delay_alu instid0(VALU_DEP_2)
	v_cmp_le_u64_e32 vcc_lo, s[2:3], v[4:5]
	s_or_b32 s10, vcc_lo, s10
	s_wait_loadcnt 0x0
	v_add_f32_e32 v1, v1, v6
	s_and_not1_b32 exec_lo, exec_lo, s10
	s_cbranch_execnz .LBB81_2
; %bb.3:
	s_or_b32 exec_lo, exec_lo, s10
.LBB81_4:
	s_delay_alu instid0(SALU_CYCLE_1) | instskip(SKIP_4) | instid1(VALU_DEP_1)
	s_or_b32 exec_lo, exec_lo, s9
	v_mbcnt_lo_u32_b32 v5, -1, 0
	s_mov_b32 s2, exec_lo
	s_barrier_signal -1
	s_barrier_wait -1
	v_lshl_or_b32 v2, v5, 2, 64
	v_cmp_gt_u32_e32 vcc_lo, 24, v5
	ds_bpermute_b32 v4, v2, v1
	v_cndmask_b32_e64 v3, 0, 8, vcc_lo
	v_cmp_gt_u32_e32 vcc_lo, 28, v5
	s_delay_alu instid0(VALU_DEP_2)
	v_add_lshl_u32 v3, v3, v5, 2
	s_wait_dscnt 0x0
	v_add_f32_e32 v4, v1, v4
	v_cndmask_b32_e64 v1, 0, 4, vcc_lo
	v_cmp_gt_u32_e32 vcc_lo, 30, v5
	ds_bpermute_b32 v6, v3, v4
	v_add_lshl_u32 v1, v1, v5, 2
	s_wait_dscnt 0x0
	v_add_f32_e32 v6, v4, v6
	v_cndmask_b32_e64 v4, 0, 2, vcc_lo
	v_cmp_ne_u32_e32 vcc_lo, 31, v5
	s_delay_alu instid0(VALU_DEP_2) | instskip(SKIP_1) | instid1(VALU_DEP_1)
	v_add_lshl_u32 v4, v4, v5, 2
	v_add_co_ci_u32_e64 v5, null, 0, v5, vcc_lo
	v_lshlrev_b32_e32 v5, 2, v5
	ds_bpermute_b32 v7, v1, v6
	s_wait_dscnt 0x0
	v_add_f32_e32 v6, v6, v7
	ds_bpermute_b32 v7, v4, v6
	s_wait_dscnt 0x0
	v_dual_add_f32 v6, v6, v7 :: v_dual_bitop2_b32 v7, 31, v0 bitop3:0x40
	ds_bpermute_b32 v8, v5, v6
	v_cmpx_eq_u32_e32 0, v7
	s_cbranch_execz .LBB81_6
; %bb.5:
	s_wait_dscnt 0x0
	v_add_f32_e32 v6, v6, v8
	v_lshrrev_b32_e32 v8, 3, v0
	ds_store_b32 v8, v6
.LBB81_6:
	s_or_b32 exec_lo, exec_lo, s2
	s_wait_dscnt 0x0
	s_barrier_signal -1
	s_barrier_wait -1
	s_load_b32 s2, s[0:1], 0xc9c
	v_mov_b32_e32 v6, 0
	s_wait_kmcnt 0x0
	s_bfe_u32 s2, s2, 0xb0005
	s_delay_alu instid0(SALU_CYCLE_1)
	v_cmp_gt_u32_e32 vcc_lo, s2, v0
	s_and_saveexec_b32 s2, vcc_lo
; %bb.7:
	v_lshlrev_b32_e32 v6, 2, v7
	ds_load_b32 v6, v6
; %bb.8:
	s_or_b32 exec_lo, exec_lo, s2
	s_delay_alu instid0(SALU_CYCLE_1)
	s_mov_b32 s2, exec_lo
	v_cmpx_gt_u32_e32 32, v0
	s_cbranch_execz .LBB81_10
; %bb.9:
	s_wait_dscnt 0x0
	ds_bpermute_b32 v2, v2, v6
	s_wait_dscnt 0x0
	v_add_f32_e32 v2, v6, v2
	ds_bpermute_b32 v3, v3, v2
	s_wait_dscnt 0x0
	v_add_f32_e32 v2, v2, v3
	;; [unrolled: 3-line block ×5, first 2 shown]
.LBB81_10:
	s_or_b32 exec_lo, exec_lo, s2
	s_delay_alu instid0(SALU_CYCLE_1)
	s_mov_b32 s2, exec_lo
	v_cmpx_eq_u32_e32 0, v0
	s_cbranch_execz .LBB81_12
; %bb.11:
	s_wait_dscnt 0x0
	v_bfe_u32 v0, v6, 16, 1
	s_load_b64 s[0:1], s[0:1], s8 offset:0x8 scale_offset
	v_cmp_o_f32_e32 vcc_lo, v6, v6
	v_mov_b32_e32 v1, 0
	s_delay_alu instid0(VALU_DEP_3) | instskip(NEXT) | instid1(VALU_DEP_1)
	v_add3_u32 v0, v6, v0, 0x7fff
	v_lshrrev_b32_e32 v0, 16, v0
	s_delay_alu instid0(VALU_DEP_1)
	v_cndmask_b32_e32 v0, 0x7fc0, v0, vcc_lo
	s_wait_kmcnt 0x0
	global_store_b16 v1, v0, s[0:1]
.LBB81_12:
	s_endpgm
	.section	.rodata,"a",@progbits
	.p2align	6, 0x0
	.amdhsa_kernel _ZN2at6native14lpnorm_cleanupIfLNS0_8NormTypeE1EN3c108BFloat16ELb1EfEEvPKT3_NS0_19TensorListAddressesEi
		.amdhsa_group_segment_fixed_size 2048
		.amdhsa_private_segment_fixed_size 0
		.amdhsa_kernarg_size 3472
		.amdhsa_user_sgpr_count 2
		.amdhsa_user_sgpr_dispatch_ptr 0
		.amdhsa_user_sgpr_queue_ptr 0
		.amdhsa_user_sgpr_kernarg_segment_ptr 1
		.amdhsa_user_sgpr_dispatch_id 0
		.amdhsa_user_sgpr_kernarg_preload_length 0
		.amdhsa_user_sgpr_kernarg_preload_offset 0
		.amdhsa_user_sgpr_private_segment_size 0
		.amdhsa_wavefront_size32 1
		.amdhsa_uses_dynamic_stack 0
		.amdhsa_enable_private_segment 0
		.amdhsa_system_sgpr_workgroup_id_x 1
		.amdhsa_system_sgpr_workgroup_id_y 0
		.amdhsa_system_sgpr_workgroup_id_z 0
		.amdhsa_system_sgpr_workgroup_info 0
		.amdhsa_system_vgpr_workitem_id 0
		.amdhsa_next_free_vgpr 9
		.amdhsa_next_free_sgpr 12
		.amdhsa_named_barrier_count 0
		.amdhsa_reserve_vcc 1
		.amdhsa_float_round_mode_32 0
		.amdhsa_float_round_mode_16_64 0
		.amdhsa_float_denorm_mode_32 3
		.amdhsa_float_denorm_mode_16_64 3
		.amdhsa_fp16_overflow 0
		.amdhsa_memory_ordered 1
		.amdhsa_forward_progress 1
		.amdhsa_inst_pref_size 6
		.amdhsa_round_robin_scheduling 0
		.amdhsa_exception_fp_ieee_invalid_op 0
		.amdhsa_exception_fp_denorm_src 0
		.amdhsa_exception_fp_ieee_div_zero 0
		.amdhsa_exception_fp_ieee_overflow 0
		.amdhsa_exception_fp_ieee_underflow 0
		.amdhsa_exception_fp_ieee_inexact 0
		.amdhsa_exception_int_div_zero 0
	.end_amdhsa_kernel
	.section	.text._ZN2at6native14lpnorm_cleanupIfLNS0_8NormTypeE1EN3c108BFloat16ELb1EfEEvPKT3_NS0_19TensorListAddressesEi,"axG",@progbits,_ZN2at6native14lpnorm_cleanupIfLNS0_8NormTypeE1EN3c108BFloat16ELb1EfEEvPKT3_NS0_19TensorListAddressesEi,comdat
.Lfunc_end81:
	.size	_ZN2at6native14lpnorm_cleanupIfLNS0_8NormTypeE1EN3c108BFloat16ELb1EfEEvPKT3_NS0_19TensorListAddressesEi, .Lfunc_end81-_ZN2at6native14lpnorm_cleanupIfLNS0_8NormTypeE1EN3c108BFloat16ELb1EfEEvPKT3_NS0_19TensorListAddressesEi
                                        ; -- End function
	.set _ZN2at6native14lpnorm_cleanupIfLNS0_8NormTypeE1EN3c108BFloat16ELb1EfEEvPKT3_NS0_19TensorListAddressesEi.num_vgpr, 9
	.set _ZN2at6native14lpnorm_cleanupIfLNS0_8NormTypeE1EN3c108BFloat16ELb1EfEEvPKT3_NS0_19TensorListAddressesEi.num_agpr, 0
	.set _ZN2at6native14lpnorm_cleanupIfLNS0_8NormTypeE1EN3c108BFloat16ELb1EfEEvPKT3_NS0_19TensorListAddressesEi.numbered_sgpr, 12
	.set _ZN2at6native14lpnorm_cleanupIfLNS0_8NormTypeE1EN3c108BFloat16ELb1EfEEvPKT3_NS0_19TensorListAddressesEi.num_named_barrier, 0
	.set _ZN2at6native14lpnorm_cleanupIfLNS0_8NormTypeE1EN3c108BFloat16ELb1EfEEvPKT3_NS0_19TensorListAddressesEi.private_seg_size, 0
	.set _ZN2at6native14lpnorm_cleanupIfLNS0_8NormTypeE1EN3c108BFloat16ELb1EfEEvPKT3_NS0_19TensorListAddressesEi.uses_vcc, 1
	.set _ZN2at6native14lpnorm_cleanupIfLNS0_8NormTypeE1EN3c108BFloat16ELb1EfEEvPKT3_NS0_19TensorListAddressesEi.uses_flat_scratch, 0
	.set _ZN2at6native14lpnorm_cleanupIfLNS0_8NormTypeE1EN3c108BFloat16ELb1EfEEvPKT3_NS0_19TensorListAddressesEi.has_dyn_sized_stack, 0
	.set _ZN2at6native14lpnorm_cleanupIfLNS0_8NormTypeE1EN3c108BFloat16ELb1EfEEvPKT3_NS0_19TensorListAddressesEi.has_recursion, 0
	.set _ZN2at6native14lpnorm_cleanupIfLNS0_8NormTypeE1EN3c108BFloat16ELb1EfEEvPKT3_NS0_19TensorListAddressesEi.has_indirect_call, 0
	.section	.AMDGPU.csdata,"",@progbits
; Kernel info:
; codeLenInByte = 712
; TotalNumSgprs: 14
; NumVgprs: 9
; ScratchSize: 0
; MemoryBound: 0
; FloatMode: 240
; IeeeMode: 1
; LDSByteSize: 2048 bytes/workgroup (compile time only)
; SGPRBlocks: 0
; VGPRBlocks: 0
; NumSGPRsForWavesPerEU: 14
; NumVGPRsForWavesPerEU: 9
; NamedBarCnt: 0
; Occupancy: 16
; WaveLimiterHint : 0
; COMPUTE_PGM_RSRC2:SCRATCH_EN: 0
; COMPUTE_PGM_RSRC2:USER_SGPR: 2
; COMPUTE_PGM_RSRC2:TRAP_HANDLER: 0
; COMPUTE_PGM_RSRC2:TGID_X_EN: 1
; COMPUTE_PGM_RSRC2:TGID_Y_EN: 0
; COMPUTE_PGM_RSRC2:TGID_Z_EN: 0
; COMPUTE_PGM_RSRC2:TIDIG_COMP_CNT: 0
	.section	.text._ZN2at6native14lpnorm_cleanupIfLNS0_8NormTypeE2EN3c108BFloat16ELb1EfEEvPKT3_NS0_19TensorListAddressesEi,"axG",@progbits,_ZN2at6native14lpnorm_cleanupIfLNS0_8NormTypeE2EN3c108BFloat16ELb1EfEEvPKT3_NS0_19TensorListAddressesEi,comdat
	.protected	_ZN2at6native14lpnorm_cleanupIfLNS0_8NormTypeE2EN3c108BFloat16ELb1EfEEvPKT3_NS0_19TensorListAddressesEi ; -- Begin function _ZN2at6native14lpnorm_cleanupIfLNS0_8NormTypeE2EN3c108BFloat16ELb1EfEEvPKT3_NS0_19TensorListAddressesEi
	.globl	_ZN2at6native14lpnorm_cleanupIfLNS0_8NormTypeE2EN3c108BFloat16ELb1EfEEvPKT3_NS0_19TensorListAddressesEi
	.p2align	8
	.type	_ZN2at6native14lpnorm_cleanupIfLNS0_8NormTypeE2EN3c108BFloat16ELb1EfEEvPKT3_NS0_19TensorListAddressesEi,@function
_ZN2at6native14lpnorm_cleanupIfLNS0_8NormTypeE2EN3c108BFloat16ELb1EfEEvPKT3_NS0_19TensorListAddressesEi: ; @_ZN2at6native14lpnorm_cleanupIfLNS0_8NormTypeE2EN3c108BFloat16ELb1EfEEvPKT3_NS0_19TensorListAddressesEi
; %bb.0:
	s_load_b32 s2, s[0:1], 0xc88
	s_bfe_u32 s3, ttmp6, 0x4000c
	s_and_b32 s4, ttmp6, 15
	s_add_co_i32 s3, s3, 1
	s_getreg_b32 s5, hwreg(HW_REG_IB_STS2, 6, 4)
	s_mul_i32 s3, ttmp9, s3
	v_mov_b32_e32 v1, 0
	s_add_co_i32 s4, s4, s3
	s_cmp_eq_u32 s5, 0
	s_mov_b32 s5, 0
	s_cselect_b32 s8, ttmp9, s4
	s_mov_b32 s9, exec_lo
	s_wait_kmcnt 0x0
	v_cmpx_gt_u32_e64 s2, v0
	s_cbranch_execz .LBB82_4
; %bb.1:
	s_clause 0x1
	s_load_b64 s[6:7], s[0:1], 0x0
	s_load_b32 s4, s[0:1], 0xc9c
	v_dual_mov_b32 v1, 0 :: v_dual_lshlrev_b32 v2, 2, v0
	s_mul_i32 s10, s2, s8
	s_mov_b32 s11, s5
	s_ashr_i32 s3, s2, 31
	s_delay_alu instid0(VALU_DEP_1)
	v_mov_b32_e32 v3, v1
	s_lshl_b64 s[10:11], s[10:11], 2
	v_mov_b64_e32 v[4:5], v[0:1]
	s_wait_kmcnt 0x0
	s_add_nc_u64 s[6:7], s[6:7], s[10:11]
	s_and_b32 s4, s4, 0xffff
	v_add_nc_u64_e32 v[2:3], s[6:7], v[2:3]
	s_lshl_b32 s6, s4, 2
	s_mov_b32 s7, s5
	s_mov_b32 s10, s5
.LBB82_2:                               ; =>This Inner Loop Header: Depth=1
	global_load_b32 v6, v[2:3], off
	v_add_nc_u64_e32 v[4:5], s[4:5], v[4:5]
	s_wait_xcnt 0x0
	v_add_nc_u64_e32 v[2:3], s[6:7], v[2:3]
	s_delay_alu instid0(VALU_DEP_2)
	v_cmp_le_u64_e32 vcc_lo, s[2:3], v[4:5]
	s_or_b32 s10, vcc_lo, s10
	s_wait_loadcnt 0x0
	v_add_f32_e32 v1, v1, v6
	s_and_not1_b32 exec_lo, exec_lo, s10
	s_cbranch_execnz .LBB82_2
; %bb.3:
	s_or_b32 exec_lo, exec_lo, s10
.LBB82_4:
	s_delay_alu instid0(SALU_CYCLE_1) | instskip(SKIP_4) | instid1(VALU_DEP_1)
	s_or_b32 exec_lo, exec_lo, s9
	v_mbcnt_lo_u32_b32 v5, -1, 0
	s_mov_b32 s2, exec_lo
	s_barrier_signal -1
	s_barrier_wait -1
	v_lshl_or_b32 v2, v5, 2, 64
	v_cmp_gt_u32_e32 vcc_lo, 24, v5
	ds_bpermute_b32 v4, v2, v1
	v_cndmask_b32_e64 v3, 0, 8, vcc_lo
	v_cmp_gt_u32_e32 vcc_lo, 28, v5
	s_delay_alu instid0(VALU_DEP_2)
	v_add_lshl_u32 v3, v3, v5, 2
	s_wait_dscnt 0x0
	v_add_f32_e32 v4, v1, v4
	v_cndmask_b32_e64 v1, 0, 4, vcc_lo
	v_cmp_gt_u32_e32 vcc_lo, 30, v5
	ds_bpermute_b32 v6, v3, v4
	v_add_lshl_u32 v1, v1, v5, 2
	s_wait_dscnt 0x0
	v_add_f32_e32 v6, v4, v6
	v_cndmask_b32_e64 v4, 0, 2, vcc_lo
	v_cmp_ne_u32_e32 vcc_lo, 31, v5
	ds_bpermute_b32 v7, v1, v6
	v_add_lshl_u32 v4, v4, v5, 2
	v_add_co_ci_u32_e64 v8, null, 0, v5, vcc_lo
	s_wait_dscnt 0x0
	v_add_f32_e32 v6, v6, v7
	ds_bpermute_b32 v7, v4, v6
	s_wait_dscnt 0x0
	v_dual_add_f32 v5, v6, v7 :: v_dual_lshlrev_b32 v6, 2, v8
	v_and_b32_e32 v7, 31, v0
	ds_bpermute_b32 v8, v6, v5
	v_cmpx_eq_u32_e32 0, v7
	s_cbranch_execz .LBB82_6
; %bb.5:
	s_wait_dscnt 0x0
	v_add_f32_e32 v5, v5, v8
	v_lshrrev_b32_e32 v8, 3, v0
	ds_store_b32 v8, v5
.LBB82_6:
	s_or_b32 exec_lo, exec_lo, s2
	s_wait_dscnt 0x0
	s_barrier_signal -1
	s_barrier_wait -1
	s_load_b32 s2, s[0:1], 0xc9c
	v_mov_b32_e32 v5, 0
	s_wait_kmcnt 0x0
	s_bfe_u32 s2, s2, 0xb0005
	s_delay_alu instid0(SALU_CYCLE_1)
	v_cmp_gt_u32_e32 vcc_lo, s2, v0
	s_and_saveexec_b32 s2, vcc_lo
; %bb.7:
	v_lshlrev_b32_e32 v5, 2, v7
	ds_load_b32 v5, v5
; %bb.8:
	s_or_b32 exec_lo, exec_lo, s2
	s_delay_alu instid0(SALU_CYCLE_1)
	s_mov_b32 s2, exec_lo
	v_cmpx_gt_u32_e32 32, v0
	s_cbranch_execz .LBB82_10
; %bb.9:
	s_wait_dscnt 0x0
	ds_bpermute_b32 v2, v2, v5
	s_wait_dscnt 0x0
	v_add_f32_e32 v2, v5, v2
	ds_bpermute_b32 v3, v3, v2
	s_wait_dscnt 0x0
	v_add_f32_e32 v2, v2, v3
	;; [unrolled: 3-line block ×5, first 2 shown]
.LBB82_10:
	s_or_b32 exec_lo, exec_lo, s2
	s_delay_alu instid0(SALU_CYCLE_1)
	s_mov_b32 s2, exec_lo
	v_cmpx_eq_u32_e32 0, v0
	s_cbranch_execz .LBB82_12
; %bb.11:
	s_wait_dscnt 0x0
	v_cmp_gt_f32_e32 vcc_lo, 0xf800000, v5
	v_mul_f32_e32 v0, 0x4f800000, v5
	s_load_b64 s[0:1], s[0:1], s8 offset:0x8 scale_offset
	s_delay_alu instid0(VALU_DEP_1) | instskip(NEXT) | instid1(VALU_DEP_1)
	v_cndmask_b32_e32 v0, v5, v0, vcc_lo
	v_sqrt_f32_e32 v1, v0
	v_nop
	s_delay_alu instid0(TRANS32_DEP_1) | instskip(NEXT) | instid1(VALU_DEP_1)
	v_dual_add_nc_u32 v2, -1, v1 :: v_dual_add_nc_u32 v3, 1, v1
	v_fma_f32 v4, -v2, v1, v0
	s_delay_alu instid0(VALU_DEP_1) | instskip(NEXT) | instid1(VALU_DEP_1)
	v_cmp_ge_f32_e64 s2, 0, v4
	v_dual_fma_f32 v6, -v3, v1, v0 :: v_dual_cndmask_b32 v1, v1, v2, s2
	s_delay_alu instid0(VALU_DEP_1) | instskip(NEXT) | instid1(VALU_DEP_1)
	v_cmp_lt_f32_e64 s2, 0, v6
	v_cndmask_b32_e64 v1, v1, v3, s2
	s_delay_alu instid0(VALU_DEP_1) | instskip(NEXT) | instid1(VALU_DEP_1)
	v_mul_f32_e32 v2, 0x37800000, v1
	v_cndmask_b32_e32 v1, v1, v2, vcc_lo
	v_cmp_class_f32_e64 vcc_lo, v0, 0x260
	s_delay_alu instid0(VALU_DEP_2) | instskip(SKIP_1) | instid1(VALU_DEP_2)
	v_cndmask_b32_e32 v0, v1, v0, vcc_lo
	v_cmp_le_f32_e32 vcc_lo, 0, v5
	v_bfe_u32 v1, v0, 16, 1
	s_delay_alu instid0(VALU_DEP_1) | instskip(NEXT) | instid1(VALU_DEP_1)
	v_add3_u32 v0, v0, v1, 0x7fff
	v_dual_mov_b32 v1, 0 :: v_dual_lshrrev_b32 v0, 16, v0
	s_delay_alu instid0(VALU_DEP_1)
	v_cndmask_b32_e32 v0, 0x7fc0, v0, vcc_lo
	s_wait_kmcnt 0x0
	global_store_b16 v1, v0, s[0:1]
.LBB82_12:
	s_endpgm
	.section	.rodata,"a",@progbits
	.p2align	6, 0x0
	.amdhsa_kernel _ZN2at6native14lpnorm_cleanupIfLNS0_8NormTypeE2EN3c108BFloat16ELb1EfEEvPKT3_NS0_19TensorListAddressesEi
		.amdhsa_group_segment_fixed_size 2048
		.amdhsa_private_segment_fixed_size 0
		.amdhsa_kernarg_size 3472
		.amdhsa_user_sgpr_count 2
		.amdhsa_user_sgpr_dispatch_ptr 0
		.amdhsa_user_sgpr_queue_ptr 0
		.amdhsa_user_sgpr_kernarg_segment_ptr 1
		.amdhsa_user_sgpr_dispatch_id 0
		.amdhsa_user_sgpr_kernarg_preload_length 0
		.amdhsa_user_sgpr_kernarg_preload_offset 0
		.amdhsa_user_sgpr_private_segment_size 0
		.amdhsa_wavefront_size32 1
		.amdhsa_uses_dynamic_stack 0
		.amdhsa_enable_private_segment 0
		.amdhsa_system_sgpr_workgroup_id_x 1
		.amdhsa_system_sgpr_workgroup_id_y 0
		.amdhsa_system_sgpr_workgroup_id_z 0
		.amdhsa_system_sgpr_workgroup_info 0
		.amdhsa_system_vgpr_workitem_id 0
		.amdhsa_next_free_vgpr 9
		.amdhsa_next_free_sgpr 12
		.amdhsa_named_barrier_count 0
		.amdhsa_reserve_vcc 1
		.amdhsa_float_round_mode_32 0
		.amdhsa_float_round_mode_16_64 0
		.amdhsa_float_denorm_mode_32 3
		.amdhsa_float_denorm_mode_16_64 3
		.amdhsa_fp16_overflow 0
		.amdhsa_memory_ordered 1
		.amdhsa_forward_progress 1
		.amdhsa_inst_pref_size 7
		.amdhsa_round_robin_scheduling 0
		.amdhsa_exception_fp_ieee_invalid_op 0
		.amdhsa_exception_fp_denorm_src 0
		.amdhsa_exception_fp_ieee_div_zero 0
		.amdhsa_exception_fp_ieee_overflow 0
		.amdhsa_exception_fp_ieee_underflow 0
		.amdhsa_exception_fp_ieee_inexact 0
		.amdhsa_exception_int_div_zero 0
	.end_amdhsa_kernel
	.section	.text._ZN2at6native14lpnorm_cleanupIfLNS0_8NormTypeE2EN3c108BFloat16ELb1EfEEvPKT3_NS0_19TensorListAddressesEi,"axG",@progbits,_ZN2at6native14lpnorm_cleanupIfLNS0_8NormTypeE2EN3c108BFloat16ELb1EfEEvPKT3_NS0_19TensorListAddressesEi,comdat
.Lfunc_end82:
	.size	_ZN2at6native14lpnorm_cleanupIfLNS0_8NormTypeE2EN3c108BFloat16ELb1EfEEvPKT3_NS0_19TensorListAddressesEi, .Lfunc_end82-_ZN2at6native14lpnorm_cleanupIfLNS0_8NormTypeE2EN3c108BFloat16ELb1EfEEvPKT3_NS0_19TensorListAddressesEi
                                        ; -- End function
	.set _ZN2at6native14lpnorm_cleanupIfLNS0_8NormTypeE2EN3c108BFloat16ELb1EfEEvPKT3_NS0_19TensorListAddressesEi.num_vgpr, 9
	.set _ZN2at6native14lpnorm_cleanupIfLNS0_8NormTypeE2EN3c108BFloat16ELb1EfEEvPKT3_NS0_19TensorListAddressesEi.num_agpr, 0
	.set _ZN2at6native14lpnorm_cleanupIfLNS0_8NormTypeE2EN3c108BFloat16ELb1EfEEvPKT3_NS0_19TensorListAddressesEi.numbered_sgpr, 12
	.set _ZN2at6native14lpnorm_cleanupIfLNS0_8NormTypeE2EN3c108BFloat16ELb1EfEEvPKT3_NS0_19TensorListAddressesEi.num_named_barrier, 0
	.set _ZN2at6native14lpnorm_cleanupIfLNS0_8NormTypeE2EN3c108BFloat16ELb1EfEEvPKT3_NS0_19TensorListAddressesEi.private_seg_size, 0
	.set _ZN2at6native14lpnorm_cleanupIfLNS0_8NormTypeE2EN3c108BFloat16ELb1EfEEvPKT3_NS0_19TensorListAddressesEi.uses_vcc, 1
	.set _ZN2at6native14lpnorm_cleanupIfLNS0_8NormTypeE2EN3c108BFloat16ELb1EfEEvPKT3_NS0_19TensorListAddressesEi.uses_flat_scratch, 0
	.set _ZN2at6native14lpnorm_cleanupIfLNS0_8NormTypeE2EN3c108BFloat16ELb1EfEEvPKT3_NS0_19TensorListAddressesEi.has_dyn_sized_stack, 0
	.set _ZN2at6native14lpnorm_cleanupIfLNS0_8NormTypeE2EN3c108BFloat16ELb1EfEEvPKT3_NS0_19TensorListAddressesEi.has_recursion, 0
	.set _ZN2at6native14lpnorm_cleanupIfLNS0_8NormTypeE2EN3c108BFloat16ELb1EfEEvPKT3_NS0_19TensorListAddressesEi.has_indirect_call, 0
	.section	.AMDGPU.csdata,"",@progbits
; Kernel info:
; codeLenInByte = 840
; TotalNumSgprs: 14
; NumVgprs: 9
; ScratchSize: 0
; MemoryBound: 0
; FloatMode: 240
; IeeeMode: 1
; LDSByteSize: 2048 bytes/workgroup (compile time only)
; SGPRBlocks: 0
; VGPRBlocks: 0
; NumSGPRsForWavesPerEU: 14
; NumVGPRsForWavesPerEU: 9
; NamedBarCnt: 0
; Occupancy: 16
; WaveLimiterHint : 0
; COMPUTE_PGM_RSRC2:SCRATCH_EN: 0
; COMPUTE_PGM_RSRC2:USER_SGPR: 2
; COMPUTE_PGM_RSRC2:TRAP_HANDLER: 0
; COMPUTE_PGM_RSRC2:TGID_X_EN: 1
; COMPUTE_PGM_RSRC2:TGID_Y_EN: 0
; COMPUTE_PGM_RSRC2:TGID_Z_EN: 0
; COMPUTE_PGM_RSRC2:TIDIG_COMP_CNT: 0
	.section	.text._ZN2at6native14lpnorm_cleanupIfLNS0_8NormTypeE3EN3c108BFloat16ELb1EfEEvPKT3_NS0_19TensorListAddressesEi,"axG",@progbits,_ZN2at6native14lpnorm_cleanupIfLNS0_8NormTypeE3EN3c108BFloat16ELb1EfEEvPKT3_NS0_19TensorListAddressesEi,comdat
	.protected	_ZN2at6native14lpnorm_cleanupIfLNS0_8NormTypeE3EN3c108BFloat16ELb1EfEEvPKT3_NS0_19TensorListAddressesEi ; -- Begin function _ZN2at6native14lpnorm_cleanupIfLNS0_8NormTypeE3EN3c108BFloat16ELb1EfEEvPKT3_NS0_19TensorListAddressesEi
	.globl	_ZN2at6native14lpnorm_cleanupIfLNS0_8NormTypeE3EN3c108BFloat16ELb1EfEEvPKT3_NS0_19TensorListAddressesEi
	.p2align	8
	.type	_ZN2at6native14lpnorm_cleanupIfLNS0_8NormTypeE3EN3c108BFloat16ELb1EfEEvPKT3_NS0_19TensorListAddressesEi,@function
_ZN2at6native14lpnorm_cleanupIfLNS0_8NormTypeE3EN3c108BFloat16ELb1EfEEvPKT3_NS0_19TensorListAddressesEi: ; @_ZN2at6native14lpnorm_cleanupIfLNS0_8NormTypeE3EN3c108BFloat16ELb1EfEEvPKT3_NS0_19TensorListAddressesEi
; %bb.0:
	s_load_b32 s4, s[0:1], 0xc88
	s_bfe_u32 s2, ttmp6, 0x4000c
	s_and_b32 s3, ttmp6, 15
	s_add_co_i32 s2, s2, 1
	s_getreg_b32 s5, hwreg(HW_REG_IB_STS2, 6, 4)
	s_mul_i32 s2, ttmp9, s2
	v_mov_b32_e32 v1, 0
	s_add_co_i32 s3, s3, s2
	s_cmp_eq_u32 s5, 0
	s_mov_b32 s7, 0
	s_cselect_b32 s10, ttmp9, s3
	s_mov_b32 s11, exec_lo
	s_wait_kmcnt 0x0
	v_cmpx_gt_u32_e64 s4, v0
	s_cbranch_execz .LBB83_4
; %bb.1:
	s_clause 0x1
	s_load_b64 s[2:3], s[0:1], 0x0
	s_load_b32 s6, s[0:1], 0xc9c
	v_dual_mov_b32 v1, 0 :: v_dual_lshlrev_b32 v2, 2, v0
	s_mul_i32 s8, s4, s10
	s_mov_b32 s9, s7
	s_ashr_i32 s5, s4, 31
	s_delay_alu instid0(VALU_DEP_1)
	v_mov_b32_e32 v3, v1
	s_lshl_b64 s[8:9], s[8:9], 2
	v_mov_b64_e32 v[4:5], v[0:1]
	s_mov_b32 s12, s7
	s_wait_kmcnt 0x0
	s_add_nc_u64 s[2:3], s[2:3], s[8:9]
	s_and_b32 s6, s6, 0xffff
	v_add_nc_u64_e32 v[2:3], s[2:3], v[2:3]
	s_lshl_b32 s8, s6, 2
	s_mov_b32 s9, s7
.LBB83_2:                               ; =>This Inner Loop Header: Depth=1
	global_load_b32 v6, v[2:3], off
	v_add_nc_u64_e32 v[4:5], s[6:7], v[4:5]
	s_wait_xcnt 0x0
	v_add_nc_u64_e32 v[2:3], s[8:9], v[2:3]
	s_delay_alu instid0(VALU_DEP_2)
	v_cmp_le_u64_e32 vcc_lo, s[4:5], v[4:5]
	s_wait_loadcnt 0x0
	v_cmp_u_f32_e64 s2, v6, v6
	v_cmp_lt_f32_e64 s3, v1, v6
	s_or_b32 s2, s2, s3
	s_or_b32 s12, vcc_lo, s12
	v_cndmask_b32_e64 v1, v1, v6, s2
	s_and_not1_b32 exec_lo, exec_lo, s12
	s_cbranch_execnz .LBB83_2
; %bb.3:
	s_or_b32 exec_lo, exec_lo, s12
.LBB83_4:
	s_delay_alu instid0(SALU_CYCLE_1) | instskip(SKIP_3) | instid1(VALU_DEP_1)
	s_or_b32 exec_lo, exec_lo, s11
	v_mbcnt_lo_u32_b32 v5, -1, 0
	s_barrier_signal -1
	s_barrier_wait -1
	v_lshl_or_b32 v2, v5, 2, 64
	v_cmp_gt_u32_e32 vcc_lo, 24, v5
	v_cmp_ne_u32_e64 s3, 31, v5
	ds_bpermute_b32 v4, v2, v1
	v_cndmask_b32_e64 v3, 0, 8, vcc_lo
	s_delay_alu instid0(VALU_DEP_1)
	v_add_lshl_u32 v3, v3, v5, 2
	s_wait_dscnt 0x0
	v_cmp_u_f32_e32 vcc_lo, v4, v4
	v_cmp_lt_f32_e64 s2, v1, v4
	s_or_b32 vcc_lo, vcc_lo, s2
	v_cndmask_b32_e32 v4, v1, v4, vcc_lo
	v_cmp_gt_u32_e32 vcc_lo, 28, v5
	ds_bpermute_b32 v6, v3, v4
	v_cndmask_b32_e64 v1, 0, 4, vcc_lo
	s_delay_alu instid0(VALU_DEP_1)
	v_add_lshl_u32 v1, v1, v5, 2
	s_wait_dscnt 0x0
	v_cmp_u_f32_e32 vcc_lo, v6, v6
	v_cmp_lt_f32_e64 s2, v4, v6
	s_or_b32 vcc_lo, vcc_lo, s2
	v_cndmask_b32_e32 v6, v4, v6, vcc_lo
	v_cmp_gt_u32_e32 vcc_lo, 30, v5
	v_cndmask_b32_e64 v4, 0, 2, vcc_lo
	s_delay_alu instid0(VALU_DEP_1)
	v_add_lshl_u32 v4, v4, v5, 2
	v_add_co_ci_u32_e64 v5, null, 0, v5, s3
	s_mov_b32 s3, exec_lo
	v_lshlrev_b32_e32 v5, 2, v5
	ds_bpermute_b32 v7, v1, v6
	s_wait_dscnt 0x0
	v_cmp_u_f32_e32 vcc_lo, v7, v7
	v_cmp_lt_f32_e64 s2, v6, v7
	s_or_b32 vcc_lo, vcc_lo, s2
	v_cndmask_b32_e32 v6, v6, v7, vcc_lo
	ds_bpermute_b32 v7, v4, v6
	s_wait_dscnt 0x0
	v_cmp_u_f32_e32 vcc_lo, v7, v7
	v_cmp_lt_f32_e64 s2, v6, v7
	s_or_b32 vcc_lo, vcc_lo, s2
	s_delay_alu instid0(SALU_CYCLE_1)
	v_dual_cndmask_b32 v6, v6, v7, vcc_lo :: v_dual_bitop2_b32 v7, 31, v0 bitop3:0x40
	ds_bpermute_b32 v8, v5, v6
	v_cmpx_eq_u32_e32 0, v7
	s_cbranch_execz .LBB83_6
; %bb.5:
	s_wait_dscnt 0x0
	v_cmp_u_f32_e32 vcc_lo, v8, v8
	v_cmp_lt_f32_e64 s2, v6, v8
	s_or_b32 vcc_lo, vcc_lo, s2
	v_cndmask_b32_e32 v6, v6, v8, vcc_lo
	v_lshrrev_b32_e32 v8, 3, v0
	ds_store_b32 v8, v6
.LBB83_6:
	s_or_b32 exec_lo, exec_lo, s3
	s_wait_dscnt 0x0
	s_barrier_signal -1
	s_barrier_wait -1
	s_load_b32 s2, s[0:1], 0xc9c
	v_mov_b32_e32 v6, 0xff7fffff
	s_wait_kmcnt 0x0
	s_bfe_u32 s2, s2, 0xb0005
	s_delay_alu instid0(SALU_CYCLE_1)
	v_cmp_gt_u32_e32 vcc_lo, s2, v0
	s_and_saveexec_b32 s2, vcc_lo
; %bb.7:
	v_lshlrev_b32_e32 v6, 2, v7
	ds_load_b32 v6, v6
; %bb.8:
	s_or_b32 exec_lo, exec_lo, s2
	s_delay_alu instid0(SALU_CYCLE_1)
	s_mov_b32 s3, exec_lo
	v_cmpx_gt_u32_e32 32, v0
	s_cbranch_execz .LBB83_10
; %bb.9:
	s_wait_dscnt 0x0
	ds_bpermute_b32 v2, v2, v6
	s_wait_dscnt 0x0
	v_cmp_u_f32_e32 vcc_lo, v2, v2
	v_cmp_lt_f32_e64 s2, v6, v2
	s_or_b32 vcc_lo, vcc_lo, s2
	v_cndmask_b32_e32 v2, v6, v2, vcc_lo
	ds_bpermute_b32 v3, v3, v2
	s_wait_dscnt 0x0
	v_cmp_u_f32_e32 vcc_lo, v3, v3
	v_cmp_lt_f32_e64 s2, v2, v3
	s_or_b32 vcc_lo, vcc_lo, s2
	v_cndmask_b32_e32 v2, v2, v3, vcc_lo
	;; [unrolled: 6-line block ×5, first 2 shown]
.LBB83_10:
	s_or_b32 exec_lo, exec_lo, s3
	s_delay_alu instid0(SALU_CYCLE_1)
	s_mov_b32 s2, exec_lo
	v_cmpx_eq_u32_e32 0, v0
	s_cbranch_execz .LBB83_12
; %bb.11:
	s_wait_dscnt 0x0
	v_bfe_u32 v0, v6, 16, 1
	s_load_b64 s[0:1], s[0:1], s10 offset:0x8 scale_offset
	v_cmp_o_f32_e32 vcc_lo, v6, v6
	v_mov_b32_e32 v1, 0
	s_delay_alu instid0(VALU_DEP_3) | instskip(NEXT) | instid1(VALU_DEP_1)
	v_add3_u32 v0, v6, v0, 0x7fff
	v_lshrrev_b32_e32 v0, 16, v0
	s_delay_alu instid0(VALU_DEP_1)
	v_cndmask_b32_e32 v0, 0x7fc0, v0, vcc_lo
	s_wait_kmcnt 0x0
	global_store_b16 v1, v0, s[0:1]
.LBB83_12:
	s_endpgm
	.section	.rodata,"a",@progbits
	.p2align	6, 0x0
	.amdhsa_kernel _ZN2at6native14lpnorm_cleanupIfLNS0_8NormTypeE3EN3c108BFloat16ELb1EfEEvPKT3_NS0_19TensorListAddressesEi
		.amdhsa_group_segment_fixed_size 2048
		.amdhsa_private_segment_fixed_size 0
		.amdhsa_kernarg_size 3472
		.amdhsa_user_sgpr_count 2
		.amdhsa_user_sgpr_dispatch_ptr 0
		.amdhsa_user_sgpr_queue_ptr 0
		.amdhsa_user_sgpr_kernarg_segment_ptr 1
		.amdhsa_user_sgpr_dispatch_id 0
		.amdhsa_user_sgpr_kernarg_preload_length 0
		.amdhsa_user_sgpr_kernarg_preload_offset 0
		.amdhsa_user_sgpr_private_segment_size 0
		.amdhsa_wavefront_size32 1
		.amdhsa_uses_dynamic_stack 0
		.amdhsa_enable_private_segment 0
		.amdhsa_system_sgpr_workgroup_id_x 1
		.amdhsa_system_sgpr_workgroup_id_y 0
		.amdhsa_system_sgpr_workgroup_id_z 0
		.amdhsa_system_sgpr_workgroup_info 0
		.amdhsa_system_vgpr_workitem_id 0
		.amdhsa_next_free_vgpr 9
		.amdhsa_next_free_sgpr 13
		.amdhsa_named_barrier_count 0
		.amdhsa_reserve_vcc 1
		.amdhsa_float_round_mode_32 0
		.amdhsa_float_round_mode_16_64 0
		.amdhsa_float_denorm_mode_32 3
		.amdhsa_float_denorm_mode_16_64 3
		.amdhsa_fp16_overflow 0
		.amdhsa_memory_ordered 1
		.amdhsa_forward_progress 1
		.amdhsa_inst_pref_size 8
		.amdhsa_round_robin_scheduling 0
		.amdhsa_exception_fp_ieee_invalid_op 0
		.amdhsa_exception_fp_denorm_src 0
		.amdhsa_exception_fp_ieee_div_zero 0
		.amdhsa_exception_fp_ieee_overflow 0
		.amdhsa_exception_fp_ieee_underflow 0
		.amdhsa_exception_fp_ieee_inexact 0
		.amdhsa_exception_int_div_zero 0
	.end_amdhsa_kernel
	.section	.text._ZN2at6native14lpnorm_cleanupIfLNS0_8NormTypeE3EN3c108BFloat16ELb1EfEEvPKT3_NS0_19TensorListAddressesEi,"axG",@progbits,_ZN2at6native14lpnorm_cleanupIfLNS0_8NormTypeE3EN3c108BFloat16ELb1EfEEvPKT3_NS0_19TensorListAddressesEi,comdat
.Lfunc_end83:
	.size	_ZN2at6native14lpnorm_cleanupIfLNS0_8NormTypeE3EN3c108BFloat16ELb1EfEEvPKT3_NS0_19TensorListAddressesEi, .Lfunc_end83-_ZN2at6native14lpnorm_cleanupIfLNS0_8NormTypeE3EN3c108BFloat16ELb1EfEEvPKT3_NS0_19TensorListAddressesEi
                                        ; -- End function
	.set _ZN2at6native14lpnorm_cleanupIfLNS0_8NormTypeE3EN3c108BFloat16ELb1EfEEvPKT3_NS0_19TensorListAddressesEi.num_vgpr, 9
	.set _ZN2at6native14lpnorm_cleanupIfLNS0_8NormTypeE3EN3c108BFloat16ELb1EfEEvPKT3_NS0_19TensorListAddressesEi.num_agpr, 0
	.set _ZN2at6native14lpnorm_cleanupIfLNS0_8NormTypeE3EN3c108BFloat16ELb1EfEEvPKT3_NS0_19TensorListAddressesEi.numbered_sgpr, 13
	.set _ZN2at6native14lpnorm_cleanupIfLNS0_8NormTypeE3EN3c108BFloat16ELb1EfEEvPKT3_NS0_19TensorListAddressesEi.num_named_barrier, 0
	.set _ZN2at6native14lpnorm_cleanupIfLNS0_8NormTypeE3EN3c108BFloat16ELb1EfEEvPKT3_NS0_19TensorListAddressesEi.private_seg_size, 0
	.set _ZN2at6native14lpnorm_cleanupIfLNS0_8NormTypeE3EN3c108BFloat16ELb1EfEEvPKT3_NS0_19TensorListAddressesEi.uses_vcc, 1
	.set _ZN2at6native14lpnorm_cleanupIfLNS0_8NormTypeE3EN3c108BFloat16ELb1EfEEvPKT3_NS0_19TensorListAddressesEi.uses_flat_scratch, 0
	.set _ZN2at6native14lpnorm_cleanupIfLNS0_8NormTypeE3EN3c108BFloat16ELb1EfEEvPKT3_NS0_19TensorListAddressesEi.has_dyn_sized_stack, 0
	.set _ZN2at6native14lpnorm_cleanupIfLNS0_8NormTypeE3EN3c108BFloat16ELb1EfEEvPKT3_NS0_19TensorListAddressesEi.has_recursion, 0
	.set _ZN2at6native14lpnorm_cleanupIfLNS0_8NormTypeE3EN3c108BFloat16ELb1EfEEvPKT3_NS0_19TensorListAddressesEi.has_indirect_call, 0
	.section	.AMDGPU.csdata,"",@progbits
; Kernel info:
; codeLenInByte = 912
; TotalNumSgprs: 15
; NumVgprs: 9
; ScratchSize: 0
; MemoryBound: 0
; FloatMode: 240
; IeeeMode: 1
; LDSByteSize: 2048 bytes/workgroup (compile time only)
; SGPRBlocks: 0
; VGPRBlocks: 0
; NumSGPRsForWavesPerEU: 15
; NumVGPRsForWavesPerEU: 9
; NamedBarCnt: 0
; Occupancy: 16
; WaveLimiterHint : 0
; COMPUTE_PGM_RSRC2:SCRATCH_EN: 0
; COMPUTE_PGM_RSRC2:USER_SGPR: 2
; COMPUTE_PGM_RSRC2:TRAP_HANDLER: 0
; COMPUTE_PGM_RSRC2:TGID_X_EN: 1
; COMPUTE_PGM_RSRC2:TGID_Y_EN: 0
; COMPUTE_PGM_RSRC2:TGID_Z_EN: 0
; COMPUTE_PGM_RSRC2:TIDIG_COMP_CNT: 0
	.section	.text._ZN2at6native12_GLOBAL__N_125multi_tensor_apply_kernelINS1_18TensorListMetadataILi1EEENS0_13LpNormFunctorIN3c104HalfELNS0_8NormTypeE0EdLi1ELi1ELi0EEEJPdiEEEvT_T0_DpT1_,"axG",@progbits,_ZN2at6native12_GLOBAL__N_125multi_tensor_apply_kernelINS1_18TensorListMetadataILi1EEENS0_13LpNormFunctorIN3c104HalfELNS0_8NormTypeE0EdLi1ELi1ELi0EEEJPdiEEEvT_T0_DpT1_,comdat
	.globl	_ZN2at6native12_GLOBAL__N_125multi_tensor_apply_kernelINS1_18TensorListMetadataILi1EEENS0_13LpNormFunctorIN3c104HalfELNS0_8NormTypeE0EdLi1ELi1ELi0EEEJPdiEEEvT_T0_DpT1_ ; -- Begin function _ZN2at6native12_GLOBAL__N_125multi_tensor_apply_kernelINS1_18TensorListMetadataILi1EEENS0_13LpNormFunctorIN3c104HalfELNS0_8NormTypeE0EdLi1ELi1ELi0EEEJPdiEEEvT_T0_DpT1_
	.p2align	8
	.type	_ZN2at6native12_GLOBAL__N_125multi_tensor_apply_kernelINS1_18TensorListMetadataILi1EEENS0_13LpNormFunctorIN3c104HalfELNS0_8NormTypeE0EdLi1ELi1ELi0EEEJPdiEEEvT_T0_DpT1_,@function
_ZN2at6native12_GLOBAL__N_125multi_tensor_apply_kernelINS1_18TensorListMetadataILi1EEENS0_13LpNormFunctorIN3c104HalfELNS0_8NormTypeE0EdLi1ELi1ELi0EEEJPdiEEEvT_T0_DpT1_: ; @_ZN2at6native12_GLOBAL__N_125multi_tensor_apply_kernelINS1_18TensorListMetadataILi1EEENS0_13LpNormFunctorIN3c104HalfELNS0_8NormTypeE0EdLi1ELi1ELi0EEEJPdiEEEvT_T0_DpT1_
; %bb.0:
	s_bfe_u32 s2, ttmp6, 0x4000c
	s_and_b32 s3, ttmp6, 15
	s_add_co_i32 s2, s2, 1
	s_getreg_b32 s4, hwreg(HW_REG_IB_STS2, 6, 4)
	s_mul_i32 s2, ttmp9, s2
	s_delay_alu instid0(SALU_CYCLE_1)
	s_add_co_i32 s3, s3, s2
	s_cmp_eq_u32 s4, 0
	s_cselect_b32 s2, ttmp9, s3
	s_mov_b32 s3, 0
	v_mov_b32_e32 v1, s2
	s_add_nc_u64 s[4:5], s[0:1], s[2:3]
	s_mul_u64 s[6:7], s[2:3], 3
	s_delay_alu instid0(SALU_CYCLE_1) | instskip(SKIP_4) | instid1(SALU_CYCLE_1)
	s_add_nc_u64 s[4:5], s[4:5], s[6:7]
	global_load_u8 v21, v1, s[0:1] offset:1760
	s_load_b32 s4, s[4:5], 0x820
	s_wait_kmcnt 0x0
	s_ashr_i32 s5, s4, 31
	s_lshl_b64 s[10:11], s[4:5], 17
	s_lshl_b64 s[12:13], s[4:5], 16
	s_wait_loadcnt 0x0
	v_readfirstlane_b32 s2, v21
	s_and_b32 s2, s2, 0xff
	s_clause 0x1
	s_load_b64 s[6:7], s[0:1], s2 offset:0x0 scale_offset
	s_load_b64 s[8:9], s[0:1], s2 offset:0x370 scale_offset
	s_wait_kmcnt 0x0
	s_add_nc_u64 s[6:7], s[6:7], s[10:11]
	s_and_b32 s2, s8, 3
	s_and_b64 s[10:11], s[6:7], 7
	s_sub_nc_u64 s[8:9], s[8:9], s[12:13]
	s_or_b64 s[10:11], s[2:3], s[10:11]
	s_delay_alu instid0(SALU_CYCLE_1)
	s_cmp_eq_u64 s[10:11], 0
	s_cbranch_scc1 .LBB84_12
; %bb.1:
	v_cmp_lt_i64_e64 s2, s[8:9], 1
	s_and_b32 vcc_lo, exec_lo, s2
	s_cbranch_vccnz .LBB84_28
; %bb.2:
	s_load_b32 s2, s[0:1], 0xd4c
	v_min_i64 v[18:19], 0x10000, s[8:9]
	s_mov_b32 s11, 0
	s_mov_b64 s[12:13], 0
	s_wait_kmcnt 0x0
	s_and_b32 s2, s2, 0xffff
	s_delay_alu instid0(SALU_CYCLE_1) | instskip(SKIP_3) | instid1(VALU_DEP_3)
	v_dual_mov_b32 v11, 0 :: v_dual_add_nc_u32 v24, s2, v0
	v_mad_u32 v20, s2, 3, v0
	v_lshl_add_u32 v22, s2, 1, v0
	s_lshl_b32 s10, s2, 2
	v_dual_mov_b32 v10, v11 :: v_dual_mov_b32 v12, v11
	v_dual_mov_b32 v13, v11 :: v_dual_mov_b32 v14, v11
	;; [unrolled: 1-line block ×3, first 2 shown]
	v_mov_b32_e32 v17, v11
	s_delay_alu instid0(VALU_DEP_4) | instskip(NEXT) | instid1(VALU_DEP_4)
	v_mov_b64_e32 v[2:3], v[10:11]
	v_mov_b64_e32 v[4:5], v[12:13]
	s_delay_alu instid0(VALU_DEP_4) | instskip(NEXT) | instid1(VALU_DEP_4)
	v_mov_b64_e32 v[6:7], v[14:15]
	v_mov_b64_e32 v[8:9], v[16:17]
	s_branch .LBB84_4
.LBB84_3:                               ;   in Loop: Header=BB84_4 Depth=1
	s_or_b32 exec_lo, exec_lo, s2
	s_add_nc_u64 s[12:13], s[12:13], s[10:11]
	s_delay_alu instid0(SALU_CYCLE_1)
	v_cmp_lt_i64_e32 vcc_lo, s[12:13], v[18:19]
	s_cbranch_vccz .LBB84_13
.LBB84_4:                               ; =>This Inner Loop Header: Depth=1
	v_add_nc_u32_e32 v10, s12, v0
	s_delay_alu instid0(VALU_DEP_1) | instskip(SKIP_2) | instid1(SALU_CYCLE_1)
	v_cmp_gt_i64_e32 vcc_lo, s[8:9], v[10:11]
	v_cmp_gt_u32_e64 s2, 0x10000, v10
	s_and_b32 s5, s2, vcc_lo
	s_and_saveexec_b32 s2, s5
	s_cbranch_execz .LBB84_6
; %bb.5:                                ;   in Loop: Header=BB84_4 Depth=1
	v_lshl_add_u64 v[12:13], v[10:11], 1, s[6:7]
	global_load_u16 v1, v[12:13], off
	s_wait_xcnt 0x0
	v_mov_b32_e32 v12, v11
	s_wait_loadcnt 0x0
	v_cmp_neq_f16_e32 vcc_lo, 0, v1
	v_cndmask_b32_e64 v13, 0, 0x3ff00000, vcc_lo
	s_delay_alu instid0(VALU_DEP_1)
	v_add_f64_e32 v[2:3], v[2:3], v[12:13]
.LBB84_6:                               ;   in Loop: Header=BB84_4 Depth=1
	s_or_b32 exec_lo, exec_lo, s2
	v_add_nc_u32_e32 v10, s12, v24
	s_delay_alu instid0(VALU_DEP_1) | instskip(SKIP_2) | instid1(SALU_CYCLE_1)
	v_cmp_gt_i64_e32 vcc_lo, s[8:9], v[10:11]
	v_cmp_gt_u32_e64 s2, 0x10000, v10
	s_and_b32 s5, s2, vcc_lo
	s_and_saveexec_b32 s2, s5
	s_cbranch_execz .LBB84_8
; %bb.7:                                ;   in Loop: Header=BB84_4 Depth=1
	v_lshl_add_u64 v[12:13], v[10:11], 1, s[6:7]
	global_load_u16 v1, v[12:13], off
	s_wait_xcnt 0x0
	v_mov_b32_e32 v12, v11
	s_wait_loadcnt 0x0
	v_cmp_neq_f16_e32 vcc_lo, 0, v1
	v_cndmask_b32_e64 v13, 0, 0x3ff00000, vcc_lo
	s_delay_alu instid0(VALU_DEP_1)
	v_add_f64_e32 v[4:5], v[4:5], v[12:13]
.LBB84_8:                               ;   in Loop: Header=BB84_4 Depth=1
	s_or_b32 exec_lo, exec_lo, s2
	v_add_nc_u32_e32 v10, s12, v22
	s_delay_alu instid0(VALU_DEP_1) | instskip(SKIP_2) | instid1(SALU_CYCLE_1)
	v_cmp_gt_i64_e32 vcc_lo, s[8:9], v[10:11]
	v_cmp_gt_u32_e64 s2, 0x10000, v10
	s_and_b32 s5, s2, vcc_lo
	s_and_saveexec_b32 s2, s5
	s_cbranch_execz .LBB84_10
; %bb.9:                                ;   in Loop: Header=BB84_4 Depth=1
	v_lshl_add_u64 v[12:13], v[10:11], 1, s[6:7]
	global_load_u16 v1, v[12:13], off
	s_wait_xcnt 0x0
	v_mov_b32_e32 v12, v11
	s_wait_loadcnt 0x0
	v_cmp_neq_f16_e32 vcc_lo, 0, v1
	v_cndmask_b32_e64 v13, 0, 0x3ff00000, vcc_lo
	s_delay_alu instid0(VALU_DEP_1)
	v_add_f64_e32 v[6:7], v[6:7], v[12:13]
.LBB84_10:                              ;   in Loop: Header=BB84_4 Depth=1
	s_or_b32 exec_lo, exec_lo, s2
	v_add_nc_u32_e32 v10, s12, v20
	s_delay_alu instid0(VALU_DEP_1) | instskip(SKIP_2) | instid1(SALU_CYCLE_1)
	v_cmp_gt_i64_e32 vcc_lo, s[8:9], v[10:11]
	v_cmp_gt_u32_e64 s2, 0x10000, v10
	s_and_b32 s5, s2, vcc_lo
	s_and_saveexec_b32 s2, s5
	s_cbranch_execz .LBB84_3
; %bb.11:                               ;   in Loop: Header=BB84_4 Depth=1
	v_lshl_add_u64 v[12:13], v[10:11], 1, s[6:7]
	global_load_u16 v1, v[12:13], off
	s_wait_xcnt 0x0
	v_mov_b32_e32 v12, v11
	s_wait_loadcnt 0x0
	v_cmp_neq_f16_e32 vcc_lo, 0, v1
	v_cndmask_b32_e64 v13, 0, 0x3ff00000, vcc_lo
	s_delay_alu instid0(VALU_DEP_1)
	v_add_f64_e32 v[8:9], v[8:9], v[12:13]
	s_branch .LBB84_3
.LBB84_12:
	s_mov_b32 s3, -1
                                        ; implicit-def: $vgpr2_vgpr3_vgpr4_vgpr5_vgpr6_vgpr7_vgpr8_vgpr9
.LBB84_13:
	s_delay_alu instid0(SALU_CYCLE_1)
	s_and_not1_b32 vcc_lo, exec_lo, s3
	s_cbranch_vccnz .LBB84_19
.LBB84_14:
	v_min_i64 v[12:13], 0x10000, s[8:9]
	v_dual_mov_b32 v2, 0 :: v_dual_lshlrev_b32 v8, 2, v0
	s_mov_b32 s3, 0
	s_delay_alu instid0(VALU_DEP_1) | instskip(SKIP_2) | instid1(VALU_DEP_3)
	v_dual_mov_b32 v9, v2 :: v_dual_mov_b32 v3, v2
	v_dual_mov_b32 v4, v2 :: v_dual_mov_b32 v5, v2
	;; [unrolled: 1-line block ×3, first 2 shown]
	v_cmp_lt_i64_e32 vcc_lo, v[8:9], v[12:13]
	v_mov_b32_e32 v8, v2
	s_and_saveexec_b32 s5, vcc_lo
	s_cbranch_execz .LBB84_18
; %bb.15:
	s_load_b32 s2, s[0:1], 0xd4c
	v_dual_mov_b32 v5, v2 :: v_dual_lshlrev_b32 v4, 3, v0
	v_mov_b32_e32 v1, v2
	v_mov_b64_e32 v[6:7], 0
	v_mov_b64_e32 v[8:9], 0
	v_mov_b64_e32 v[10:11], 0
	v_add_nc_u64_e32 v[14:15], s[6:7], v[4:5]
	v_mov_b64_e32 v[4:5], 0
	v_mov_b64_e32 v[16:17], v[0:1]
	s_mov_b32 s7, s3
	s_mov_b32 s8, s3
	s_delay_alu instid0(VALU_DEP_3) | instskip(SKIP_2) | instid1(SALU_CYCLE_1)
	v_add_nc_u64_e32 v[14:15], 4, v[14:15]
	s_wait_kmcnt 0x0
	s_and_b32 s2, s2, 0xffff
	s_lshl_b32 s6, s2, 3
.LBB84_16:                              ; =>This Inner Loop Header: Depth=1
	global_load_b64 v[18:19], v[14:15], off offset:-4
	v_add_nc_u64_e32 v[16:17], s[2:3], v[16:17]
	s_wait_xcnt 0x0
	v_add_nc_u64_e32 v[14:15], s[6:7], v[14:15]
	s_wait_loadcnt 0x0
	v_cmp_neq_f16_e32 vcc_lo, 0, v18
	v_lshrrev_b32_e32 v1, 16, v18
	v_cndmask_b32_e64 v3, 0, 0x3ff00000, vcc_lo
	s_delay_alu instid0(VALU_DEP_2) | instskip(SKIP_1) | instid1(VALU_DEP_3)
	v_cmp_neq_f16_e32 vcc_lo, 0, v1
	v_lshrrev_b32_e32 v1, 16, v19
	v_add_f64_e32 v[4:5], v[4:5], v[2:3]
	v_cndmask_b32_e64 v3, 0, 0x3ff00000, vcc_lo
	v_cmp_neq_f16_e32 vcc_lo, 0, v19
	v_lshlrev_b64_e32 v[18:19], 2, v[16:17]
	s_delay_alu instid0(VALU_DEP_3) | instskip(SKIP_2) | instid1(VALU_DEP_2)
	v_add_f64_e32 v[6:7], v[6:7], v[2:3]
	v_cndmask_b32_e64 v3, 0, 0x3ff00000, vcc_lo
	v_cmp_neq_f16_e32 vcc_lo, 0, v1
	v_add_f64_e32 v[8:9], v[8:9], v[2:3]
	v_cndmask_b32_e64 v3, 0, 0x3ff00000, vcc_lo
	v_cmp_ge_i64_e32 vcc_lo, v[18:19], v[12:13]
	s_delay_alu instid0(VALU_DEP_2) | instskip(SKIP_1) | instid1(SALU_CYCLE_1)
	v_add_f64_e32 v[10:11], v[10:11], v[2:3]
	s_or_b32 s8, vcc_lo, s8
	s_and_not1_b32 exec_lo, exec_lo, s8
	s_cbranch_execnz .LBB84_16
; %bb.17:
	s_or_b32 exec_lo, exec_lo, s8
	v_mov_b64_e32 v[2:3], v[4:5]
	v_mov_b64_e32 v[4:5], v[6:7]
	;; [unrolled: 1-line block ×3, first 2 shown]
	s_delay_alu instid0(VALU_DEP_4)
	v_mov_b64_e32 v[8:9], v[10:11]
.LBB84_18:
	s_or_b32 exec_lo, exec_lo, s5
.LBB84_19:
	s_delay_alu instid0(VALU_DEP_4) | instskip(SKIP_3) | instid1(VALU_DEP_1)
	v_add_f64_e32 v[2:3], 0, v[2:3]
	s_mov_b32 s2, exec_lo
	s_barrier_signal -1
	s_barrier_wait -1
	v_dual_add_f64 v[2:3], v[4:5], v[2:3] :: v_dual_bitop2_b32 v10, 31, v0 bitop3:0x40
	s_delay_alu instid0(VALU_DEP_1) | instskip(NEXT) | instid1(VALU_DEP_1)
	v_add_f64_e32 v[2:3], v[6:7], v[2:3]
	v_add_f64_e32 v[2:3], v[8:9], v[2:3]
	v_mbcnt_lo_u32_b32 v9, -1, 0
	s_delay_alu instid0(VALU_DEP_1)
	v_lshl_or_b32 v1, v9, 2, 64
	v_cmp_gt_u32_e32 vcc_lo, 24, v9
	ds_bpermute_b32 v4, v1, v2
	ds_bpermute_b32 v5, v1, v3
	s_wait_dscnt 0x0
	v_add_f64_e32 v[2:3], v[2:3], v[4:5]
	v_cndmask_b32_e64 v4, 0, 8, vcc_lo
	v_cmp_gt_u32_e32 vcc_lo, 28, v9
	s_delay_alu instid0(VALU_DEP_2)
	v_add_lshl_u32 v6, v4, v9, 2
	ds_bpermute_b32 v4, v6, v2
	ds_bpermute_b32 v5, v6, v3
	s_wait_dscnt 0x0
	v_add_f64_e32 v[2:3], v[2:3], v[4:5]
	v_cndmask_b32_e64 v4, 0, 4, vcc_lo
	v_cmp_gt_u32_e32 vcc_lo, 30, v9
	s_delay_alu instid0(VALU_DEP_2)
	v_add_lshl_u32 v7, v4, v9, 2
	ds_bpermute_b32 v4, v7, v2
	ds_bpermute_b32 v5, v7, v3
	s_wait_dscnt 0x0
	v_add_f64_e32 v[2:3], v[2:3], v[4:5]
	v_cndmask_b32_e64 v4, 0, 2, vcc_lo
	v_cmp_ne_u32_e32 vcc_lo, 31, v9
	s_delay_alu instid0(VALU_DEP_2)
	v_add_lshl_u32 v8, v4, v9, 2
	ds_bpermute_b32 v4, v8, v2
	ds_bpermute_b32 v5, v8, v3
	s_wait_dscnt 0x0
	v_add_f64_e32 v[2:3], v[2:3], v[4:5]
	v_add_co_ci_u32_e64 v4, null, 0, v9, vcc_lo
	s_delay_alu instid0(VALU_DEP_1)
	v_lshlrev_b32_e32 v9, 2, v4
	ds_bpermute_b32 v4, v9, v2
	ds_bpermute_b32 v5, v9, v3
	v_cmpx_eq_u32_e32 0, v10
	s_cbranch_execz .LBB84_21
; %bb.20:
	s_wait_dscnt 0x0
	v_add_f64_e32 v[2:3], v[2:3], v[4:5]
	v_lshrrev_b32_e32 v4, 2, v0
	ds_store_b64 v4, v[2:3]
.LBB84_21:
	s_or_b32 exec_lo, exec_lo, s2
	s_wait_dscnt 0x0
	s_barrier_signal -1
	s_barrier_wait -1
	s_load_b32 s2, s[0:1], 0xd4c
	v_mov_b64_e32 v[2:3], 0
	s_wait_kmcnt 0x0
	s_bfe_u32 s2, s2, 0xb0005
	s_delay_alu instid0(SALU_CYCLE_1)
	v_cmp_gt_u32_e32 vcc_lo, s2, v0
	s_and_saveexec_b32 s2, vcc_lo
; %bb.22:
	v_lshlrev_b32_e32 v2, 3, v10
	ds_load_b64 v[2:3], v2
; %bb.23:
	s_or_b32 exec_lo, exec_lo, s2
	s_delay_alu instid0(SALU_CYCLE_1)
	s_mov_b32 s2, exec_lo
	v_cmpx_gt_u32_e32 32, v0
	s_cbranch_execz .LBB84_25
; %bb.24:
	s_wait_dscnt 0x0
	ds_bpermute_b32 v4, v1, v2
	ds_bpermute_b32 v5, v1, v3
	s_wait_dscnt 0x0
	v_add_f64_e32 v[2:3], v[2:3], v[4:5]
	ds_bpermute_b32 v4, v6, v2
	ds_bpermute_b32 v5, v6, v3
	s_wait_dscnt 0x0
	v_add_f64_e32 v[2:3], v[2:3], v[4:5]
	;; [unrolled: 4-line block ×5, first 2 shown]
.LBB84_25:
	s_or_b32 exec_lo, exec_lo, s2
	s_delay_alu instid0(SALU_CYCLE_1)
	s_mov_b32 s2, exec_lo
	v_cmpx_eq_u32_e32 0, v0
	s_cbranch_execz .LBB84_27
; %bb.26:
	s_clause 0x1
	s_load_b32 s2, s[0:1], 0xd20
	s_load_b96 s[8:10], s[0:1], 0xd30
	v_and_b32_e32 v0, 0xff, v21
	s_wait_kmcnt 0x0
	s_delay_alu instid0(VALU_DEP_1) | instskip(NEXT) | instid1(VALU_DEP_1)
	v_add_nc_u32_e32 v0, s2, v0
	v_mul_lo_u32 v0, v0, s10
	s_delay_alu instid0(VALU_DEP_1)
	v_add_nc_u32_e32 v0, s4, v0
	s_wait_dscnt 0x0
	global_store_b64 v0, v[2:3], s[8:9] scale_offset
.LBB84_27:
	s_endpgm
.LBB84_28:
	v_mov_b32_e32 v2, 0
	s_delay_alu instid0(VALU_DEP_1)
	v_dual_mov_b32 v3, v2 :: v_dual_mov_b32 v4, v2
	v_dual_mov_b32 v5, v2 :: v_dual_mov_b32 v6, v2
	;; [unrolled: 1-line block ×3, first 2 shown]
	v_mov_b32_e32 v9, v2
	s_and_not1_b32 vcc_lo, exec_lo, s3
	s_cbranch_vccz .LBB84_14
	s_branch .LBB84_19
	.section	.rodata,"a",@progbits
	.p2align	6, 0x0
	.amdhsa_kernel _ZN2at6native12_GLOBAL__N_125multi_tensor_apply_kernelINS1_18TensorListMetadataILi1EEENS0_13LpNormFunctorIN3c104HalfELNS0_8NormTypeE0EdLi1ELi1ELi0EEEJPdiEEEvT_T0_DpT1_
		.amdhsa_group_segment_fixed_size 4096
		.amdhsa_private_segment_fixed_size 0
		.amdhsa_kernarg_size 3648
		.amdhsa_user_sgpr_count 2
		.amdhsa_user_sgpr_dispatch_ptr 0
		.amdhsa_user_sgpr_queue_ptr 0
		.amdhsa_user_sgpr_kernarg_segment_ptr 1
		.amdhsa_user_sgpr_dispatch_id 0
		.amdhsa_user_sgpr_kernarg_preload_length 0
		.amdhsa_user_sgpr_kernarg_preload_offset 0
		.amdhsa_user_sgpr_private_segment_size 0
		.amdhsa_wavefront_size32 1
		.amdhsa_uses_dynamic_stack 0
		.amdhsa_enable_private_segment 0
		.amdhsa_system_sgpr_workgroup_id_x 1
		.amdhsa_system_sgpr_workgroup_id_y 0
		.amdhsa_system_sgpr_workgroup_id_z 0
		.amdhsa_system_sgpr_workgroup_info 0
		.amdhsa_system_vgpr_workitem_id 0
		.amdhsa_next_free_vgpr 25
		.amdhsa_next_free_sgpr 14
		.amdhsa_named_barrier_count 0
		.amdhsa_reserve_vcc 1
		.amdhsa_float_round_mode_32 0
		.amdhsa_float_round_mode_16_64 0
		.amdhsa_float_denorm_mode_32 3
		.amdhsa_float_denorm_mode_16_64 3
		.amdhsa_fp16_overflow 0
		.amdhsa_memory_ordered 1
		.amdhsa_forward_progress 1
		.amdhsa_inst_pref_size 14
		.amdhsa_round_robin_scheduling 0
		.amdhsa_exception_fp_ieee_invalid_op 0
		.amdhsa_exception_fp_denorm_src 0
		.amdhsa_exception_fp_ieee_div_zero 0
		.amdhsa_exception_fp_ieee_overflow 0
		.amdhsa_exception_fp_ieee_underflow 0
		.amdhsa_exception_fp_ieee_inexact 0
		.amdhsa_exception_int_div_zero 0
	.end_amdhsa_kernel
	.section	.text._ZN2at6native12_GLOBAL__N_125multi_tensor_apply_kernelINS1_18TensorListMetadataILi1EEENS0_13LpNormFunctorIN3c104HalfELNS0_8NormTypeE0EdLi1ELi1ELi0EEEJPdiEEEvT_T0_DpT1_,"axG",@progbits,_ZN2at6native12_GLOBAL__N_125multi_tensor_apply_kernelINS1_18TensorListMetadataILi1EEENS0_13LpNormFunctorIN3c104HalfELNS0_8NormTypeE0EdLi1ELi1ELi0EEEJPdiEEEvT_T0_DpT1_,comdat
.Lfunc_end84:
	.size	_ZN2at6native12_GLOBAL__N_125multi_tensor_apply_kernelINS1_18TensorListMetadataILi1EEENS0_13LpNormFunctorIN3c104HalfELNS0_8NormTypeE0EdLi1ELi1ELi0EEEJPdiEEEvT_T0_DpT1_, .Lfunc_end84-_ZN2at6native12_GLOBAL__N_125multi_tensor_apply_kernelINS1_18TensorListMetadataILi1EEENS0_13LpNormFunctorIN3c104HalfELNS0_8NormTypeE0EdLi1ELi1ELi0EEEJPdiEEEvT_T0_DpT1_
                                        ; -- End function
	.set _ZN2at6native12_GLOBAL__N_125multi_tensor_apply_kernelINS1_18TensorListMetadataILi1EEENS0_13LpNormFunctorIN3c104HalfELNS0_8NormTypeE0EdLi1ELi1ELi0EEEJPdiEEEvT_T0_DpT1_.num_vgpr, 25
	.set _ZN2at6native12_GLOBAL__N_125multi_tensor_apply_kernelINS1_18TensorListMetadataILi1EEENS0_13LpNormFunctorIN3c104HalfELNS0_8NormTypeE0EdLi1ELi1ELi0EEEJPdiEEEvT_T0_DpT1_.num_agpr, 0
	.set _ZN2at6native12_GLOBAL__N_125multi_tensor_apply_kernelINS1_18TensorListMetadataILi1EEENS0_13LpNormFunctorIN3c104HalfELNS0_8NormTypeE0EdLi1ELi1ELi0EEEJPdiEEEvT_T0_DpT1_.numbered_sgpr, 14
	.set _ZN2at6native12_GLOBAL__N_125multi_tensor_apply_kernelINS1_18TensorListMetadataILi1EEENS0_13LpNormFunctorIN3c104HalfELNS0_8NormTypeE0EdLi1ELi1ELi0EEEJPdiEEEvT_T0_DpT1_.num_named_barrier, 0
	.set _ZN2at6native12_GLOBAL__N_125multi_tensor_apply_kernelINS1_18TensorListMetadataILi1EEENS0_13LpNormFunctorIN3c104HalfELNS0_8NormTypeE0EdLi1ELi1ELi0EEEJPdiEEEvT_T0_DpT1_.private_seg_size, 0
	.set _ZN2at6native12_GLOBAL__N_125multi_tensor_apply_kernelINS1_18TensorListMetadataILi1EEENS0_13LpNormFunctorIN3c104HalfELNS0_8NormTypeE0EdLi1ELi1ELi0EEEJPdiEEEvT_T0_DpT1_.uses_vcc, 1
	.set _ZN2at6native12_GLOBAL__N_125multi_tensor_apply_kernelINS1_18TensorListMetadataILi1EEENS0_13LpNormFunctorIN3c104HalfELNS0_8NormTypeE0EdLi1ELi1ELi0EEEJPdiEEEvT_T0_DpT1_.uses_flat_scratch, 0
	.set _ZN2at6native12_GLOBAL__N_125multi_tensor_apply_kernelINS1_18TensorListMetadataILi1EEENS0_13LpNormFunctorIN3c104HalfELNS0_8NormTypeE0EdLi1ELi1ELi0EEEJPdiEEEvT_T0_DpT1_.has_dyn_sized_stack, 0
	.set _ZN2at6native12_GLOBAL__N_125multi_tensor_apply_kernelINS1_18TensorListMetadataILi1EEENS0_13LpNormFunctorIN3c104HalfELNS0_8NormTypeE0EdLi1ELi1ELi0EEEJPdiEEEvT_T0_DpT1_.has_recursion, 0
	.set _ZN2at6native12_GLOBAL__N_125multi_tensor_apply_kernelINS1_18TensorListMetadataILi1EEENS0_13LpNormFunctorIN3c104HalfELNS0_8NormTypeE0EdLi1ELi1ELi0EEEJPdiEEEvT_T0_DpT1_.has_indirect_call, 0
	.section	.AMDGPU.csdata,"",@progbits
; Kernel info:
; codeLenInByte = 1716
; TotalNumSgprs: 16
; NumVgprs: 25
; ScratchSize: 0
; MemoryBound: 0
; FloatMode: 240
; IeeeMode: 1
; LDSByteSize: 4096 bytes/workgroup (compile time only)
; SGPRBlocks: 0
; VGPRBlocks: 1
; NumSGPRsForWavesPerEU: 16
; NumVGPRsForWavesPerEU: 25
; NamedBarCnt: 0
; Occupancy: 16
; WaveLimiterHint : 0
; COMPUTE_PGM_RSRC2:SCRATCH_EN: 0
; COMPUTE_PGM_RSRC2:USER_SGPR: 2
; COMPUTE_PGM_RSRC2:TRAP_HANDLER: 0
; COMPUTE_PGM_RSRC2:TGID_X_EN: 1
; COMPUTE_PGM_RSRC2:TGID_Y_EN: 0
; COMPUTE_PGM_RSRC2:TGID_Z_EN: 0
; COMPUTE_PGM_RSRC2:TIDIG_COMP_CNT: 0
	.section	.text._ZN2at6native12_GLOBAL__N_125multi_tensor_apply_kernelINS1_18TensorListMetadataILi1EEENS0_13LpNormFunctorIN3c104HalfELNS0_8NormTypeE1EdLi1ELi1ELi0EEEJPdiEEEvT_T0_DpT1_,"axG",@progbits,_ZN2at6native12_GLOBAL__N_125multi_tensor_apply_kernelINS1_18TensorListMetadataILi1EEENS0_13LpNormFunctorIN3c104HalfELNS0_8NormTypeE1EdLi1ELi1ELi0EEEJPdiEEEvT_T0_DpT1_,comdat
	.globl	_ZN2at6native12_GLOBAL__N_125multi_tensor_apply_kernelINS1_18TensorListMetadataILi1EEENS0_13LpNormFunctorIN3c104HalfELNS0_8NormTypeE1EdLi1ELi1ELi0EEEJPdiEEEvT_T0_DpT1_ ; -- Begin function _ZN2at6native12_GLOBAL__N_125multi_tensor_apply_kernelINS1_18TensorListMetadataILi1EEENS0_13LpNormFunctorIN3c104HalfELNS0_8NormTypeE1EdLi1ELi1ELi0EEEJPdiEEEvT_T0_DpT1_
	.p2align	8
	.type	_ZN2at6native12_GLOBAL__N_125multi_tensor_apply_kernelINS1_18TensorListMetadataILi1EEENS0_13LpNormFunctorIN3c104HalfELNS0_8NormTypeE1EdLi1ELi1ELi0EEEJPdiEEEvT_T0_DpT1_,@function
_ZN2at6native12_GLOBAL__N_125multi_tensor_apply_kernelINS1_18TensorListMetadataILi1EEENS0_13LpNormFunctorIN3c104HalfELNS0_8NormTypeE1EdLi1ELi1ELi0EEEJPdiEEEvT_T0_DpT1_: ; @_ZN2at6native12_GLOBAL__N_125multi_tensor_apply_kernelINS1_18TensorListMetadataILi1EEENS0_13LpNormFunctorIN3c104HalfELNS0_8NormTypeE1EdLi1ELi1ELi0EEEJPdiEEEvT_T0_DpT1_
; %bb.0:
	s_bfe_u32 s2, ttmp6, 0x4000c
	s_and_b32 s3, ttmp6, 15
	s_add_co_i32 s2, s2, 1
	s_getreg_b32 s4, hwreg(HW_REG_IB_STS2, 6, 4)
	s_mul_i32 s2, ttmp9, s2
	s_delay_alu instid0(SALU_CYCLE_1)
	s_add_co_i32 s3, s3, s2
	s_cmp_eq_u32 s4, 0
	s_cselect_b32 s2, ttmp9, s3
	s_mov_b32 s3, 0
	v_mov_b32_e32 v1, s2
	s_add_nc_u64 s[4:5], s[0:1], s[2:3]
	s_mul_u64 s[6:7], s[2:3], 3
	s_delay_alu instid0(SALU_CYCLE_1) | instskip(SKIP_4) | instid1(SALU_CYCLE_1)
	s_add_nc_u64 s[4:5], s[4:5], s[6:7]
	global_load_u8 v21, v1, s[0:1] offset:1760
	s_load_b32 s4, s[4:5], 0x820
	s_wait_kmcnt 0x0
	s_ashr_i32 s5, s4, 31
	s_lshl_b64 s[10:11], s[4:5], 17
	s_lshl_b64 s[12:13], s[4:5], 16
	s_wait_loadcnt 0x0
	v_readfirstlane_b32 s2, v21
	s_and_b32 s2, s2, 0xff
	s_clause 0x1
	s_load_b64 s[6:7], s[0:1], s2 offset:0x0 scale_offset
	s_load_b64 s[8:9], s[0:1], s2 offset:0x370 scale_offset
	s_wait_kmcnt 0x0
	s_add_nc_u64 s[6:7], s[6:7], s[10:11]
	s_and_b32 s2, s8, 3
	s_and_b64 s[10:11], s[6:7], 7
	s_sub_nc_u64 s[8:9], s[8:9], s[12:13]
	s_or_b64 s[10:11], s[2:3], s[10:11]
	s_delay_alu instid0(SALU_CYCLE_1)
	s_cmp_eq_u64 s[10:11], 0
	s_cbranch_scc1 .LBB85_12
; %bb.1:
	v_cmp_lt_i64_e64 s2, s[8:9], 1
	s_and_b32 vcc_lo, exec_lo, s2
	s_cbranch_vccnz .LBB85_28
; %bb.2:
	s_load_b32 s2, s[0:1], 0xd4c
	v_min_i64 v[18:19], 0x10000, s[8:9]
	s_mov_b32 s11, 0
	s_mov_b64 s[12:13], 0
	s_wait_kmcnt 0x0
	s_and_b32 s2, s2, 0xffff
	s_delay_alu instid0(SALU_CYCLE_1) | instskip(SKIP_3) | instid1(VALU_DEP_3)
	v_dual_mov_b32 v11, 0 :: v_dual_add_nc_u32 v24, s2, v0
	v_mad_u32 v20, s2, 3, v0
	v_lshl_add_u32 v22, s2, 1, v0
	s_lshl_b32 s10, s2, 2
	v_dual_mov_b32 v10, v11 :: v_dual_mov_b32 v12, v11
	v_dual_mov_b32 v13, v11 :: v_dual_mov_b32 v14, v11
	v_dual_mov_b32 v15, v11 :: v_dual_mov_b32 v16, v11
	v_mov_b32_e32 v17, v11
	s_delay_alu instid0(VALU_DEP_4) | instskip(NEXT) | instid1(VALU_DEP_4)
	v_mov_b64_e32 v[2:3], v[10:11]
	v_mov_b64_e32 v[4:5], v[12:13]
	s_delay_alu instid0(VALU_DEP_4) | instskip(NEXT) | instid1(VALU_DEP_4)
	v_mov_b64_e32 v[6:7], v[14:15]
	v_mov_b64_e32 v[8:9], v[16:17]
	s_branch .LBB85_4
.LBB85_3:                               ;   in Loop: Header=BB85_4 Depth=1
	s_or_b32 exec_lo, exec_lo, s2
	s_add_nc_u64 s[12:13], s[12:13], s[10:11]
	s_delay_alu instid0(SALU_CYCLE_1)
	v_cmp_lt_i64_e32 vcc_lo, s[12:13], v[18:19]
	s_cbranch_vccz .LBB85_13
.LBB85_4:                               ; =>This Inner Loop Header: Depth=1
	v_add_nc_u32_e32 v10, s12, v0
	s_delay_alu instid0(VALU_DEP_1) | instskip(SKIP_2) | instid1(SALU_CYCLE_1)
	v_cmp_gt_i64_e32 vcc_lo, s[8:9], v[10:11]
	v_cmp_gt_u32_e64 s2, 0x10000, v10
	s_and_b32 s5, s2, vcc_lo
	s_and_saveexec_b32 s2, s5
	s_cbranch_execz .LBB85_6
; %bb.5:                                ;   in Loop: Header=BB85_4 Depth=1
	v_lshl_add_u64 v[12:13], v[10:11], 1, s[6:7]
	global_load_u16 v1, v[12:13], off
	s_wait_loadcnt 0x0
	v_and_b32_e32 v1, 0x7fff, v1
	s_delay_alu instid0(VALU_DEP_1) | instskip(NEXT) | instid1(VALU_DEP_1)
	v_cvt_f32_f16_e32 v1, v1
	v_cvt_f64_f32_e32 v[12:13], v1
	s_delay_alu instid0(VALU_DEP_1)
	v_add_f64_e32 v[2:3], v[2:3], v[12:13]
.LBB85_6:                               ;   in Loop: Header=BB85_4 Depth=1
	s_or_b32 exec_lo, exec_lo, s2
	v_add_nc_u32_e32 v10, s12, v24
	s_delay_alu instid0(VALU_DEP_1) | instskip(SKIP_2) | instid1(SALU_CYCLE_1)
	v_cmp_gt_i64_e32 vcc_lo, s[8:9], v[10:11]
	v_cmp_gt_u32_e64 s2, 0x10000, v10
	s_and_b32 s5, s2, vcc_lo
	s_and_saveexec_b32 s2, s5
	s_cbranch_execz .LBB85_8
; %bb.7:                                ;   in Loop: Header=BB85_4 Depth=1
	v_lshl_add_u64 v[12:13], v[10:11], 1, s[6:7]
	global_load_u16 v1, v[12:13], off
	s_wait_loadcnt 0x0
	v_and_b32_e32 v1, 0x7fff, v1
	s_delay_alu instid0(VALU_DEP_1) | instskip(NEXT) | instid1(VALU_DEP_1)
	v_cvt_f32_f16_e32 v1, v1
	v_cvt_f64_f32_e32 v[12:13], v1
	s_delay_alu instid0(VALU_DEP_1)
	v_add_f64_e32 v[4:5], v[4:5], v[12:13]
.LBB85_8:                               ;   in Loop: Header=BB85_4 Depth=1
	s_or_b32 exec_lo, exec_lo, s2
	v_add_nc_u32_e32 v10, s12, v22
	s_delay_alu instid0(VALU_DEP_1) | instskip(SKIP_2) | instid1(SALU_CYCLE_1)
	v_cmp_gt_i64_e32 vcc_lo, s[8:9], v[10:11]
	v_cmp_gt_u32_e64 s2, 0x10000, v10
	s_and_b32 s5, s2, vcc_lo
	s_and_saveexec_b32 s2, s5
	s_cbranch_execz .LBB85_10
; %bb.9:                                ;   in Loop: Header=BB85_4 Depth=1
	v_lshl_add_u64 v[12:13], v[10:11], 1, s[6:7]
	global_load_u16 v1, v[12:13], off
	s_wait_loadcnt 0x0
	v_and_b32_e32 v1, 0x7fff, v1
	s_delay_alu instid0(VALU_DEP_1) | instskip(NEXT) | instid1(VALU_DEP_1)
	v_cvt_f32_f16_e32 v1, v1
	v_cvt_f64_f32_e32 v[12:13], v1
	s_delay_alu instid0(VALU_DEP_1)
	v_add_f64_e32 v[6:7], v[6:7], v[12:13]
.LBB85_10:                              ;   in Loop: Header=BB85_4 Depth=1
	s_or_b32 exec_lo, exec_lo, s2
	v_add_nc_u32_e32 v10, s12, v20
	s_delay_alu instid0(VALU_DEP_1) | instskip(SKIP_2) | instid1(SALU_CYCLE_1)
	v_cmp_gt_i64_e32 vcc_lo, s[8:9], v[10:11]
	v_cmp_gt_u32_e64 s2, 0x10000, v10
	s_and_b32 s5, s2, vcc_lo
	s_and_saveexec_b32 s2, s5
	s_cbranch_execz .LBB85_3
; %bb.11:                               ;   in Loop: Header=BB85_4 Depth=1
	v_lshl_add_u64 v[12:13], v[10:11], 1, s[6:7]
	global_load_u16 v1, v[12:13], off
	s_wait_loadcnt 0x0
	v_and_b32_e32 v1, 0x7fff, v1
	s_delay_alu instid0(VALU_DEP_1) | instskip(NEXT) | instid1(VALU_DEP_1)
	v_cvt_f32_f16_e32 v1, v1
	v_cvt_f64_f32_e32 v[12:13], v1
	s_delay_alu instid0(VALU_DEP_1)
	v_add_f64_e32 v[8:9], v[8:9], v[12:13]
	s_branch .LBB85_3
.LBB85_12:
	s_mov_b32 s3, -1
                                        ; implicit-def: $vgpr2_vgpr3_vgpr4_vgpr5_vgpr6_vgpr7_vgpr8_vgpr9
.LBB85_13:
	s_delay_alu instid0(SALU_CYCLE_1)
	s_and_not1_b32 vcc_lo, exec_lo, s3
	s_cbranch_vccnz .LBB85_19
.LBB85_14:
	v_min_i64 v[10:11], 0x10000, s[8:9]
	v_dual_mov_b32 v3, 0 :: v_dual_lshlrev_b32 v2, 2, v0
	s_mov_b32 s3, 0
	s_delay_alu instid0(VALU_DEP_1)
	v_dual_mov_b32 v4, v3 :: v_dual_mov_b32 v5, v3
	v_dual_mov_b32 v6, v3 :: v_dual_mov_b32 v7, v3
	;; [unrolled: 1-line block ×3, first 2 shown]
	v_cmp_lt_i64_e32 vcc_lo, v[2:3], v[10:11]
	v_mov_b32_e32 v2, v3
	s_and_saveexec_b32 s5, vcc_lo
	s_cbranch_execz .LBB85_18
; %bb.15:
	s_load_b32 s2, s[0:1], 0xd4c
	v_dual_mov_b32 v1, v3 :: v_dual_lshlrev_b32 v2, 3, v0
	v_mov_b64_e32 v[4:5], 0
	v_mov_b64_e32 v[6:7], 0
	;; [unrolled: 1-line block ×3, first 2 shown]
	s_delay_alu instid0(VALU_DEP_4) | instskip(SKIP_4) | instid1(VALU_DEP_3)
	v_add_nc_u64_e32 v[12:13], s[6:7], v[2:3]
	v_mov_b64_e32 v[2:3], 0
	v_mov_b64_e32 v[14:15], v[0:1]
	s_mov_b32 s7, s3
	s_mov_b32 s8, s3
	v_add_nc_u64_e32 v[12:13], 4, v[12:13]
	s_wait_kmcnt 0x0
	s_and_b32 s2, s2, 0xffff
	s_delay_alu instid0(SALU_CYCLE_1)
	s_lshl_b32 s6, s2, 3
.LBB85_16:                              ; =>This Inner Loop Header: Depth=1
	global_load_b64 v[16:17], v[12:13], off offset:-4
	v_add_nc_u64_e32 v[14:15], s[2:3], v[14:15]
	s_wait_xcnt 0x0
	v_add_nc_u64_e32 v[12:13], s[6:7], v[12:13]
	s_wait_loadcnt 0x0
	v_dual_lshrrev_b32 v1, 16, v16 :: v_dual_lshrrev_b32 v18, 16, v17
	v_and_b32_e32 v16, 0x7fff, v16
	v_and_b32_e32 v17, 0x7fff, v17
	s_delay_alu instid0(VALU_DEP_3) | instskip(NEXT) | instid1(VALU_DEP_4)
	v_and_b32_e32 v1, 0x7fff, v1
	v_and_b32_e32 v18, 0x7fff, v18
	s_delay_alu instid0(VALU_DEP_4) | instskip(NEXT) | instid1(VALU_DEP_4)
	v_cvt_f32_f16_e32 v16, v16
	v_cvt_f32_f16_e32 v19, v17
	s_delay_alu instid0(VALU_DEP_4) | instskip(NEXT) | instid1(VALU_DEP_4)
	v_cvt_f32_f16_e32 v1, v1
	v_cvt_f32_f16_e32 v20, v18
	s_delay_alu instid0(VALU_DEP_4) | instskip(NEXT) | instid1(VALU_DEP_4)
	v_cvt_f64_f32_e32 v[16:17], v16
	v_cvt_f64_f32_e32 v[18:19], v19
	s_delay_alu instid0(VALU_DEP_4) | instskip(NEXT) | instid1(VALU_DEP_4)
	v_cvt_f64_f32_e32 v[22:23], v1
	v_cvt_f64_f32_e32 v[24:25], v20
	s_delay_alu instid0(VALU_DEP_4) | instskip(NEXT) | instid1(VALU_DEP_4)
	v_add_f64_e32 v[2:3], v[2:3], v[16:17]
	v_add_f64_e32 v[6:7], v[6:7], v[18:19]
	v_lshlrev_b64_e32 v[16:17], 2, v[14:15]
	v_add_f64_e32 v[4:5], v[4:5], v[22:23]
	v_add_f64_e32 v[8:9], v[8:9], v[24:25]
	s_delay_alu instid0(VALU_DEP_3) | instskip(SKIP_1) | instid1(SALU_CYCLE_1)
	v_cmp_ge_i64_e32 vcc_lo, v[16:17], v[10:11]
	s_or_b32 s8, vcc_lo, s8
	s_and_not1_b32 exec_lo, exec_lo, s8
	s_cbranch_execnz .LBB85_16
; %bb.17:
	s_or_b32 exec_lo, exec_lo, s8
.LBB85_18:
	s_delay_alu instid0(SALU_CYCLE_1)
	s_or_b32 exec_lo, exec_lo, s5
.LBB85_19:
	s_delay_alu instid0(VALU_DEP_1) | instskip(SKIP_3) | instid1(VALU_DEP_1)
	v_add_f64_e32 v[2:3], 0, v[2:3]
	s_mov_b32 s2, exec_lo
	s_barrier_signal -1
	s_barrier_wait -1
	v_dual_add_f64 v[2:3], v[4:5], v[2:3] :: v_dual_bitop2_b32 v10, 31, v0 bitop3:0x40
	s_delay_alu instid0(VALU_DEP_1) | instskip(NEXT) | instid1(VALU_DEP_1)
	v_add_f64_e32 v[2:3], v[6:7], v[2:3]
	v_add_f64_e32 v[2:3], v[8:9], v[2:3]
	v_mbcnt_lo_u32_b32 v9, -1, 0
	s_delay_alu instid0(VALU_DEP_1)
	v_lshl_or_b32 v1, v9, 2, 64
	v_cmp_gt_u32_e32 vcc_lo, 24, v9
	ds_bpermute_b32 v4, v1, v2
	ds_bpermute_b32 v5, v1, v3
	s_wait_dscnt 0x0
	v_add_f64_e32 v[2:3], v[2:3], v[4:5]
	v_cndmask_b32_e64 v4, 0, 8, vcc_lo
	v_cmp_gt_u32_e32 vcc_lo, 28, v9
	s_delay_alu instid0(VALU_DEP_2)
	v_add_lshl_u32 v6, v4, v9, 2
	ds_bpermute_b32 v4, v6, v2
	ds_bpermute_b32 v5, v6, v3
	s_wait_dscnt 0x0
	v_add_f64_e32 v[2:3], v[2:3], v[4:5]
	v_cndmask_b32_e64 v4, 0, 4, vcc_lo
	v_cmp_gt_u32_e32 vcc_lo, 30, v9
	s_delay_alu instid0(VALU_DEP_2)
	v_add_lshl_u32 v7, v4, v9, 2
	ds_bpermute_b32 v4, v7, v2
	ds_bpermute_b32 v5, v7, v3
	s_wait_dscnt 0x0
	v_add_f64_e32 v[2:3], v[2:3], v[4:5]
	v_cndmask_b32_e64 v4, 0, 2, vcc_lo
	v_cmp_ne_u32_e32 vcc_lo, 31, v9
	s_delay_alu instid0(VALU_DEP_2)
	v_add_lshl_u32 v8, v4, v9, 2
	ds_bpermute_b32 v4, v8, v2
	ds_bpermute_b32 v5, v8, v3
	s_wait_dscnt 0x0
	v_add_f64_e32 v[2:3], v[2:3], v[4:5]
	v_add_co_ci_u32_e64 v4, null, 0, v9, vcc_lo
	s_delay_alu instid0(VALU_DEP_1)
	v_lshlrev_b32_e32 v9, 2, v4
	ds_bpermute_b32 v4, v9, v2
	ds_bpermute_b32 v5, v9, v3
	v_cmpx_eq_u32_e32 0, v10
	s_cbranch_execz .LBB85_21
; %bb.20:
	s_wait_dscnt 0x0
	v_add_f64_e32 v[2:3], v[2:3], v[4:5]
	v_lshrrev_b32_e32 v4, 2, v0
	ds_store_b64 v4, v[2:3]
.LBB85_21:
	s_or_b32 exec_lo, exec_lo, s2
	s_wait_dscnt 0x0
	s_barrier_signal -1
	s_barrier_wait -1
	s_load_b32 s2, s[0:1], 0xd4c
	v_mov_b64_e32 v[2:3], 0
	s_wait_kmcnt 0x0
	s_bfe_u32 s2, s2, 0xb0005
	s_delay_alu instid0(SALU_CYCLE_1)
	v_cmp_gt_u32_e32 vcc_lo, s2, v0
	s_and_saveexec_b32 s2, vcc_lo
; %bb.22:
	v_lshlrev_b32_e32 v2, 3, v10
	ds_load_b64 v[2:3], v2
; %bb.23:
	s_or_b32 exec_lo, exec_lo, s2
	s_delay_alu instid0(SALU_CYCLE_1)
	s_mov_b32 s2, exec_lo
	v_cmpx_gt_u32_e32 32, v0
	s_cbranch_execz .LBB85_25
; %bb.24:
	s_wait_dscnt 0x0
	ds_bpermute_b32 v4, v1, v2
	ds_bpermute_b32 v5, v1, v3
	s_wait_dscnt 0x0
	v_add_f64_e32 v[2:3], v[2:3], v[4:5]
	ds_bpermute_b32 v4, v6, v2
	ds_bpermute_b32 v5, v6, v3
	s_wait_dscnt 0x0
	v_add_f64_e32 v[2:3], v[2:3], v[4:5]
	;; [unrolled: 4-line block ×5, first 2 shown]
.LBB85_25:
	s_or_b32 exec_lo, exec_lo, s2
	s_delay_alu instid0(SALU_CYCLE_1)
	s_mov_b32 s2, exec_lo
	v_cmpx_eq_u32_e32 0, v0
	s_cbranch_execz .LBB85_27
; %bb.26:
	s_clause 0x1
	s_load_b32 s2, s[0:1], 0xd20
	s_load_b96 s[8:10], s[0:1], 0xd30
	v_and_b32_e32 v0, 0xff, v21
	s_wait_kmcnt 0x0
	s_delay_alu instid0(VALU_DEP_1) | instskip(NEXT) | instid1(VALU_DEP_1)
	v_add_nc_u32_e32 v0, s2, v0
	v_mul_lo_u32 v0, v0, s10
	s_delay_alu instid0(VALU_DEP_1)
	v_add_nc_u32_e32 v0, s4, v0
	s_wait_dscnt 0x0
	global_store_b64 v0, v[2:3], s[8:9] scale_offset
.LBB85_27:
	s_endpgm
.LBB85_28:
	v_mov_b32_e32 v2, 0
	s_delay_alu instid0(VALU_DEP_1)
	v_dual_mov_b32 v3, v2 :: v_dual_mov_b32 v4, v2
	v_dual_mov_b32 v5, v2 :: v_dual_mov_b32 v6, v2
	;; [unrolled: 1-line block ×3, first 2 shown]
	v_mov_b32_e32 v9, v2
	s_and_not1_b32 vcc_lo, exec_lo, s3
	s_cbranch_vccz .LBB85_14
	s_branch .LBB85_19
	.section	.rodata,"a",@progbits
	.p2align	6, 0x0
	.amdhsa_kernel _ZN2at6native12_GLOBAL__N_125multi_tensor_apply_kernelINS1_18TensorListMetadataILi1EEENS0_13LpNormFunctorIN3c104HalfELNS0_8NormTypeE1EdLi1ELi1ELi0EEEJPdiEEEvT_T0_DpT1_
		.amdhsa_group_segment_fixed_size 4096
		.amdhsa_private_segment_fixed_size 0
		.amdhsa_kernarg_size 3648
		.amdhsa_user_sgpr_count 2
		.amdhsa_user_sgpr_dispatch_ptr 0
		.amdhsa_user_sgpr_queue_ptr 0
		.amdhsa_user_sgpr_kernarg_segment_ptr 1
		.amdhsa_user_sgpr_dispatch_id 0
		.amdhsa_user_sgpr_kernarg_preload_length 0
		.amdhsa_user_sgpr_kernarg_preload_offset 0
		.amdhsa_user_sgpr_private_segment_size 0
		.amdhsa_wavefront_size32 1
		.amdhsa_uses_dynamic_stack 0
		.amdhsa_enable_private_segment 0
		.amdhsa_system_sgpr_workgroup_id_x 1
		.amdhsa_system_sgpr_workgroup_id_y 0
		.amdhsa_system_sgpr_workgroup_id_z 0
		.amdhsa_system_sgpr_workgroup_info 0
		.amdhsa_system_vgpr_workitem_id 0
		.amdhsa_next_free_vgpr 26
		.amdhsa_next_free_sgpr 14
		.amdhsa_named_barrier_count 0
		.amdhsa_reserve_vcc 1
		.amdhsa_float_round_mode_32 0
		.amdhsa_float_round_mode_16_64 0
		.amdhsa_float_denorm_mode_32 3
		.amdhsa_float_denorm_mode_16_64 3
		.amdhsa_fp16_overflow 0
		.amdhsa_memory_ordered 1
		.amdhsa_forward_progress 1
		.amdhsa_inst_pref_size 14
		.amdhsa_round_robin_scheduling 0
		.amdhsa_exception_fp_ieee_invalid_op 0
		.amdhsa_exception_fp_denorm_src 0
		.amdhsa_exception_fp_ieee_div_zero 0
		.amdhsa_exception_fp_ieee_overflow 0
		.amdhsa_exception_fp_ieee_underflow 0
		.amdhsa_exception_fp_ieee_inexact 0
		.amdhsa_exception_int_div_zero 0
	.end_amdhsa_kernel
	.section	.text._ZN2at6native12_GLOBAL__N_125multi_tensor_apply_kernelINS1_18TensorListMetadataILi1EEENS0_13LpNormFunctorIN3c104HalfELNS0_8NormTypeE1EdLi1ELi1ELi0EEEJPdiEEEvT_T0_DpT1_,"axG",@progbits,_ZN2at6native12_GLOBAL__N_125multi_tensor_apply_kernelINS1_18TensorListMetadataILi1EEENS0_13LpNormFunctorIN3c104HalfELNS0_8NormTypeE1EdLi1ELi1ELi0EEEJPdiEEEvT_T0_DpT1_,comdat
.Lfunc_end85:
	.size	_ZN2at6native12_GLOBAL__N_125multi_tensor_apply_kernelINS1_18TensorListMetadataILi1EEENS0_13LpNormFunctorIN3c104HalfELNS0_8NormTypeE1EdLi1ELi1ELi0EEEJPdiEEEvT_T0_DpT1_, .Lfunc_end85-_ZN2at6native12_GLOBAL__N_125multi_tensor_apply_kernelINS1_18TensorListMetadataILi1EEENS0_13LpNormFunctorIN3c104HalfELNS0_8NormTypeE1EdLi1ELi1ELi0EEEJPdiEEEvT_T0_DpT1_
                                        ; -- End function
	.set _ZN2at6native12_GLOBAL__N_125multi_tensor_apply_kernelINS1_18TensorListMetadataILi1EEENS0_13LpNormFunctorIN3c104HalfELNS0_8NormTypeE1EdLi1ELi1ELi0EEEJPdiEEEvT_T0_DpT1_.num_vgpr, 26
	.set _ZN2at6native12_GLOBAL__N_125multi_tensor_apply_kernelINS1_18TensorListMetadataILi1EEENS0_13LpNormFunctorIN3c104HalfELNS0_8NormTypeE1EdLi1ELi1ELi0EEEJPdiEEEvT_T0_DpT1_.num_agpr, 0
	.set _ZN2at6native12_GLOBAL__N_125multi_tensor_apply_kernelINS1_18TensorListMetadataILi1EEENS0_13LpNormFunctorIN3c104HalfELNS0_8NormTypeE1EdLi1ELi1ELi0EEEJPdiEEEvT_T0_DpT1_.numbered_sgpr, 14
	.set _ZN2at6native12_GLOBAL__N_125multi_tensor_apply_kernelINS1_18TensorListMetadataILi1EEENS0_13LpNormFunctorIN3c104HalfELNS0_8NormTypeE1EdLi1ELi1ELi0EEEJPdiEEEvT_T0_DpT1_.num_named_barrier, 0
	.set _ZN2at6native12_GLOBAL__N_125multi_tensor_apply_kernelINS1_18TensorListMetadataILi1EEENS0_13LpNormFunctorIN3c104HalfELNS0_8NormTypeE1EdLi1ELi1ELi0EEEJPdiEEEvT_T0_DpT1_.private_seg_size, 0
	.set _ZN2at6native12_GLOBAL__N_125multi_tensor_apply_kernelINS1_18TensorListMetadataILi1EEENS0_13LpNormFunctorIN3c104HalfELNS0_8NormTypeE1EdLi1ELi1ELi0EEEJPdiEEEvT_T0_DpT1_.uses_vcc, 1
	.set _ZN2at6native12_GLOBAL__N_125multi_tensor_apply_kernelINS1_18TensorListMetadataILi1EEENS0_13LpNormFunctorIN3c104HalfELNS0_8NormTypeE1EdLi1ELi1ELi0EEEJPdiEEEvT_T0_DpT1_.uses_flat_scratch, 0
	.set _ZN2at6native12_GLOBAL__N_125multi_tensor_apply_kernelINS1_18TensorListMetadataILi1EEENS0_13LpNormFunctorIN3c104HalfELNS0_8NormTypeE1EdLi1ELi1ELi0EEEJPdiEEEvT_T0_DpT1_.has_dyn_sized_stack, 0
	.set _ZN2at6native12_GLOBAL__N_125multi_tensor_apply_kernelINS1_18TensorListMetadataILi1EEENS0_13LpNormFunctorIN3c104HalfELNS0_8NormTypeE1EdLi1ELi1ELi0EEEJPdiEEEvT_T0_DpT1_.has_recursion, 0
	.set _ZN2at6native12_GLOBAL__N_125multi_tensor_apply_kernelINS1_18TensorListMetadataILi1EEENS0_13LpNormFunctorIN3c104HalfELNS0_8NormTypeE1EdLi1ELi1ELi0EEEJPdiEEEvT_T0_DpT1_.has_indirect_call, 0
	.section	.AMDGPU.csdata,"",@progbits
; Kernel info:
; codeLenInByte = 1696
; TotalNumSgprs: 16
; NumVgprs: 26
; ScratchSize: 0
; MemoryBound: 0
; FloatMode: 240
; IeeeMode: 1
; LDSByteSize: 4096 bytes/workgroup (compile time only)
; SGPRBlocks: 0
; VGPRBlocks: 1
; NumSGPRsForWavesPerEU: 16
; NumVGPRsForWavesPerEU: 26
; NamedBarCnt: 0
; Occupancy: 16
; WaveLimiterHint : 0
; COMPUTE_PGM_RSRC2:SCRATCH_EN: 0
; COMPUTE_PGM_RSRC2:USER_SGPR: 2
; COMPUTE_PGM_RSRC2:TRAP_HANDLER: 0
; COMPUTE_PGM_RSRC2:TGID_X_EN: 1
; COMPUTE_PGM_RSRC2:TGID_Y_EN: 0
; COMPUTE_PGM_RSRC2:TGID_Z_EN: 0
; COMPUTE_PGM_RSRC2:TIDIG_COMP_CNT: 0
	.section	.text._ZN2at6native12_GLOBAL__N_125multi_tensor_apply_kernelINS1_18TensorListMetadataILi1EEENS0_13LpNormFunctorIN3c104HalfELNS0_8NormTypeE2EdLi1ELi1ELi0EEEJPdiEEEvT_T0_DpT1_,"axG",@progbits,_ZN2at6native12_GLOBAL__N_125multi_tensor_apply_kernelINS1_18TensorListMetadataILi1EEENS0_13LpNormFunctorIN3c104HalfELNS0_8NormTypeE2EdLi1ELi1ELi0EEEJPdiEEEvT_T0_DpT1_,comdat
	.globl	_ZN2at6native12_GLOBAL__N_125multi_tensor_apply_kernelINS1_18TensorListMetadataILi1EEENS0_13LpNormFunctorIN3c104HalfELNS0_8NormTypeE2EdLi1ELi1ELi0EEEJPdiEEEvT_T0_DpT1_ ; -- Begin function _ZN2at6native12_GLOBAL__N_125multi_tensor_apply_kernelINS1_18TensorListMetadataILi1EEENS0_13LpNormFunctorIN3c104HalfELNS0_8NormTypeE2EdLi1ELi1ELi0EEEJPdiEEEvT_T0_DpT1_
	.p2align	8
	.type	_ZN2at6native12_GLOBAL__N_125multi_tensor_apply_kernelINS1_18TensorListMetadataILi1EEENS0_13LpNormFunctorIN3c104HalfELNS0_8NormTypeE2EdLi1ELi1ELi0EEEJPdiEEEvT_T0_DpT1_,@function
_ZN2at6native12_GLOBAL__N_125multi_tensor_apply_kernelINS1_18TensorListMetadataILi1EEENS0_13LpNormFunctorIN3c104HalfELNS0_8NormTypeE2EdLi1ELi1ELi0EEEJPdiEEEvT_T0_DpT1_: ; @_ZN2at6native12_GLOBAL__N_125multi_tensor_apply_kernelINS1_18TensorListMetadataILi1EEENS0_13LpNormFunctorIN3c104HalfELNS0_8NormTypeE2EdLi1ELi1ELi0EEEJPdiEEEvT_T0_DpT1_
; %bb.0:
	s_bfe_u32 s2, ttmp6, 0x4000c
	s_and_b32 s3, ttmp6, 15
	s_add_co_i32 s2, s2, 1
	s_getreg_b32 s4, hwreg(HW_REG_IB_STS2, 6, 4)
	s_mul_i32 s2, ttmp9, s2
	s_delay_alu instid0(SALU_CYCLE_1)
	s_add_co_i32 s3, s3, s2
	s_cmp_eq_u32 s4, 0
	s_cselect_b32 s2, ttmp9, s3
	s_mov_b32 s3, 0
	v_mov_b32_e32 v1, s2
	s_add_nc_u64 s[4:5], s[0:1], s[2:3]
	s_mul_u64 s[6:7], s[2:3], 3
	s_delay_alu instid0(SALU_CYCLE_1) | instskip(SKIP_4) | instid1(SALU_CYCLE_1)
	s_add_nc_u64 s[4:5], s[4:5], s[6:7]
	global_load_u8 v21, v1, s[0:1] offset:1760
	s_load_b32 s4, s[4:5], 0x820
	s_wait_kmcnt 0x0
	s_ashr_i32 s5, s4, 31
	s_lshl_b64 s[10:11], s[4:5], 17
	s_lshl_b64 s[12:13], s[4:5], 16
	s_wait_loadcnt 0x0
	v_readfirstlane_b32 s2, v21
	s_and_b32 s2, s2, 0xff
	s_clause 0x1
	s_load_b64 s[6:7], s[0:1], s2 offset:0x0 scale_offset
	s_load_b64 s[8:9], s[0:1], s2 offset:0x370 scale_offset
	s_wait_kmcnt 0x0
	s_add_nc_u64 s[6:7], s[6:7], s[10:11]
	s_and_b32 s2, s8, 3
	s_and_b64 s[10:11], s[6:7], 7
	s_sub_nc_u64 s[8:9], s[8:9], s[12:13]
	s_or_b64 s[10:11], s[2:3], s[10:11]
	s_delay_alu instid0(SALU_CYCLE_1)
	s_cmp_eq_u64 s[10:11], 0
	s_cbranch_scc1 .LBB86_12
; %bb.1:
	v_cmp_lt_i64_e64 s2, s[8:9], 1
	s_and_b32 vcc_lo, exec_lo, s2
	s_cbranch_vccnz .LBB86_28
; %bb.2:
	s_load_b32 s2, s[0:1], 0xd4c
	v_min_i64 v[18:19], 0x10000, s[8:9]
	s_mov_b32 s11, 0
	s_mov_b64 s[12:13], 0
	s_wait_kmcnt 0x0
	s_and_b32 s2, s2, 0xffff
	s_delay_alu instid0(SALU_CYCLE_1) | instskip(SKIP_3) | instid1(VALU_DEP_3)
	v_dual_mov_b32 v11, 0 :: v_dual_add_nc_u32 v24, s2, v0
	v_mad_u32 v20, s2, 3, v0
	v_lshl_add_u32 v22, s2, 1, v0
	s_lshl_b32 s10, s2, 2
	v_dual_mov_b32 v10, v11 :: v_dual_mov_b32 v12, v11
	v_dual_mov_b32 v13, v11 :: v_dual_mov_b32 v14, v11
	;; [unrolled: 1-line block ×3, first 2 shown]
	v_mov_b32_e32 v17, v11
	s_delay_alu instid0(VALU_DEP_4) | instskip(NEXT) | instid1(VALU_DEP_4)
	v_mov_b64_e32 v[2:3], v[10:11]
	v_mov_b64_e32 v[4:5], v[12:13]
	s_delay_alu instid0(VALU_DEP_4) | instskip(NEXT) | instid1(VALU_DEP_4)
	v_mov_b64_e32 v[6:7], v[14:15]
	v_mov_b64_e32 v[8:9], v[16:17]
	s_branch .LBB86_4
.LBB86_3:                               ;   in Loop: Header=BB86_4 Depth=1
	s_or_b32 exec_lo, exec_lo, s2
	s_add_nc_u64 s[12:13], s[12:13], s[10:11]
	s_delay_alu instid0(SALU_CYCLE_1)
	v_cmp_lt_i64_e32 vcc_lo, s[12:13], v[18:19]
	s_cbranch_vccz .LBB86_13
.LBB86_4:                               ; =>This Inner Loop Header: Depth=1
	v_add_nc_u32_e32 v10, s12, v0
	s_delay_alu instid0(VALU_DEP_1) | instskip(SKIP_2) | instid1(SALU_CYCLE_1)
	v_cmp_gt_i64_e32 vcc_lo, s[8:9], v[10:11]
	v_cmp_gt_u32_e64 s2, 0x10000, v10
	s_and_b32 s5, s2, vcc_lo
	s_and_saveexec_b32 s2, s5
	s_cbranch_execz .LBB86_6
; %bb.5:                                ;   in Loop: Header=BB86_4 Depth=1
	v_lshl_add_u64 v[12:13], v[10:11], 1, s[6:7]
	global_load_u16 v1, v[12:13], off
	s_wait_loadcnt 0x0
	v_cvt_f32_f16_e32 v1, v1
	s_delay_alu instid0(VALU_DEP_1) | instskip(NEXT) | instid1(VALU_DEP_1)
	v_cvt_f64_f32_e32 v[12:13], v1
	v_fmac_f64_e32 v[2:3], v[12:13], v[12:13]
.LBB86_6:                               ;   in Loop: Header=BB86_4 Depth=1
	s_or_b32 exec_lo, exec_lo, s2
	v_add_nc_u32_e32 v10, s12, v24
	s_delay_alu instid0(VALU_DEP_1) | instskip(SKIP_2) | instid1(SALU_CYCLE_1)
	v_cmp_gt_i64_e32 vcc_lo, s[8:9], v[10:11]
	v_cmp_gt_u32_e64 s2, 0x10000, v10
	s_and_b32 s5, s2, vcc_lo
	s_and_saveexec_b32 s2, s5
	s_cbranch_execz .LBB86_8
; %bb.7:                                ;   in Loop: Header=BB86_4 Depth=1
	v_lshl_add_u64 v[12:13], v[10:11], 1, s[6:7]
	global_load_u16 v1, v[12:13], off
	s_wait_loadcnt 0x0
	v_cvt_f32_f16_e32 v1, v1
	s_delay_alu instid0(VALU_DEP_1) | instskip(NEXT) | instid1(VALU_DEP_1)
	v_cvt_f64_f32_e32 v[12:13], v1
	v_fmac_f64_e32 v[4:5], v[12:13], v[12:13]
.LBB86_8:                               ;   in Loop: Header=BB86_4 Depth=1
	s_or_b32 exec_lo, exec_lo, s2
	v_add_nc_u32_e32 v10, s12, v22
	s_delay_alu instid0(VALU_DEP_1) | instskip(SKIP_2) | instid1(SALU_CYCLE_1)
	v_cmp_gt_i64_e32 vcc_lo, s[8:9], v[10:11]
	v_cmp_gt_u32_e64 s2, 0x10000, v10
	s_and_b32 s5, s2, vcc_lo
	s_and_saveexec_b32 s2, s5
	s_cbranch_execz .LBB86_10
; %bb.9:                                ;   in Loop: Header=BB86_4 Depth=1
	v_lshl_add_u64 v[12:13], v[10:11], 1, s[6:7]
	global_load_u16 v1, v[12:13], off
	s_wait_loadcnt 0x0
	v_cvt_f32_f16_e32 v1, v1
	s_delay_alu instid0(VALU_DEP_1) | instskip(NEXT) | instid1(VALU_DEP_1)
	v_cvt_f64_f32_e32 v[12:13], v1
	v_fmac_f64_e32 v[6:7], v[12:13], v[12:13]
.LBB86_10:                              ;   in Loop: Header=BB86_4 Depth=1
	s_or_b32 exec_lo, exec_lo, s2
	v_add_nc_u32_e32 v10, s12, v20
	s_delay_alu instid0(VALU_DEP_1) | instskip(SKIP_2) | instid1(SALU_CYCLE_1)
	v_cmp_gt_i64_e32 vcc_lo, s[8:9], v[10:11]
	v_cmp_gt_u32_e64 s2, 0x10000, v10
	s_and_b32 s5, s2, vcc_lo
	s_and_saveexec_b32 s2, s5
	s_cbranch_execz .LBB86_3
; %bb.11:                               ;   in Loop: Header=BB86_4 Depth=1
	v_lshl_add_u64 v[12:13], v[10:11], 1, s[6:7]
	global_load_u16 v1, v[12:13], off
	s_wait_loadcnt 0x0
	v_cvt_f32_f16_e32 v1, v1
	s_delay_alu instid0(VALU_DEP_1) | instskip(NEXT) | instid1(VALU_DEP_1)
	v_cvt_f64_f32_e32 v[12:13], v1
	v_fmac_f64_e32 v[8:9], v[12:13], v[12:13]
	s_branch .LBB86_3
.LBB86_12:
	s_mov_b32 s3, -1
                                        ; implicit-def: $vgpr2_vgpr3_vgpr4_vgpr5_vgpr6_vgpr7_vgpr8_vgpr9
.LBB86_13:
	s_delay_alu instid0(SALU_CYCLE_1)
	s_and_not1_b32 vcc_lo, exec_lo, s3
	s_cbranch_vccnz .LBB86_19
.LBB86_14:
	v_min_i64 v[10:11], 0x10000, s[8:9]
	v_dual_mov_b32 v3, 0 :: v_dual_lshlrev_b32 v2, 2, v0
	s_mov_b32 s3, 0
	s_delay_alu instid0(VALU_DEP_1)
	v_dual_mov_b32 v4, v3 :: v_dual_mov_b32 v5, v3
	v_dual_mov_b32 v6, v3 :: v_dual_mov_b32 v7, v3
	;; [unrolled: 1-line block ×3, first 2 shown]
	v_cmp_lt_i64_e32 vcc_lo, v[2:3], v[10:11]
	v_mov_b32_e32 v2, v3
	s_and_saveexec_b32 s5, vcc_lo
	s_cbranch_execz .LBB86_18
; %bb.15:
	s_load_b32 s2, s[0:1], 0xd4c
	v_dual_mov_b32 v1, v3 :: v_dual_lshlrev_b32 v2, 3, v0
	v_mov_b64_e32 v[4:5], 0
	v_mov_b64_e32 v[6:7], 0
	;; [unrolled: 1-line block ×3, first 2 shown]
	s_delay_alu instid0(VALU_DEP_4) | instskip(SKIP_4) | instid1(VALU_DEP_3)
	v_add_nc_u64_e32 v[12:13], s[6:7], v[2:3]
	v_mov_b64_e32 v[2:3], 0
	v_mov_b64_e32 v[14:15], v[0:1]
	s_mov_b32 s7, s3
	s_mov_b32 s8, s3
	v_add_nc_u64_e32 v[12:13], 4, v[12:13]
	s_wait_kmcnt 0x0
	s_and_b32 s2, s2, 0xffff
	s_delay_alu instid0(SALU_CYCLE_1)
	s_lshl_b32 s6, s2, 3
.LBB86_16:                              ; =>This Inner Loop Header: Depth=1
	global_load_b64 v[16:17], v[12:13], off offset:-4
	v_add_nc_u64_e32 v[14:15], s[2:3], v[14:15]
	s_wait_xcnt 0x0
	v_add_nc_u64_e32 v[12:13], s[6:7], v[12:13]
	s_wait_loadcnt 0x0
	v_dual_lshrrev_b32 v1, 16, v16 :: v_dual_lshrrev_b32 v18, 16, v17
	v_cvt_f32_f16_e32 v16, v16
	v_cvt_f32_f16_e32 v19, v17
	s_delay_alu instid0(VALU_DEP_3) | instskip(NEXT) | instid1(VALU_DEP_4)
	v_cvt_f32_f16_e32 v1, v1
	v_cvt_f32_f16_e32 v20, v18
	s_delay_alu instid0(VALU_DEP_4) | instskip(NEXT) | instid1(VALU_DEP_4)
	v_cvt_f64_f32_e32 v[16:17], v16
	v_cvt_f64_f32_e32 v[18:19], v19
	s_delay_alu instid0(VALU_DEP_4) | instskip(NEXT) | instid1(VALU_DEP_4)
	v_cvt_f64_f32_e32 v[22:23], v1
	v_cvt_f64_f32_e32 v[24:25], v20
	s_delay_alu instid0(VALU_DEP_4) | instskip(NEXT) | instid1(VALU_DEP_4)
	v_fmac_f64_e32 v[2:3], v[16:17], v[16:17]
	v_fmac_f64_e32 v[6:7], v[18:19], v[18:19]
	v_lshlrev_b64_e32 v[16:17], 2, v[14:15]
	v_fmac_f64_e32 v[4:5], v[22:23], v[22:23]
	v_fmac_f64_e32 v[8:9], v[24:25], v[24:25]
	s_delay_alu instid0(VALU_DEP_3) | instskip(SKIP_1) | instid1(SALU_CYCLE_1)
	v_cmp_ge_i64_e32 vcc_lo, v[16:17], v[10:11]
	s_or_b32 s8, vcc_lo, s8
	s_and_not1_b32 exec_lo, exec_lo, s8
	s_cbranch_execnz .LBB86_16
; %bb.17:
	s_or_b32 exec_lo, exec_lo, s8
.LBB86_18:
	s_delay_alu instid0(SALU_CYCLE_1)
	s_or_b32 exec_lo, exec_lo, s5
.LBB86_19:
	s_delay_alu instid0(VALU_DEP_1) | instskip(SKIP_3) | instid1(VALU_DEP_1)
	v_add_f64_e32 v[2:3], 0, v[2:3]
	s_mov_b32 s2, exec_lo
	s_barrier_signal -1
	s_barrier_wait -1
	v_dual_add_f64 v[2:3], v[4:5], v[2:3] :: v_dual_bitop2_b32 v10, 31, v0 bitop3:0x40
	s_delay_alu instid0(VALU_DEP_1) | instskip(NEXT) | instid1(VALU_DEP_1)
	v_add_f64_e32 v[2:3], v[6:7], v[2:3]
	v_add_f64_e32 v[2:3], v[8:9], v[2:3]
	v_mbcnt_lo_u32_b32 v9, -1, 0
	s_delay_alu instid0(VALU_DEP_1)
	v_lshl_or_b32 v1, v9, 2, 64
	v_cmp_gt_u32_e32 vcc_lo, 24, v9
	ds_bpermute_b32 v4, v1, v2
	ds_bpermute_b32 v5, v1, v3
	s_wait_dscnt 0x0
	v_add_f64_e32 v[2:3], v[2:3], v[4:5]
	v_cndmask_b32_e64 v4, 0, 8, vcc_lo
	v_cmp_gt_u32_e32 vcc_lo, 28, v9
	s_delay_alu instid0(VALU_DEP_2)
	v_add_lshl_u32 v6, v4, v9, 2
	ds_bpermute_b32 v4, v6, v2
	ds_bpermute_b32 v5, v6, v3
	s_wait_dscnt 0x0
	v_add_f64_e32 v[2:3], v[2:3], v[4:5]
	v_cndmask_b32_e64 v4, 0, 4, vcc_lo
	v_cmp_gt_u32_e32 vcc_lo, 30, v9
	s_delay_alu instid0(VALU_DEP_2)
	v_add_lshl_u32 v7, v4, v9, 2
	ds_bpermute_b32 v4, v7, v2
	ds_bpermute_b32 v5, v7, v3
	s_wait_dscnt 0x0
	v_add_f64_e32 v[2:3], v[2:3], v[4:5]
	v_cndmask_b32_e64 v4, 0, 2, vcc_lo
	v_cmp_ne_u32_e32 vcc_lo, 31, v9
	s_delay_alu instid0(VALU_DEP_2)
	v_add_lshl_u32 v8, v4, v9, 2
	ds_bpermute_b32 v4, v8, v2
	ds_bpermute_b32 v5, v8, v3
	s_wait_dscnt 0x0
	v_add_f64_e32 v[2:3], v[2:3], v[4:5]
	v_add_co_ci_u32_e64 v4, null, 0, v9, vcc_lo
	s_delay_alu instid0(VALU_DEP_1)
	v_lshlrev_b32_e32 v9, 2, v4
	ds_bpermute_b32 v4, v9, v2
	ds_bpermute_b32 v5, v9, v3
	v_cmpx_eq_u32_e32 0, v10
	s_cbranch_execz .LBB86_21
; %bb.20:
	s_wait_dscnt 0x0
	v_add_f64_e32 v[2:3], v[2:3], v[4:5]
	v_lshrrev_b32_e32 v4, 2, v0
	ds_store_b64 v4, v[2:3]
.LBB86_21:
	s_or_b32 exec_lo, exec_lo, s2
	s_wait_dscnt 0x0
	s_barrier_signal -1
	s_barrier_wait -1
	s_load_b32 s2, s[0:1], 0xd4c
	v_mov_b64_e32 v[2:3], 0
	s_wait_kmcnt 0x0
	s_bfe_u32 s2, s2, 0xb0005
	s_delay_alu instid0(SALU_CYCLE_1)
	v_cmp_gt_u32_e32 vcc_lo, s2, v0
	s_and_saveexec_b32 s2, vcc_lo
; %bb.22:
	v_lshlrev_b32_e32 v2, 3, v10
	ds_load_b64 v[2:3], v2
; %bb.23:
	s_or_b32 exec_lo, exec_lo, s2
	s_delay_alu instid0(SALU_CYCLE_1)
	s_mov_b32 s2, exec_lo
	v_cmpx_gt_u32_e32 32, v0
	s_cbranch_execz .LBB86_25
; %bb.24:
	s_wait_dscnt 0x0
	ds_bpermute_b32 v4, v1, v2
	ds_bpermute_b32 v5, v1, v3
	s_wait_dscnt 0x0
	v_add_f64_e32 v[2:3], v[2:3], v[4:5]
	ds_bpermute_b32 v4, v6, v2
	ds_bpermute_b32 v5, v6, v3
	s_wait_dscnt 0x0
	v_add_f64_e32 v[2:3], v[2:3], v[4:5]
	;; [unrolled: 4-line block ×5, first 2 shown]
.LBB86_25:
	s_or_b32 exec_lo, exec_lo, s2
	s_delay_alu instid0(SALU_CYCLE_1)
	s_mov_b32 s2, exec_lo
	v_cmpx_eq_u32_e32 0, v0
	s_cbranch_execz .LBB86_27
; %bb.26:
	s_clause 0x1
	s_load_b32 s2, s[0:1], 0xd20
	s_load_b96 s[8:10], s[0:1], 0xd30
	v_and_b32_e32 v0, 0xff, v21
	s_wait_kmcnt 0x0
	s_delay_alu instid0(VALU_DEP_1) | instskip(NEXT) | instid1(VALU_DEP_1)
	v_add_nc_u32_e32 v0, s2, v0
	v_mul_lo_u32 v0, v0, s10
	s_delay_alu instid0(VALU_DEP_1)
	v_add_nc_u32_e32 v0, s4, v0
	s_wait_dscnt 0x0
	global_store_b64 v0, v[2:3], s[8:9] scale_offset
.LBB86_27:
	s_endpgm
.LBB86_28:
	v_mov_b32_e32 v2, 0
	s_delay_alu instid0(VALU_DEP_1)
	v_dual_mov_b32 v3, v2 :: v_dual_mov_b32 v4, v2
	v_dual_mov_b32 v5, v2 :: v_dual_mov_b32 v6, v2
	;; [unrolled: 1-line block ×3, first 2 shown]
	v_mov_b32_e32 v9, v2
	s_and_not1_b32 vcc_lo, exec_lo, s3
	s_cbranch_vccz .LBB86_14
	s_branch .LBB86_19
	.section	.rodata,"a",@progbits
	.p2align	6, 0x0
	.amdhsa_kernel _ZN2at6native12_GLOBAL__N_125multi_tensor_apply_kernelINS1_18TensorListMetadataILi1EEENS0_13LpNormFunctorIN3c104HalfELNS0_8NormTypeE2EdLi1ELi1ELi0EEEJPdiEEEvT_T0_DpT1_
		.amdhsa_group_segment_fixed_size 4096
		.amdhsa_private_segment_fixed_size 0
		.amdhsa_kernarg_size 3648
		.amdhsa_user_sgpr_count 2
		.amdhsa_user_sgpr_dispatch_ptr 0
		.amdhsa_user_sgpr_queue_ptr 0
		.amdhsa_user_sgpr_kernarg_segment_ptr 1
		.amdhsa_user_sgpr_dispatch_id 0
		.amdhsa_user_sgpr_kernarg_preload_length 0
		.amdhsa_user_sgpr_kernarg_preload_offset 0
		.amdhsa_user_sgpr_private_segment_size 0
		.amdhsa_wavefront_size32 1
		.amdhsa_uses_dynamic_stack 0
		.amdhsa_enable_private_segment 0
		.amdhsa_system_sgpr_workgroup_id_x 1
		.amdhsa_system_sgpr_workgroup_id_y 0
		.amdhsa_system_sgpr_workgroup_id_z 0
		.amdhsa_system_sgpr_workgroup_info 0
		.amdhsa_system_vgpr_workitem_id 0
		.amdhsa_next_free_vgpr 26
		.amdhsa_next_free_sgpr 14
		.amdhsa_named_barrier_count 0
		.amdhsa_reserve_vcc 1
		.amdhsa_float_round_mode_32 0
		.amdhsa_float_round_mode_16_64 0
		.amdhsa_float_denorm_mode_32 3
		.amdhsa_float_denorm_mode_16_64 3
		.amdhsa_fp16_overflow 0
		.amdhsa_memory_ordered 1
		.amdhsa_forward_progress 1
		.amdhsa_inst_pref_size 13
		.amdhsa_round_robin_scheduling 0
		.amdhsa_exception_fp_ieee_invalid_op 0
		.amdhsa_exception_fp_denorm_src 0
		.amdhsa_exception_fp_ieee_div_zero 0
		.amdhsa_exception_fp_ieee_overflow 0
		.amdhsa_exception_fp_ieee_underflow 0
		.amdhsa_exception_fp_ieee_inexact 0
		.amdhsa_exception_int_div_zero 0
	.end_amdhsa_kernel
	.section	.text._ZN2at6native12_GLOBAL__N_125multi_tensor_apply_kernelINS1_18TensorListMetadataILi1EEENS0_13LpNormFunctorIN3c104HalfELNS0_8NormTypeE2EdLi1ELi1ELi0EEEJPdiEEEvT_T0_DpT1_,"axG",@progbits,_ZN2at6native12_GLOBAL__N_125multi_tensor_apply_kernelINS1_18TensorListMetadataILi1EEENS0_13LpNormFunctorIN3c104HalfELNS0_8NormTypeE2EdLi1ELi1ELi0EEEJPdiEEEvT_T0_DpT1_,comdat
.Lfunc_end86:
	.size	_ZN2at6native12_GLOBAL__N_125multi_tensor_apply_kernelINS1_18TensorListMetadataILi1EEENS0_13LpNormFunctorIN3c104HalfELNS0_8NormTypeE2EdLi1ELi1ELi0EEEJPdiEEEvT_T0_DpT1_, .Lfunc_end86-_ZN2at6native12_GLOBAL__N_125multi_tensor_apply_kernelINS1_18TensorListMetadataILi1EEENS0_13LpNormFunctorIN3c104HalfELNS0_8NormTypeE2EdLi1ELi1ELi0EEEJPdiEEEvT_T0_DpT1_
                                        ; -- End function
	.set _ZN2at6native12_GLOBAL__N_125multi_tensor_apply_kernelINS1_18TensorListMetadataILi1EEENS0_13LpNormFunctorIN3c104HalfELNS0_8NormTypeE2EdLi1ELi1ELi0EEEJPdiEEEvT_T0_DpT1_.num_vgpr, 26
	.set _ZN2at6native12_GLOBAL__N_125multi_tensor_apply_kernelINS1_18TensorListMetadataILi1EEENS0_13LpNormFunctorIN3c104HalfELNS0_8NormTypeE2EdLi1ELi1ELi0EEEJPdiEEEvT_T0_DpT1_.num_agpr, 0
	.set _ZN2at6native12_GLOBAL__N_125multi_tensor_apply_kernelINS1_18TensorListMetadataILi1EEENS0_13LpNormFunctorIN3c104HalfELNS0_8NormTypeE2EdLi1ELi1ELi0EEEJPdiEEEvT_T0_DpT1_.numbered_sgpr, 14
	.set _ZN2at6native12_GLOBAL__N_125multi_tensor_apply_kernelINS1_18TensorListMetadataILi1EEENS0_13LpNormFunctorIN3c104HalfELNS0_8NormTypeE2EdLi1ELi1ELi0EEEJPdiEEEvT_T0_DpT1_.num_named_barrier, 0
	.set _ZN2at6native12_GLOBAL__N_125multi_tensor_apply_kernelINS1_18TensorListMetadataILi1EEENS0_13LpNormFunctorIN3c104HalfELNS0_8NormTypeE2EdLi1ELi1ELi0EEEJPdiEEEvT_T0_DpT1_.private_seg_size, 0
	.set _ZN2at6native12_GLOBAL__N_125multi_tensor_apply_kernelINS1_18TensorListMetadataILi1EEENS0_13LpNormFunctorIN3c104HalfELNS0_8NormTypeE2EdLi1ELi1ELi0EEEJPdiEEEvT_T0_DpT1_.uses_vcc, 1
	.set _ZN2at6native12_GLOBAL__N_125multi_tensor_apply_kernelINS1_18TensorListMetadataILi1EEENS0_13LpNormFunctorIN3c104HalfELNS0_8NormTypeE2EdLi1ELi1ELi0EEEJPdiEEEvT_T0_DpT1_.uses_flat_scratch, 0
	.set _ZN2at6native12_GLOBAL__N_125multi_tensor_apply_kernelINS1_18TensorListMetadataILi1EEENS0_13LpNormFunctorIN3c104HalfELNS0_8NormTypeE2EdLi1ELi1ELi0EEEJPdiEEEvT_T0_DpT1_.has_dyn_sized_stack, 0
	.set _ZN2at6native12_GLOBAL__N_125multi_tensor_apply_kernelINS1_18TensorListMetadataILi1EEENS0_13LpNormFunctorIN3c104HalfELNS0_8NormTypeE2EdLi1ELi1ELi0EEEJPdiEEEvT_T0_DpT1_.has_recursion, 0
	.set _ZN2at6native12_GLOBAL__N_125multi_tensor_apply_kernelINS1_18TensorListMetadataILi1EEENS0_13LpNormFunctorIN3c104HalfELNS0_8NormTypeE2EdLi1ELi1ELi0EEEJPdiEEEvT_T0_DpT1_.has_indirect_call, 0
	.section	.AMDGPU.csdata,"",@progbits
; Kernel info:
; codeLenInByte = 1608
; TotalNumSgprs: 16
; NumVgprs: 26
; ScratchSize: 0
; MemoryBound: 0
; FloatMode: 240
; IeeeMode: 1
; LDSByteSize: 4096 bytes/workgroup (compile time only)
; SGPRBlocks: 0
; VGPRBlocks: 1
; NumSGPRsForWavesPerEU: 16
; NumVGPRsForWavesPerEU: 26
; NamedBarCnt: 0
; Occupancy: 16
; WaveLimiterHint : 0
; COMPUTE_PGM_RSRC2:SCRATCH_EN: 0
; COMPUTE_PGM_RSRC2:USER_SGPR: 2
; COMPUTE_PGM_RSRC2:TRAP_HANDLER: 0
; COMPUTE_PGM_RSRC2:TGID_X_EN: 1
; COMPUTE_PGM_RSRC2:TGID_Y_EN: 0
; COMPUTE_PGM_RSRC2:TGID_Z_EN: 0
; COMPUTE_PGM_RSRC2:TIDIG_COMP_CNT: 0
	.section	.text._ZN2at6native12_GLOBAL__N_125multi_tensor_apply_kernelINS1_18TensorListMetadataILi1EEENS0_13LpNormFunctorIN3c104HalfELNS0_8NormTypeE3EdLi1ELi1ELi0EEEJPdiEEEvT_T0_DpT1_,"axG",@progbits,_ZN2at6native12_GLOBAL__N_125multi_tensor_apply_kernelINS1_18TensorListMetadataILi1EEENS0_13LpNormFunctorIN3c104HalfELNS0_8NormTypeE3EdLi1ELi1ELi0EEEJPdiEEEvT_T0_DpT1_,comdat
	.globl	_ZN2at6native12_GLOBAL__N_125multi_tensor_apply_kernelINS1_18TensorListMetadataILi1EEENS0_13LpNormFunctorIN3c104HalfELNS0_8NormTypeE3EdLi1ELi1ELi0EEEJPdiEEEvT_T0_DpT1_ ; -- Begin function _ZN2at6native12_GLOBAL__N_125multi_tensor_apply_kernelINS1_18TensorListMetadataILi1EEENS0_13LpNormFunctorIN3c104HalfELNS0_8NormTypeE3EdLi1ELi1ELi0EEEJPdiEEEvT_T0_DpT1_
	.p2align	8
	.type	_ZN2at6native12_GLOBAL__N_125multi_tensor_apply_kernelINS1_18TensorListMetadataILi1EEENS0_13LpNormFunctorIN3c104HalfELNS0_8NormTypeE3EdLi1ELi1ELi0EEEJPdiEEEvT_T0_DpT1_,@function
_ZN2at6native12_GLOBAL__N_125multi_tensor_apply_kernelINS1_18TensorListMetadataILi1EEENS0_13LpNormFunctorIN3c104HalfELNS0_8NormTypeE3EdLi1ELi1ELi0EEEJPdiEEEvT_T0_DpT1_: ; @_ZN2at6native12_GLOBAL__N_125multi_tensor_apply_kernelINS1_18TensorListMetadataILi1EEENS0_13LpNormFunctorIN3c104HalfELNS0_8NormTypeE3EdLi1ELi1ELi0EEEJPdiEEEvT_T0_DpT1_
; %bb.0:
	s_bfe_u32 s2, ttmp6, 0x4000c
	s_and_b32 s3, ttmp6, 15
	s_add_co_i32 s2, s2, 1
	s_getreg_b32 s4, hwreg(HW_REG_IB_STS2, 6, 4)
	s_mul_i32 s2, ttmp9, s2
	s_delay_alu instid0(SALU_CYCLE_1)
	s_add_co_i32 s3, s3, s2
	s_cmp_eq_u32 s4, 0
	s_cselect_b32 s2, ttmp9, s3
	s_mov_b32 s3, 0
	v_mov_b32_e32 v1, s2
	s_add_nc_u64 s[4:5], s[0:1], s[2:3]
	s_mul_u64 s[6:7], s[2:3], 3
	s_delay_alu instid0(SALU_CYCLE_1) | instskip(SKIP_4) | instid1(SALU_CYCLE_1)
	s_add_nc_u64 s[4:5], s[4:5], s[6:7]
	global_load_u8 v21, v1, s[0:1] offset:1760
	s_load_b32 s10, s[4:5], 0x820
	s_wait_kmcnt 0x0
	s_ashr_i32 s11, s10, 31
	s_lshl_b64 s[8:9], s[10:11], 17
	s_lshl_b64 s[12:13], s[10:11], 16
	s_wait_loadcnt 0x0
	v_readfirstlane_b32 s2, v21
	s_and_b32 s2, s2, 0xff
	s_clause 0x1
	s_load_b64 s[4:5], s[0:1], s2 offset:0x0 scale_offset
	s_load_b64 s[6:7], s[0:1], s2 offset:0x370 scale_offset
	s_wait_kmcnt 0x0
	s_add_nc_u64 s[4:5], s[4:5], s[8:9]
	s_and_b32 s2, s6, 3
	s_and_b64 s[8:9], s[4:5], 7
	s_sub_nc_u64 s[6:7], s[6:7], s[12:13]
	s_or_b64 s[8:9], s[2:3], s[8:9]
	s_delay_alu instid0(SALU_CYCLE_1)
	s_cmp_eq_u64 s[8:9], 0
	s_cbranch_scc1 .LBB87_12
; %bb.1:
	v_cmp_lt_i64_e64 s2, s[6:7], 1
	s_and_b32 vcc_lo, exec_lo, s2
	s_cbranch_vccnz .LBB87_28
; %bb.2:
	s_load_b32 s2, s[0:1], 0xd4c
	v_min_i64 v[18:19], 0x10000, s[6:7]
	s_mov_b32 s9, 0
	s_mov_b64 s[12:13], 0
	s_wait_kmcnt 0x0
	s_and_b32 s2, s2, 0xffff
	s_delay_alu instid0(SALU_CYCLE_1) | instskip(SKIP_3) | instid1(VALU_DEP_3)
	v_dual_mov_b32 v11, 0 :: v_dual_add_nc_u32 v24, s2, v0
	v_mad_u32 v20, s2, 3, v0
	v_lshl_add_u32 v22, s2, 1, v0
	s_lshl_b32 s8, s2, 2
	v_dual_mov_b32 v10, v11 :: v_dual_mov_b32 v12, v11
	v_dual_mov_b32 v13, v11 :: v_dual_mov_b32 v14, v11
	v_dual_mov_b32 v15, v11 :: v_dual_mov_b32 v16, v11
	v_mov_b32_e32 v17, v11
	s_delay_alu instid0(VALU_DEP_4) | instskip(NEXT) | instid1(VALU_DEP_4)
	v_mov_b64_e32 v[2:3], v[10:11]
	v_mov_b64_e32 v[4:5], v[12:13]
	s_delay_alu instid0(VALU_DEP_4) | instskip(NEXT) | instid1(VALU_DEP_4)
	v_mov_b64_e32 v[6:7], v[14:15]
	v_mov_b64_e32 v[8:9], v[16:17]
	s_branch .LBB87_4
.LBB87_3:                               ;   in Loop: Header=BB87_4 Depth=1
	s_or_b32 exec_lo, exec_lo, s11
	s_add_nc_u64 s[12:13], s[12:13], s[8:9]
	s_delay_alu instid0(SALU_CYCLE_1)
	v_cmp_lt_i64_e32 vcc_lo, s[12:13], v[18:19]
	s_cbranch_vccz .LBB87_13
.LBB87_4:                               ; =>This Inner Loop Header: Depth=1
	v_add_nc_u32_e32 v10, s12, v0
	s_delay_alu instid0(VALU_DEP_1) | instskip(SKIP_2) | instid1(SALU_CYCLE_1)
	v_cmp_gt_i64_e32 vcc_lo, s[6:7], v[10:11]
	v_cmp_gt_u32_e64 s2, 0x10000, v10
	s_and_b32 s2, s2, vcc_lo
	s_and_saveexec_b32 s11, s2
	s_cbranch_execz .LBB87_6
; %bb.5:                                ;   in Loop: Header=BB87_4 Depth=1
	v_lshl_add_u64 v[12:13], v[10:11], 1, s[4:5]
	global_load_u16 v1, v[12:13], off
	s_wait_loadcnt 0x0
	v_and_b32_e32 v10, 0x7fff, v1
	v_cmp_u_f16_e64 s2, v1, v1
	s_delay_alu instid0(VALU_DEP_2) | instskip(NEXT) | instid1(VALU_DEP_1)
	v_cvt_f32_f16_e32 v10, v10
	v_cvt_f64_f32_e32 v[12:13], v10
	s_delay_alu instid0(VALU_DEP_1)
	v_cmp_lt_f64_e32 vcc_lo, v[2:3], v[12:13]
	s_or_b32 vcc_lo, s2, vcc_lo
	v_dual_cndmask_b32 v3, v3, v13 :: v_dual_cndmask_b32 v2, v2, v12
.LBB87_6:                               ;   in Loop: Header=BB87_4 Depth=1
	s_or_b32 exec_lo, exec_lo, s11
	v_add_nc_u32_e32 v10, s12, v24
	s_delay_alu instid0(VALU_DEP_1) | instskip(SKIP_2) | instid1(SALU_CYCLE_1)
	v_cmp_gt_i64_e32 vcc_lo, s[6:7], v[10:11]
	v_cmp_gt_u32_e64 s2, 0x10000, v10
	s_and_b32 s2, s2, vcc_lo
	s_and_saveexec_b32 s11, s2
	s_cbranch_execz .LBB87_8
; %bb.7:                                ;   in Loop: Header=BB87_4 Depth=1
	v_lshl_add_u64 v[12:13], v[10:11], 1, s[4:5]
	global_load_u16 v1, v[12:13], off
	s_wait_loadcnt 0x0
	v_and_b32_e32 v10, 0x7fff, v1
	v_cmp_u_f16_e64 s2, v1, v1
	s_delay_alu instid0(VALU_DEP_2) | instskip(NEXT) | instid1(VALU_DEP_1)
	v_cvt_f32_f16_e32 v10, v10
	v_cvt_f64_f32_e32 v[12:13], v10
	s_delay_alu instid0(VALU_DEP_1)
	v_cmp_lt_f64_e32 vcc_lo, v[4:5], v[12:13]
	s_or_b32 vcc_lo, s2, vcc_lo
	v_dual_cndmask_b32 v5, v5, v13 :: v_dual_cndmask_b32 v4, v4, v12
.LBB87_8:                               ;   in Loop: Header=BB87_4 Depth=1
	s_or_b32 exec_lo, exec_lo, s11
	v_add_nc_u32_e32 v10, s12, v22
	s_delay_alu instid0(VALU_DEP_1) | instskip(SKIP_2) | instid1(SALU_CYCLE_1)
	v_cmp_gt_i64_e32 vcc_lo, s[6:7], v[10:11]
	v_cmp_gt_u32_e64 s2, 0x10000, v10
	s_and_b32 s2, s2, vcc_lo
	s_and_saveexec_b32 s11, s2
	s_cbranch_execz .LBB87_10
; %bb.9:                                ;   in Loop: Header=BB87_4 Depth=1
	v_lshl_add_u64 v[12:13], v[10:11], 1, s[4:5]
	global_load_u16 v1, v[12:13], off
	s_wait_loadcnt 0x0
	v_and_b32_e32 v10, 0x7fff, v1
	v_cmp_u_f16_e64 s2, v1, v1
	s_delay_alu instid0(VALU_DEP_2) | instskip(NEXT) | instid1(VALU_DEP_1)
	v_cvt_f32_f16_e32 v10, v10
	v_cvt_f64_f32_e32 v[12:13], v10
	s_delay_alu instid0(VALU_DEP_1)
	v_cmp_lt_f64_e32 vcc_lo, v[6:7], v[12:13]
	s_or_b32 vcc_lo, s2, vcc_lo
	v_dual_cndmask_b32 v7, v7, v13 :: v_dual_cndmask_b32 v6, v6, v12
.LBB87_10:                              ;   in Loop: Header=BB87_4 Depth=1
	s_or_b32 exec_lo, exec_lo, s11
	v_add_nc_u32_e32 v10, s12, v20
	s_delay_alu instid0(VALU_DEP_1) | instskip(SKIP_2) | instid1(SALU_CYCLE_1)
	v_cmp_gt_i64_e32 vcc_lo, s[6:7], v[10:11]
	v_cmp_gt_u32_e64 s2, 0x10000, v10
	s_and_b32 s2, s2, vcc_lo
	s_and_saveexec_b32 s11, s2
	s_cbranch_execz .LBB87_3
; %bb.11:                               ;   in Loop: Header=BB87_4 Depth=1
	v_lshl_add_u64 v[12:13], v[10:11], 1, s[4:5]
	global_load_u16 v1, v[12:13], off
	s_wait_loadcnt 0x0
	v_and_b32_e32 v10, 0x7fff, v1
	v_cmp_u_f16_e64 s2, v1, v1
	s_delay_alu instid0(VALU_DEP_2) | instskip(NEXT) | instid1(VALU_DEP_1)
	v_cvt_f32_f16_e32 v10, v10
	v_cvt_f64_f32_e32 v[12:13], v10
	s_delay_alu instid0(VALU_DEP_1)
	v_cmp_lt_f64_e32 vcc_lo, v[8:9], v[12:13]
	s_or_b32 vcc_lo, s2, vcc_lo
	v_dual_cndmask_b32 v9, v9, v13 :: v_dual_cndmask_b32 v8, v8, v12
	s_branch .LBB87_3
.LBB87_12:
	s_mov_b32 s3, -1
                                        ; implicit-def: $vgpr2_vgpr3_vgpr4_vgpr5_vgpr6_vgpr7_vgpr8_vgpr9
.LBB87_13:
	s_delay_alu instid0(SALU_CYCLE_1)
	s_and_not1_b32 vcc_lo, exec_lo, s3
	s_cbranch_vccnz .LBB87_19
.LBB87_14:
	v_min_i64 v[10:11], 0x10000, s[6:7]
	v_dual_mov_b32 v3, 0 :: v_dual_lshlrev_b32 v2, 2, v0
	s_mov_b32 s13, 0
	s_delay_alu instid0(VALU_DEP_1)
	v_dual_mov_b32 v4, v3 :: v_dual_mov_b32 v5, v3
	v_dual_mov_b32 v6, v3 :: v_dual_mov_b32 v7, v3
	;; [unrolled: 1-line block ×3, first 2 shown]
	v_cmp_lt_i64_e32 vcc_lo, v[2:3], v[10:11]
	v_mov_b32_e32 v2, v3
	s_and_saveexec_b32 s11, vcc_lo
	s_cbranch_execz .LBB87_18
; %bb.15:
	s_load_b32 s2, s[0:1], 0xd4c
	v_dual_mov_b32 v1, v3 :: v_dual_lshlrev_b32 v2, 3, v0
	v_mov_b64_e32 v[4:5], 0
	v_mov_b64_e32 v[6:7], 0
	;; [unrolled: 1-line block ×3, first 2 shown]
	s_delay_alu instid0(VALU_DEP_4) | instskip(SKIP_4) | instid1(VALU_DEP_3)
	v_add_nc_u64_e32 v[12:13], s[4:5], v[2:3]
	v_mov_b64_e32 v[2:3], 0
	v_mov_b64_e32 v[14:15], v[0:1]
	s_mov_b32 s15, s13
	s_mov_b32 s16, s13
	v_add_nc_u64_e32 v[12:13], 4, v[12:13]
	s_wait_kmcnt 0x0
	s_and_b32 s12, s2, 0xffff
	s_delay_alu instid0(SALU_CYCLE_1)
	s_lshl_b32 s14, s12, 3
.LBB87_16:                              ; =>This Inner Loop Header: Depth=1
	global_load_b64 v[16:17], v[12:13], off offset:-4
	v_add_nc_u64_e32 v[14:15], s[12:13], v[14:15]
	s_wait_xcnt 0x0
	v_add_nc_u64_e32 v[12:13], s[14:15], v[12:13]
	s_delay_alu instid0(VALU_DEP_2) | instskip(NEXT) | instid1(VALU_DEP_1)
	v_lshlrev_b64_e32 v[28:29], 2, v[14:15]
	v_cmp_ge_i64_e64 s5, v[28:29], v[10:11]
	s_wait_loadcnt 0x0
	v_and_b32_e32 v1, 0x7fff, v16
	v_dual_lshrrev_b32 v20, 16, v16 :: v_dual_lshrrev_b32 v30, 16, v17
	v_and_b32_e32 v18, 0x7fff, v17
	v_cmp_u_f16_e64 s6, v16, v16
	s_delay_alu instid0(VALU_DEP_4) | instskip(NEXT) | instid1(VALU_DEP_4)
	v_cvt_f32_f16_e32 v1, v1
	v_and_b32_e32 v22, 0x7fff, v20
	v_and_b32_e32 v23, 0x7fff, v30
	v_cvt_f32_f16_e32 v24, v18
	v_cmp_u_f16_e64 s7, v17, v17
	v_cvt_f64_f32_e32 v[18:19], v1
	v_cvt_f32_f16_e32 v1, v22
	v_cvt_f32_f16_e32 v26, v23
	v_cvt_f64_f32_e32 v[22:23], v24
	v_cmp_u_f16_e64 s8, v20, v20
	v_cmp_u_f16_e64 s9, v30, v30
	v_cvt_f64_f32_e32 v[24:25], v1
	v_cvt_f64_f32_e32 v[26:27], v26
	v_cmp_lt_f64_e32 vcc_lo, v[2:3], v[18:19]
	v_cmp_lt_f64_e64 s2, v[6:7], v[22:23]
	s_delay_alu instid0(VALU_DEP_4) | instskip(NEXT) | instid1(VALU_DEP_4)
	v_cmp_lt_f64_e64 s3, v[4:5], v[24:25]
	v_cmp_lt_f64_e64 s4, v[8:9], v[26:27]
	s_or_b32 vcc_lo, s6, vcc_lo
	v_dual_cndmask_b32 v3, v3, v19 :: v_dual_cndmask_b32 v2, v2, v18
	s_or_b32 s2, s7, s2
	s_delay_alu instid0(SALU_CYCLE_1)
	v_dual_cndmask_b32 v7, v7, v23, s2 :: v_dual_cndmask_b32 v6, v6, v22, s2
	s_or_b32 vcc_lo, s8, s3
	s_or_b32 s2, s9, s4
	v_dual_cndmask_b32 v5, v5, v25 :: v_dual_cndmask_b32 v4, v4, v24
	v_dual_cndmask_b32 v9, v9, v27, s2 :: v_dual_cndmask_b32 v8, v8, v26, s2
	s_or_b32 s16, s5, s16
	s_delay_alu instid0(SALU_CYCLE_1)
	s_and_not1_b32 exec_lo, exec_lo, s16
	s_cbranch_execnz .LBB87_16
; %bb.17:
	s_or_b32 exec_lo, exec_lo, s16
.LBB87_18:
	s_delay_alu instid0(SALU_CYCLE_1)
	s_or_b32 exec_lo, exec_lo, s11
.LBB87_19:
	s_delay_alu instid0(VALU_DEP_1) | instskip(SKIP_3) | instid1(VALU_DEP_1)
	v_cmp_nge_f64_e32 vcc_lo, 0, v[2:3]
	v_mbcnt_lo_u32_b32 v10, -1, 0
	s_barrier_signal -1
	s_barrier_wait -1
	v_lshl_or_b32 v1, v10, 2, 64
	v_cmp_gt_u32_e64 s3, 24, v10
	v_dual_cndmask_b32 v3, 0, v3 :: v_dual_cndmask_b32 v2, 0, v2
	v_cmp_u_f64_e32 vcc_lo, v[4:5], v[4:5]
	s_delay_alu instid0(VALU_DEP_2) | instskip(SKIP_3) | instid1(VALU_DEP_2)
	v_cmp_lt_f64_e64 s2, v[2:3], v[4:5]
	s_or_b32 vcc_lo, vcc_lo, s2
	v_dual_cndmask_b32 v3, v3, v5 :: v_dual_cndmask_b32 v2, v2, v4
	v_cmp_u_f64_e32 vcc_lo, v[6:7], v[6:7]
	v_cmp_lt_f64_e64 s2, v[2:3], v[6:7]
	s_or_b32 vcc_lo, vcc_lo, s2
	v_dual_cndmask_b32 v3, v3, v7 :: v_dual_cndmask_b32 v2, v2, v6
	v_cmp_u_f64_e32 vcc_lo, v[8:9], v[8:9]
	v_cndmask_b32_e64 v6, 0, 8, s3
	v_cmp_gt_u32_e64 s3, 28, v10
	s_delay_alu instid0(VALU_DEP_4) | instskip(NEXT) | instid1(VALU_DEP_3)
	v_cmp_lt_f64_e64 s2, v[2:3], v[8:9]
	v_add_lshl_u32 v6, v6, v10, 2
	s_delay_alu instid0(VALU_DEP_3) | instskip(SKIP_1) | instid1(VALU_DEP_2)
	v_cndmask_b32_e64 v7, 0, 4, s3
	v_cmp_gt_u32_e64 s3, 30, v10
	v_add_lshl_u32 v7, v7, v10, 2
	s_or_b32 vcc_lo, vcc_lo, s2
	v_dual_cndmask_b32 v3, v3, v9 :: v_dual_cndmask_b32 v2, v2, v8
	v_cndmask_b32_e64 v8, 0, 2, s3
	v_cmp_ne_u32_e64 s3, 31, v10
	ds_bpermute_b32 v5, v1, v3
	ds_bpermute_b32 v4, v1, v2
	v_add_lshl_u32 v8, v8, v10, 2
	v_add_co_ci_u32_e64 v9, null, 0, v10, s3
	s_mov_b32 s3, exec_lo
	v_and_b32_e32 v10, 31, v0
	s_wait_dscnt 0x0
	v_cmp_u_f64_e32 vcc_lo, v[4:5], v[4:5]
	v_cmp_lt_f64_e64 s2, v[2:3], v[4:5]
	s_or_b32 vcc_lo, vcc_lo, s2
	v_dual_cndmask_b32 v3, v3, v5 :: v_dual_cndmask_b32 v2, v2, v4
	ds_bpermute_b32 v5, v6, v3
	ds_bpermute_b32 v4, v6, v2
	s_wait_dscnt 0x0
	v_cmp_u_f64_e32 vcc_lo, v[4:5], v[4:5]
	v_cmp_lt_f64_e64 s2, v[2:3], v[4:5]
	s_or_b32 vcc_lo, vcc_lo, s2
	v_dual_cndmask_b32 v3, v3, v5 :: v_dual_cndmask_b32 v2, v2, v4
	ds_bpermute_b32 v5, v7, v3
	ds_bpermute_b32 v4, v7, v2
	s_wait_dscnt 0x0
	v_cmp_u_f64_e32 vcc_lo, v[4:5], v[4:5]
	v_cmp_lt_f64_e64 s2, v[2:3], v[4:5]
	s_or_b32 vcc_lo, vcc_lo, s2
	v_dual_cndmask_b32 v3, v3, v5 :: v_dual_cndmask_b32 v2, v2, v4
	ds_bpermute_b32 v5, v8, v3
	ds_bpermute_b32 v4, v8, v2
	s_wait_dscnt 0x0
	v_cmp_u_f64_e32 vcc_lo, v[4:5], v[4:5]
	v_cmp_lt_f64_e64 s2, v[2:3], v[4:5]
	s_or_b32 vcc_lo, vcc_lo, s2
	v_dual_cndmask_b32 v2, v2, v4 :: v_dual_lshlrev_b32 v9, 2, v9
	v_cndmask_b32_e32 v3, v3, v5, vcc_lo
	ds_bpermute_b32 v4, v9, v2
	ds_bpermute_b32 v5, v9, v3
	v_cmpx_eq_u32_e32 0, v10
	s_cbranch_execz .LBB87_21
; %bb.20:
	s_wait_dscnt 0x0
	v_cmp_u_f64_e32 vcc_lo, v[4:5], v[4:5]
	v_cmp_lt_f64_e64 s2, v[2:3], v[4:5]
	s_or_b32 vcc_lo, vcc_lo, s2
	s_delay_alu instid0(SALU_CYCLE_1)
	v_dual_lshrrev_b32 v11, 2, v0 :: v_dual_cndmask_b32 v3, v3, v5, vcc_lo
	v_cndmask_b32_e32 v2, v2, v4, vcc_lo
	ds_store_b64 v11, v[2:3]
.LBB87_21:
	s_or_b32 exec_lo, exec_lo, s3
	s_wait_dscnt 0x0
	s_barrier_signal -1
	s_barrier_wait -1
	s_load_b32 s2, s[0:1], 0xd4c
	v_mov_b64_e32 v[2:3], 0xffefffffffffffff
	s_wait_kmcnt 0x0
	s_bfe_u32 s2, s2, 0xb0005
	s_delay_alu instid0(SALU_CYCLE_1)
	v_cmp_gt_u32_e32 vcc_lo, s2, v0
	s_and_saveexec_b32 s2, vcc_lo
; %bb.22:
	v_lshlrev_b32_e32 v2, 3, v10
	ds_load_b64 v[2:3], v2
; %bb.23:
	s_or_b32 exec_lo, exec_lo, s2
	s_delay_alu instid0(SALU_CYCLE_1)
	s_mov_b32 s3, exec_lo
	v_cmpx_gt_u32_e32 32, v0
	s_cbranch_execz .LBB87_25
; %bb.24:
	s_wait_dscnt 0x0
	ds_bpermute_b32 v4, v1, v2
	ds_bpermute_b32 v5, v1, v3
	s_wait_dscnt 0x0
	v_cmp_u_f64_e32 vcc_lo, v[4:5], v[4:5]
	v_cmp_lt_f64_e64 s2, v[2:3], v[4:5]
	s_or_b32 vcc_lo, vcc_lo, s2
	v_dual_cndmask_b32 v3, v3, v5 :: v_dual_cndmask_b32 v2, v2, v4
	ds_bpermute_b32 v5, v6, v3
	ds_bpermute_b32 v4, v6, v2
	s_wait_dscnt 0x0
	v_cmp_u_f64_e32 vcc_lo, v[4:5], v[4:5]
	v_cmp_lt_f64_e64 s2, v[2:3], v[4:5]
	s_or_b32 vcc_lo, vcc_lo, s2
	v_dual_cndmask_b32 v3, v3, v5 :: v_dual_cndmask_b32 v2, v2, v4
	;; [unrolled: 7-line block ×5, first 2 shown]
.LBB87_25:
	s_or_b32 exec_lo, exec_lo, s3
	s_delay_alu instid0(SALU_CYCLE_1)
	s_mov_b32 s2, exec_lo
	v_cmpx_eq_u32_e32 0, v0
	s_cbranch_execz .LBB87_27
; %bb.26:
	s_clause 0x1
	s_load_b32 s2, s[0:1], 0xd20
	s_load_b96 s[4:6], s[0:1], 0xd30
	v_and_b32_e32 v0, 0xff, v21
	s_wait_kmcnt 0x0
	s_delay_alu instid0(VALU_DEP_1) | instskip(NEXT) | instid1(VALU_DEP_1)
	v_add_nc_u32_e32 v0, s2, v0
	v_mul_lo_u32 v0, v0, s6
	s_delay_alu instid0(VALU_DEP_1)
	v_add_nc_u32_e32 v0, s10, v0
	s_wait_dscnt 0x0
	global_store_b64 v0, v[2:3], s[4:5] scale_offset
.LBB87_27:
	s_endpgm
.LBB87_28:
	v_mov_b32_e32 v2, 0
	s_delay_alu instid0(VALU_DEP_1)
	v_dual_mov_b32 v3, v2 :: v_dual_mov_b32 v4, v2
	v_dual_mov_b32 v5, v2 :: v_dual_mov_b32 v6, v2
	;; [unrolled: 1-line block ×3, first 2 shown]
	v_mov_b32_e32 v9, v2
	s_and_not1_b32 vcc_lo, exec_lo, s3
	s_cbranch_vccz .LBB87_14
	s_branch .LBB87_19
	.section	.rodata,"a",@progbits
	.p2align	6, 0x0
	.amdhsa_kernel _ZN2at6native12_GLOBAL__N_125multi_tensor_apply_kernelINS1_18TensorListMetadataILi1EEENS0_13LpNormFunctorIN3c104HalfELNS0_8NormTypeE3EdLi1ELi1ELi0EEEJPdiEEEvT_T0_DpT1_
		.amdhsa_group_segment_fixed_size 4096
		.amdhsa_private_segment_fixed_size 0
		.amdhsa_kernarg_size 3648
		.amdhsa_user_sgpr_count 2
		.amdhsa_user_sgpr_dispatch_ptr 0
		.amdhsa_user_sgpr_queue_ptr 0
		.amdhsa_user_sgpr_kernarg_segment_ptr 1
		.amdhsa_user_sgpr_dispatch_id 0
		.amdhsa_user_sgpr_kernarg_preload_length 0
		.amdhsa_user_sgpr_kernarg_preload_offset 0
		.amdhsa_user_sgpr_private_segment_size 0
		.amdhsa_wavefront_size32 1
		.amdhsa_uses_dynamic_stack 0
		.amdhsa_enable_private_segment 0
		.amdhsa_system_sgpr_workgroup_id_x 1
		.amdhsa_system_sgpr_workgroup_id_y 0
		.amdhsa_system_sgpr_workgroup_id_z 0
		.amdhsa_system_sgpr_workgroup_info 0
		.amdhsa_system_vgpr_workitem_id 0
		.amdhsa_next_free_vgpr 31
		.amdhsa_next_free_sgpr 17
		.amdhsa_named_barrier_count 0
		.amdhsa_reserve_vcc 1
		.amdhsa_float_round_mode_32 0
		.amdhsa_float_round_mode_16_64 0
		.amdhsa_float_denorm_mode_32 3
		.amdhsa_float_denorm_mode_16_64 3
		.amdhsa_fp16_overflow 0
		.amdhsa_memory_ordered 1
		.amdhsa_forward_progress 1
		.amdhsa_inst_pref_size 17
		.amdhsa_round_robin_scheduling 0
		.amdhsa_exception_fp_ieee_invalid_op 0
		.amdhsa_exception_fp_denorm_src 0
		.amdhsa_exception_fp_ieee_div_zero 0
		.amdhsa_exception_fp_ieee_overflow 0
		.amdhsa_exception_fp_ieee_underflow 0
		.amdhsa_exception_fp_ieee_inexact 0
		.amdhsa_exception_int_div_zero 0
	.end_amdhsa_kernel
	.section	.text._ZN2at6native12_GLOBAL__N_125multi_tensor_apply_kernelINS1_18TensorListMetadataILi1EEENS0_13LpNormFunctorIN3c104HalfELNS0_8NormTypeE3EdLi1ELi1ELi0EEEJPdiEEEvT_T0_DpT1_,"axG",@progbits,_ZN2at6native12_GLOBAL__N_125multi_tensor_apply_kernelINS1_18TensorListMetadataILi1EEENS0_13LpNormFunctorIN3c104HalfELNS0_8NormTypeE3EdLi1ELi1ELi0EEEJPdiEEEvT_T0_DpT1_,comdat
.Lfunc_end87:
	.size	_ZN2at6native12_GLOBAL__N_125multi_tensor_apply_kernelINS1_18TensorListMetadataILi1EEENS0_13LpNormFunctorIN3c104HalfELNS0_8NormTypeE3EdLi1ELi1ELi0EEEJPdiEEEvT_T0_DpT1_, .Lfunc_end87-_ZN2at6native12_GLOBAL__N_125multi_tensor_apply_kernelINS1_18TensorListMetadataILi1EEENS0_13LpNormFunctorIN3c104HalfELNS0_8NormTypeE3EdLi1ELi1ELi0EEEJPdiEEEvT_T0_DpT1_
                                        ; -- End function
	.set _ZN2at6native12_GLOBAL__N_125multi_tensor_apply_kernelINS1_18TensorListMetadataILi1EEENS0_13LpNormFunctorIN3c104HalfELNS0_8NormTypeE3EdLi1ELi1ELi0EEEJPdiEEEvT_T0_DpT1_.num_vgpr, 31
	.set _ZN2at6native12_GLOBAL__N_125multi_tensor_apply_kernelINS1_18TensorListMetadataILi1EEENS0_13LpNormFunctorIN3c104HalfELNS0_8NormTypeE3EdLi1ELi1ELi0EEEJPdiEEEvT_T0_DpT1_.num_agpr, 0
	.set _ZN2at6native12_GLOBAL__N_125multi_tensor_apply_kernelINS1_18TensorListMetadataILi1EEENS0_13LpNormFunctorIN3c104HalfELNS0_8NormTypeE3EdLi1ELi1ELi0EEEJPdiEEEvT_T0_DpT1_.numbered_sgpr, 17
	.set _ZN2at6native12_GLOBAL__N_125multi_tensor_apply_kernelINS1_18TensorListMetadataILi1EEENS0_13LpNormFunctorIN3c104HalfELNS0_8NormTypeE3EdLi1ELi1ELi0EEEJPdiEEEvT_T0_DpT1_.num_named_barrier, 0
	.set _ZN2at6native12_GLOBAL__N_125multi_tensor_apply_kernelINS1_18TensorListMetadataILi1EEENS0_13LpNormFunctorIN3c104HalfELNS0_8NormTypeE3EdLi1ELi1ELi0EEEJPdiEEEvT_T0_DpT1_.private_seg_size, 0
	.set _ZN2at6native12_GLOBAL__N_125multi_tensor_apply_kernelINS1_18TensorListMetadataILi1EEENS0_13LpNormFunctorIN3c104HalfELNS0_8NormTypeE3EdLi1ELi1ELi0EEEJPdiEEEvT_T0_DpT1_.uses_vcc, 1
	.set _ZN2at6native12_GLOBAL__N_125multi_tensor_apply_kernelINS1_18TensorListMetadataILi1EEENS0_13LpNormFunctorIN3c104HalfELNS0_8NormTypeE3EdLi1ELi1ELi0EEEJPdiEEEvT_T0_DpT1_.uses_flat_scratch, 0
	.set _ZN2at6native12_GLOBAL__N_125multi_tensor_apply_kernelINS1_18TensorListMetadataILi1EEENS0_13LpNormFunctorIN3c104HalfELNS0_8NormTypeE3EdLi1ELi1ELi0EEEJPdiEEEvT_T0_DpT1_.has_dyn_sized_stack, 0
	.set _ZN2at6native12_GLOBAL__N_125multi_tensor_apply_kernelINS1_18TensorListMetadataILi1EEENS0_13LpNormFunctorIN3c104HalfELNS0_8NormTypeE3EdLi1ELi1ELi0EEEJPdiEEEvT_T0_DpT1_.has_recursion, 0
	.set _ZN2at6native12_GLOBAL__N_125multi_tensor_apply_kernelINS1_18TensorListMetadataILi1EEENS0_13LpNormFunctorIN3c104HalfELNS0_8NormTypeE3EdLi1ELi1ELi0EEEJPdiEEEvT_T0_DpT1_.has_indirect_call, 0
	.section	.AMDGPU.csdata,"",@progbits
; Kernel info:
; codeLenInByte = 2156
; TotalNumSgprs: 19
; NumVgprs: 31
; ScratchSize: 0
; MemoryBound: 0
; FloatMode: 240
; IeeeMode: 1
; LDSByteSize: 4096 bytes/workgroup (compile time only)
; SGPRBlocks: 0
; VGPRBlocks: 1
; NumSGPRsForWavesPerEU: 19
; NumVGPRsForWavesPerEU: 31
; NamedBarCnt: 0
; Occupancy: 16
; WaveLimiterHint : 0
; COMPUTE_PGM_RSRC2:SCRATCH_EN: 0
; COMPUTE_PGM_RSRC2:USER_SGPR: 2
; COMPUTE_PGM_RSRC2:TRAP_HANDLER: 0
; COMPUTE_PGM_RSRC2:TGID_X_EN: 1
; COMPUTE_PGM_RSRC2:TGID_Y_EN: 0
; COMPUTE_PGM_RSRC2:TGID_Z_EN: 0
; COMPUTE_PGM_RSRC2:TIDIG_COMP_CNT: 0
	.section	.text._ZN2at6native14lpnorm_cleanupIN3c104HalfELNS0_8NormTypeE0EdLb1EdEEvPKT3_NS0_19TensorListAddressesEi,"axG",@progbits,_ZN2at6native14lpnorm_cleanupIN3c104HalfELNS0_8NormTypeE0EdLb1EdEEvPKT3_NS0_19TensorListAddressesEi,comdat
	.protected	_ZN2at6native14lpnorm_cleanupIN3c104HalfELNS0_8NormTypeE0EdLb1EdEEvPKT3_NS0_19TensorListAddressesEi ; -- Begin function _ZN2at6native14lpnorm_cleanupIN3c104HalfELNS0_8NormTypeE0EdLb1EdEEvPKT3_NS0_19TensorListAddressesEi
	.globl	_ZN2at6native14lpnorm_cleanupIN3c104HalfELNS0_8NormTypeE0EdLb1EdEEvPKT3_NS0_19TensorListAddressesEi
	.p2align	8
	.type	_ZN2at6native14lpnorm_cleanupIN3c104HalfELNS0_8NormTypeE0EdLb1EdEEvPKT3_NS0_19TensorListAddressesEi,@function
_ZN2at6native14lpnorm_cleanupIN3c104HalfELNS0_8NormTypeE0EdLb1EdEEvPKT3_NS0_19TensorListAddressesEi: ; @_ZN2at6native14lpnorm_cleanupIN3c104HalfELNS0_8NormTypeE0EdLb1EdEEvPKT3_NS0_19TensorListAddressesEi
; %bb.0:
	s_load_b32 s2, s[0:1], 0xc88
	s_bfe_u32 s3, ttmp6, 0x4000c
	s_and_b32 s4, ttmp6, 15
	s_add_co_i32 s3, s3, 1
	v_mov_b64_e32 v[2:3], 0
	s_mul_i32 s3, ttmp9, s3
	s_mov_b32 s5, 0
	s_add_co_i32 s4, s4, s3
	s_getreg_b32 s3, hwreg(HW_REG_IB_STS2, 6, 4)
	s_mov_b32 s9, exec_lo
	s_cmp_eq_u32 s3, 0
	s_cselect_b32 s8, ttmp9, s4
	s_wait_kmcnt 0x0
	v_cmpx_gt_u32_e64 s2, v0
	s_cbranch_execz .LBB88_4
; %bb.1:
	s_clause 0x1
	s_load_b64 s[6:7], s[0:1], 0x0
	s_load_b32 s4, s[0:1], 0xc9c
	v_dual_mov_b32 v1, 0 :: v_dual_lshlrev_b32 v2, 3, v0
	s_mul_i32 s10, s2, s8
	s_mov_b32 s11, s5
	s_ashr_i32 s3, s2, 31
	s_delay_alu instid0(VALU_DEP_1)
	v_mov_b32_e32 v3, v1
	s_lshl_b64 s[10:11], s[10:11], 3
	v_mov_b64_e32 v[6:7], v[0:1]
	s_wait_kmcnt 0x0
	s_add_nc_u64 s[6:7], s[6:7], s[10:11]
	s_and_b32 s4, s4, 0xffff
	v_add_nc_u64_e32 v[4:5], s[6:7], v[2:3]
	v_mov_b64_e32 v[2:3], 0
	s_lshl_b32 s6, s4, 3
	s_mov_b32 s7, s5
	s_mov_b32 s10, s5
.LBB88_2:                               ; =>This Inner Loop Header: Depth=1
	global_load_b64 v[8:9], v[4:5], off
	v_add_nc_u64_e32 v[6:7], s[4:5], v[6:7]
	s_wait_xcnt 0x0
	v_add_nc_u64_e32 v[4:5], s[6:7], v[4:5]
	s_delay_alu instid0(VALU_DEP_2)
	v_cmp_le_u64_e32 vcc_lo, s[2:3], v[6:7]
	s_or_b32 s10, vcc_lo, s10
	s_wait_loadcnt 0x0
	v_add_f64_e32 v[2:3], v[2:3], v[8:9]
	s_and_not1_b32 exec_lo, exec_lo, s10
	s_cbranch_execnz .LBB88_2
; %bb.3:
	s_or_b32 exec_lo, exec_lo, s10
.LBB88_4:
	s_delay_alu instid0(SALU_CYCLE_1) | instskip(SKIP_4) | instid1(VALU_DEP_2)
	s_or_b32 exec_lo, exec_lo, s9
	v_mbcnt_lo_u32_b32 v9, -1, 0
	v_and_b32_e32 v10, 31, v0
	s_mov_b32 s2, exec_lo
	s_barrier_signal -1
	v_lshl_or_b32 v1, v9, 2, 64
	v_cmp_gt_u32_e32 vcc_lo, 24, v9
	s_barrier_wait -1
	ds_bpermute_b32 v4, v1, v2
	ds_bpermute_b32 v5, v1, v3
	s_wait_dscnt 0x0
	v_add_f64_e32 v[2:3], v[2:3], v[4:5]
	v_cndmask_b32_e64 v4, 0, 8, vcc_lo
	v_cmp_gt_u32_e32 vcc_lo, 28, v9
	s_delay_alu instid0(VALU_DEP_2)
	v_add_lshl_u32 v6, v4, v9, 2
	ds_bpermute_b32 v4, v6, v2
	ds_bpermute_b32 v5, v6, v3
	s_wait_dscnt 0x0
	v_add_f64_e32 v[2:3], v[2:3], v[4:5]
	v_cndmask_b32_e64 v4, 0, 4, vcc_lo
	v_cmp_gt_u32_e32 vcc_lo, 30, v9
	s_delay_alu instid0(VALU_DEP_2)
	v_add_lshl_u32 v7, v4, v9, 2
	ds_bpermute_b32 v4, v7, v2
	ds_bpermute_b32 v5, v7, v3
	s_wait_dscnt 0x0
	v_add_f64_e32 v[2:3], v[2:3], v[4:5]
	v_cndmask_b32_e64 v4, 0, 2, vcc_lo
	v_cmp_ne_u32_e32 vcc_lo, 31, v9
	s_delay_alu instid0(VALU_DEP_2)
	v_add_lshl_u32 v8, v4, v9, 2
	ds_bpermute_b32 v4, v8, v2
	ds_bpermute_b32 v5, v8, v3
	s_wait_dscnt 0x0
	v_add_f64_e32 v[2:3], v[2:3], v[4:5]
	v_add_co_ci_u32_e64 v4, null, 0, v9, vcc_lo
	s_delay_alu instid0(VALU_DEP_1)
	v_lshlrev_b32_e32 v9, 2, v4
	ds_bpermute_b32 v4, v9, v2
	ds_bpermute_b32 v5, v9, v3
	v_cmpx_eq_u32_e32 0, v10
	s_cbranch_execz .LBB88_6
; %bb.5:
	s_wait_dscnt 0x0
	v_add_f64_e32 v[2:3], v[2:3], v[4:5]
	v_lshrrev_b32_e32 v4, 2, v0
	ds_store_b64 v4, v[2:3]
.LBB88_6:
	s_or_b32 exec_lo, exec_lo, s2
	s_wait_dscnt 0x0
	s_barrier_signal -1
	s_barrier_wait -1
	s_load_b32 s2, s[0:1], 0xc9c
	v_mov_b64_e32 v[2:3], 0
	s_wait_kmcnt 0x0
	s_bfe_u32 s2, s2, 0xb0005
	s_delay_alu instid0(SALU_CYCLE_1)
	v_cmp_gt_u32_e32 vcc_lo, s2, v0
	s_and_saveexec_b32 s2, vcc_lo
; %bb.7:
	v_lshlrev_b32_e32 v2, 3, v10
	ds_load_b64 v[2:3], v2
; %bb.8:
	s_or_b32 exec_lo, exec_lo, s2
	s_delay_alu instid0(SALU_CYCLE_1)
	s_mov_b32 s2, exec_lo
	v_cmpx_gt_u32_e32 32, v0
	s_cbranch_execz .LBB88_10
; %bb.9:
	s_wait_dscnt 0x0
	ds_bpermute_b32 v4, v1, v2
	ds_bpermute_b32 v5, v1, v3
	s_wait_dscnt 0x0
	v_add_f64_e32 v[2:3], v[2:3], v[4:5]
	ds_bpermute_b32 v4, v6, v2
	ds_bpermute_b32 v5, v6, v3
	s_wait_dscnt 0x0
	v_add_f64_e32 v[2:3], v[2:3], v[4:5]
	;; [unrolled: 4-line block ×5, first 2 shown]
.LBB88_10:
	s_or_b32 exec_lo, exec_lo, s2
	s_delay_alu instid0(SALU_CYCLE_1)
	s_mov_b32 s2, exec_lo
	v_cmpx_eq_u32_e32 0, v0
	s_cbranch_execz .LBB88_12
; %bb.11:
	s_load_b64 s[0:1], s[0:1], s8 offset:0x8 scale_offset
	v_mov_b32_e32 v0, 0
	s_wait_dscnt 0x0
	s_wait_kmcnt 0x0
	global_store_b64 v0, v[2:3], s[0:1]
.LBB88_12:
	s_endpgm
	.section	.rodata,"a",@progbits
	.p2align	6, 0x0
	.amdhsa_kernel _ZN2at6native14lpnorm_cleanupIN3c104HalfELNS0_8NormTypeE0EdLb1EdEEvPKT3_NS0_19TensorListAddressesEi
		.amdhsa_group_segment_fixed_size 4096
		.amdhsa_private_segment_fixed_size 0
		.amdhsa_kernarg_size 3472
		.amdhsa_user_sgpr_count 2
		.amdhsa_user_sgpr_dispatch_ptr 0
		.amdhsa_user_sgpr_queue_ptr 0
		.amdhsa_user_sgpr_kernarg_segment_ptr 1
		.amdhsa_user_sgpr_dispatch_id 0
		.amdhsa_user_sgpr_kernarg_preload_length 0
		.amdhsa_user_sgpr_kernarg_preload_offset 0
		.amdhsa_user_sgpr_private_segment_size 0
		.amdhsa_wavefront_size32 1
		.amdhsa_uses_dynamic_stack 0
		.amdhsa_enable_private_segment 0
		.amdhsa_system_sgpr_workgroup_id_x 1
		.amdhsa_system_sgpr_workgroup_id_y 0
		.amdhsa_system_sgpr_workgroup_id_z 0
		.amdhsa_system_sgpr_workgroup_info 0
		.amdhsa_system_vgpr_workitem_id 0
		.amdhsa_next_free_vgpr 11
		.amdhsa_next_free_sgpr 12
		.amdhsa_named_barrier_count 0
		.amdhsa_reserve_vcc 1
		.amdhsa_float_round_mode_32 0
		.amdhsa_float_round_mode_16_64 0
		.amdhsa_float_denorm_mode_32 3
		.amdhsa_float_denorm_mode_16_64 3
		.amdhsa_fp16_overflow 0
		.amdhsa_memory_ordered 1
		.amdhsa_forward_progress 1
		.amdhsa_inst_pref_size 6
		.amdhsa_round_robin_scheduling 0
		.amdhsa_exception_fp_ieee_invalid_op 0
		.amdhsa_exception_fp_denorm_src 0
		.amdhsa_exception_fp_ieee_div_zero 0
		.amdhsa_exception_fp_ieee_overflow 0
		.amdhsa_exception_fp_ieee_underflow 0
		.amdhsa_exception_fp_ieee_inexact 0
		.amdhsa_exception_int_div_zero 0
	.end_amdhsa_kernel
	.section	.text._ZN2at6native14lpnorm_cleanupIN3c104HalfELNS0_8NormTypeE0EdLb1EdEEvPKT3_NS0_19TensorListAddressesEi,"axG",@progbits,_ZN2at6native14lpnorm_cleanupIN3c104HalfELNS0_8NormTypeE0EdLb1EdEEvPKT3_NS0_19TensorListAddressesEi,comdat
.Lfunc_end88:
	.size	_ZN2at6native14lpnorm_cleanupIN3c104HalfELNS0_8NormTypeE0EdLb1EdEEvPKT3_NS0_19TensorListAddressesEi, .Lfunc_end88-_ZN2at6native14lpnorm_cleanupIN3c104HalfELNS0_8NormTypeE0EdLb1EdEEvPKT3_NS0_19TensorListAddressesEi
                                        ; -- End function
	.set _ZN2at6native14lpnorm_cleanupIN3c104HalfELNS0_8NormTypeE0EdLb1EdEEvPKT3_NS0_19TensorListAddressesEi.num_vgpr, 11
	.set _ZN2at6native14lpnorm_cleanupIN3c104HalfELNS0_8NormTypeE0EdLb1EdEEvPKT3_NS0_19TensorListAddressesEi.num_agpr, 0
	.set _ZN2at6native14lpnorm_cleanupIN3c104HalfELNS0_8NormTypeE0EdLb1EdEEvPKT3_NS0_19TensorListAddressesEi.numbered_sgpr, 12
	.set _ZN2at6native14lpnorm_cleanupIN3c104HalfELNS0_8NormTypeE0EdLb1EdEEvPKT3_NS0_19TensorListAddressesEi.num_named_barrier, 0
	.set _ZN2at6native14lpnorm_cleanupIN3c104HalfELNS0_8NormTypeE0EdLb1EdEEvPKT3_NS0_19TensorListAddressesEi.private_seg_size, 0
	.set _ZN2at6native14lpnorm_cleanupIN3c104HalfELNS0_8NormTypeE0EdLb1EdEEvPKT3_NS0_19TensorListAddressesEi.uses_vcc, 1
	.set _ZN2at6native14lpnorm_cleanupIN3c104HalfELNS0_8NormTypeE0EdLb1EdEEvPKT3_NS0_19TensorListAddressesEi.uses_flat_scratch, 0
	.set _ZN2at6native14lpnorm_cleanupIN3c104HalfELNS0_8NormTypeE0EdLb1EdEEvPKT3_NS0_19TensorListAddressesEi.has_dyn_sized_stack, 0
	.set _ZN2at6native14lpnorm_cleanupIN3c104HalfELNS0_8NormTypeE0EdLb1EdEEvPKT3_NS0_19TensorListAddressesEi.has_recursion, 0
	.set _ZN2at6native14lpnorm_cleanupIN3c104HalfELNS0_8NormTypeE0EdLb1EdEEvPKT3_NS0_19TensorListAddressesEi.has_indirect_call, 0
	.section	.AMDGPU.csdata,"",@progbits
; Kernel info:
; codeLenInByte = 756
; TotalNumSgprs: 14
; NumVgprs: 11
; ScratchSize: 0
; MemoryBound: 0
; FloatMode: 240
; IeeeMode: 1
; LDSByteSize: 4096 bytes/workgroup (compile time only)
; SGPRBlocks: 0
; VGPRBlocks: 0
; NumSGPRsForWavesPerEU: 14
; NumVGPRsForWavesPerEU: 11
; NamedBarCnt: 0
; Occupancy: 16
; WaveLimiterHint : 0
; COMPUTE_PGM_RSRC2:SCRATCH_EN: 0
; COMPUTE_PGM_RSRC2:USER_SGPR: 2
; COMPUTE_PGM_RSRC2:TRAP_HANDLER: 0
; COMPUTE_PGM_RSRC2:TGID_X_EN: 1
; COMPUTE_PGM_RSRC2:TGID_Y_EN: 0
; COMPUTE_PGM_RSRC2:TGID_Z_EN: 0
; COMPUTE_PGM_RSRC2:TIDIG_COMP_CNT: 0
	.section	.text._ZN2at6native14lpnorm_cleanupIN3c104HalfELNS0_8NormTypeE1EdLb1EdEEvPKT3_NS0_19TensorListAddressesEi,"axG",@progbits,_ZN2at6native14lpnorm_cleanupIN3c104HalfELNS0_8NormTypeE1EdLb1EdEEvPKT3_NS0_19TensorListAddressesEi,comdat
	.protected	_ZN2at6native14lpnorm_cleanupIN3c104HalfELNS0_8NormTypeE1EdLb1EdEEvPKT3_NS0_19TensorListAddressesEi ; -- Begin function _ZN2at6native14lpnorm_cleanupIN3c104HalfELNS0_8NormTypeE1EdLb1EdEEvPKT3_NS0_19TensorListAddressesEi
	.globl	_ZN2at6native14lpnorm_cleanupIN3c104HalfELNS0_8NormTypeE1EdLb1EdEEvPKT3_NS0_19TensorListAddressesEi
	.p2align	8
	.type	_ZN2at6native14lpnorm_cleanupIN3c104HalfELNS0_8NormTypeE1EdLb1EdEEvPKT3_NS0_19TensorListAddressesEi,@function
_ZN2at6native14lpnorm_cleanupIN3c104HalfELNS0_8NormTypeE1EdLb1EdEEvPKT3_NS0_19TensorListAddressesEi: ; @_ZN2at6native14lpnorm_cleanupIN3c104HalfELNS0_8NormTypeE1EdLb1EdEEvPKT3_NS0_19TensorListAddressesEi
; %bb.0:
	s_load_b32 s2, s[0:1], 0xc88
	s_bfe_u32 s3, ttmp6, 0x4000c
	s_and_b32 s4, ttmp6, 15
	s_add_co_i32 s3, s3, 1
	v_mov_b64_e32 v[2:3], 0
	s_mul_i32 s3, ttmp9, s3
	s_mov_b32 s5, 0
	s_add_co_i32 s4, s4, s3
	s_getreg_b32 s3, hwreg(HW_REG_IB_STS2, 6, 4)
	s_mov_b32 s9, exec_lo
	s_cmp_eq_u32 s3, 0
	s_cselect_b32 s8, ttmp9, s4
	s_wait_kmcnt 0x0
	v_cmpx_gt_u32_e64 s2, v0
	s_cbranch_execz .LBB89_4
; %bb.1:
	s_clause 0x1
	s_load_b64 s[6:7], s[0:1], 0x0
	s_load_b32 s4, s[0:1], 0xc9c
	v_dual_mov_b32 v1, 0 :: v_dual_lshlrev_b32 v2, 3, v0
	s_mul_i32 s10, s2, s8
	s_mov_b32 s11, s5
	s_ashr_i32 s3, s2, 31
	s_delay_alu instid0(VALU_DEP_1)
	v_mov_b32_e32 v3, v1
	s_lshl_b64 s[10:11], s[10:11], 3
	v_mov_b64_e32 v[6:7], v[0:1]
	s_wait_kmcnt 0x0
	s_add_nc_u64 s[6:7], s[6:7], s[10:11]
	s_and_b32 s4, s4, 0xffff
	v_add_nc_u64_e32 v[4:5], s[6:7], v[2:3]
	v_mov_b64_e32 v[2:3], 0
	s_lshl_b32 s6, s4, 3
	s_mov_b32 s7, s5
	s_mov_b32 s10, s5
.LBB89_2:                               ; =>This Inner Loop Header: Depth=1
	global_load_b64 v[8:9], v[4:5], off
	v_add_nc_u64_e32 v[6:7], s[4:5], v[6:7]
	s_wait_xcnt 0x0
	v_add_nc_u64_e32 v[4:5], s[6:7], v[4:5]
	s_delay_alu instid0(VALU_DEP_2)
	v_cmp_le_u64_e32 vcc_lo, s[2:3], v[6:7]
	s_or_b32 s10, vcc_lo, s10
	s_wait_loadcnt 0x0
	v_add_f64_e32 v[2:3], v[2:3], v[8:9]
	s_and_not1_b32 exec_lo, exec_lo, s10
	s_cbranch_execnz .LBB89_2
; %bb.3:
	s_or_b32 exec_lo, exec_lo, s10
.LBB89_4:
	s_delay_alu instid0(SALU_CYCLE_1) | instskip(SKIP_4) | instid1(VALU_DEP_2)
	s_or_b32 exec_lo, exec_lo, s9
	v_mbcnt_lo_u32_b32 v9, -1, 0
	v_and_b32_e32 v10, 31, v0
	s_mov_b32 s2, exec_lo
	s_barrier_signal -1
	v_lshl_or_b32 v1, v9, 2, 64
	v_cmp_gt_u32_e32 vcc_lo, 24, v9
	s_barrier_wait -1
	ds_bpermute_b32 v4, v1, v2
	ds_bpermute_b32 v5, v1, v3
	s_wait_dscnt 0x0
	v_add_f64_e32 v[2:3], v[2:3], v[4:5]
	v_cndmask_b32_e64 v4, 0, 8, vcc_lo
	v_cmp_gt_u32_e32 vcc_lo, 28, v9
	s_delay_alu instid0(VALU_DEP_2)
	v_add_lshl_u32 v6, v4, v9, 2
	ds_bpermute_b32 v4, v6, v2
	ds_bpermute_b32 v5, v6, v3
	s_wait_dscnt 0x0
	v_add_f64_e32 v[2:3], v[2:3], v[4:5]
	v_cndmask_b32_e64 v4, 0, 4, vcc_lo
	v_cmp_gt_u32_e32 vcc_lo, 30, v9
	s_delay_alu instid0(VALU_DEP_2)
	v_add_lshl_u32 v7, v4, v9, 2
	ds_bpermute_b32 v4, v7, v2
	ds_bpermute_b32 v5, v7, v3
	s_wait_dscnt 0x0
	v_add_f64_e32 v[2:3], v[2:3], v[4:5]
	v_cndmask_b32_e64 v4, 0, 2, vcc_lo
	v_cmp_ne_u32_e32 vcc_lo, 31, v9
	s_delay_alu instid0(VALU_DEP_2)
	v_add_lshl_u32 v8, v4, v9, 2
	ds_bpermute_b32 v4, v8, v2
	ds_bpermute_b32 v5, v8, v3
	s_wait_dscnt 0x0
	v_add_f64_e32 v[2:3], v[2:3], v[4:5]
	v_add_co_ci_u32_e64 v4, null, 0, v9, vcc_lo
	s_delay_alu instid0(VALU_DEP_1)
	v_lshlrev_b32_e32 v9, 2, v4
	ds_bpermute_b32 v4, v9, v2
	ds_bpermute_b32 v5, v9, v3
	v_cmpx_eq_u32_e32 0, v10
	s_cbranch_execz .LBB89_6
; %bb.5:
	s_wait_dscnt 0x0
	v_add_f64_e32 v[2:3], v[2:3], v[4:5]
	v_lshrrev_b32_e32 v4, 2, v0
	ds_store_b64 v4, v[2:3]
.LBB89_6:
	s_or_b32 exec_lo, exec_lo, s2
	s_wait_dscnt 0x0
	s_barrier_signal -1
	s_barrier_wait -1
	s_load_b32 s2, s[0:1], 0xc9c
	v_mov_b64_e32 v[2:3], 0
	s_wait_kmcnt 0x0
	s_bfe_u32 s2, s2, 0xb0005
	s_delay_alu instid0(SALU_CYCLE_1)
	v_cmp_gt_u32_e32 vcc_lo, s2, v0
	s_and_saveexec_b32 s2, vcc_lo
; %bb.7:
	v_lshlrev_b32_e32 v2, 3, v10
	ds_load_b64 v[2:3], v2
; %bb.8:
	s_or_b32 exec_lo, exec_lo, s2
	s_delay_alu instid0(SALU_CYCLE_1)
	s_mov_b32 s2, exec_lo
	v_cmpx_gt_u32_e32 32, v0
	s_cbranch_execz .LBB89_10
; %bb.9:
	s_wait_dscnt 0x0
	ds_bpermute_b32 v4, v1, v2
	ds_bpermute_b32 v5, v1, v3
	s_wait_dscnt 0x0
	v_add_f64_e32 v[2:3], v[2:3], v[4:5]
	ds_bpermute_b32 v4, v6, v2
	ds_bpermute_b32 v5, v6, v3
	s_wait_dscnt 0x0
	v_add_f64_e32 v[2:3], v[2:3], v[4:5]
	;; [unrolled: 4-line block ×5, first 2 shown]
.LBB89_10:
	s_or_b32 exec_lo, exec_lo, s2
	s_delay_alu instid0(SALU_CYCLE_1)
	s_mov_b32 s2, exec_lo
	v_cmpx_eq_u32_e32 0, v0
	s_cbranch_execz .LBB89_12
; %bb.11:
	s_load_b64 s[0:1], s[0:1], s8 offset:0x8 scale_offset
	v_mov_b32_e32 v0, 0
	s_wait_dscnt 0x0
	s_wait_kmcnt 0x0
	global_store_b64 v0, v[2:3], s[0:1]
.LBB89_12:
	s_endpgm
	.section	.rodata,"a",@progbits
	.p2align	6, 0x0
	.amdhsa_kernel _ZN2at6native14lpnorm_cleanupIN3c104HalfELNS0_8NormTypeE1EdLb1EdEEvPKT3_NS0_19TensorListAddressesEi
		.amdhsa_group_segment_fixed_size 4096
		.amdhsa_private_segment_fixed_size 0
		.amdhsa_kernarg_size 3472
		.amdhsa_user_sgpr_count 2
		.amdhsa_user_sgpr_dispatch_ptr 0
		.amdhsa_user_sgpr_queue_ptr 0
		.amdhsa_user_sgpr_kernarg_segment_ptr 1
		.amdhsa_user_sgpr_dispatch_id 0
		.amdhsa_user_sgpr_kernarg_preload_length 0
		.amdhsa_user_sgpr_kernarg_preload_offset 0
		.amdhsa_user_sgpr_private_segment_size 0
		.amdhsa_wavefront_size32 1
		.amdhsa_uses_dynamic_stack 0
		.amdhsa_enable_private_segment 0
		.amdhsa_system_sgpr_workgroup_id_x 1
		.amdhsa_system_sgpr_workgroup_id_y 0
		.amdhsa_system_sgpr_workgroup_id_z 0
		.amdhsa_system_sgpr_workgroup_info 0
		.amdhsa_system_vgpr_workitem_id 0
		.amdhsa_next_free_vgpr 11
		.amdhsa_next_free_sgpr 12
		.amdhsa_named_barrier_count 0
		.amdhsa_reserve_vcc 1
		.amdhsa_float_round_mode_32 0
		.amdhsa_float_round_mode_16_64 0
		.amdhsa_float_denorm_mode_32 3
		.amdhsa_float_denorm_mode_16_64 3
		.amdhsa_fp16_overflow 0
		.amdhsa_memory_ordered 1
		.amdhsa_forward_progress 1
		.amdhsa_inst_pref_size 6
		.amdhsa_round_robin_scheduling 0
		.amdhsa_exception_fp_ieee_invalid_op 0
		.amdhsa_exception_fp_denorm_src 0
		.amdhsa_exception_fp_ieee_div_zero 0
		.amdhsa_exception_fp_ieee_overflow 0
		.amdhsa_exception_fp_ieee_underflow 0
		.amdhsa_exception_fp_ieee_inexact 0
		.amdhsa_exception_int_div_zero 0
	.end_amdhsa_kernel
	.section	.text._ZN2at6native14lpnorm_cleanupIN3c104HalfELNS0_8NormTypeE1EdLb1EdEEvPKT3_NS0_19TensorListAddressesEi,"axG",@progbits,_ZN2at6native14lpnorm_cleanupIN3c104HalfELNS0_8NormTypeE1EdLb1EdEEvPKT3_NS0_19TensorListAddressesEi,comdat
.Lfunc_end89:
	.size	_ZN2at6native14lpnorm_cleanupIN3c104HalfELNS0_8NormTypeE1EdLb1EdEEvPKT3_NS0_19TensorListAddressesEi, .Lfunc_end89-_ZN2at6native14lpnorm_cleanupIN3c104HalfELNS0_8NormTypeE1EdLb1EdEEvPKT3_NS0_19TensorListAddressesEi
                                        ; -- End function
	.set _ZN2at6native14lpnorm_cleanupIN3c104HalfELNS0_8NormTypeE1EdLb1EdEEvPKT3_NS0_19TensorListAddressesEi.num_vgpr, 11
	.set _ZN2at6native14lpnorm_cleanupIN3c104HalfELNS0_8NormTypeE1EdLb1EdEEvPKT3_NS0_19TensorListAddressesEi.num_agpr, 0
	.set _ZN2at6native14lpnorm_cleanupIN3c104HalfELNS0_8NormTypeE1EdLb1EdEEvPKT3_NS0_19TensorListAddressesEi.numbered_sgpr, 12
	.set _ZN2at6native14lpnorm_cleanupIN3c104HalfELNS0_8NormTypeE1EdLb1EdEEvPKT3_NS0_19TensorListAddressesEi.num_named_barrier, 0
	.set _ZN2at6native14lpnorm_cleanupIN3c104HalfELNS0_8NormTypeE1EdLb1EdEEvPKT3_NS0_19TensorListAddressesEi.private_seg_size, 0
	.set _ZN2at6native14lpnorm_cleanupIN3c104HalfELNS0_8NormTypeE1EdLb1EdEEvPKT3_NS0_19TensorListAddressesEi.uses_vcc, 1
	.set _ZN2at6native14lpnorm_cleanupIN3c104HalfELNS0_8NormTypeE1EdLb1EdEEvPKT3_NS0_19TensorListAddressesEi.uses_flat_scratch, 0
	.set _ZN2at6native14lpnorm_cleanupIN3c104HalfELNS0_8NormTypeE1EdLb1EdEEvPKT3_NS0_19TensorListAddressesEi.has_dyn_sized_stack, 0
	.set _ZN2at6native14lpnorm_cleanupIN3c104HalfELNS0_8NormTypeE1EdLb1EdEEvPKT3_NS0_19TensorListAddressesEi.has_recursion, 0
	.set _ZN2at6native14lpnorm_cleanupIN3c104HalfELNS0_8NormTypeE1EdLb1EdEEvPKT3_NS0_19TensorListAddressesEi.has_indirect_call, 0
	.section	.AMDGPU.csdata,"",@progbits
; Kernel info:
; codeLenInByte = 756
; TotalNumSgprs: 14
; NumVgprs: 11
; ScratchSize: 0
; MemoryBound: 0
; FloatMode: 240
; IeeeMode: 1
; LDSByteSize: 4096 bytes/workgroup (compile time only)
; SGPRBlocks: 0
; VGPRBlocks: 0
; NumSGPRsForWavesPerEU: 14
; NumVGPRsForWavesPerEU: 11
; NamedBarCnt: 0
; Occupancy: 16
; WaveLimiterHint : 0
; COMPUTE_PGM_RSRC2:SCRATCH_EN: 0
; COMPUTE_PGM_RSRC2:USER_SGPR: 2
; COMPUTE_PGM_RSRC2:TRAP_HANDLER: 0
; COMPUTE_PGM_RSRC2:TGID_X_EN: 1
; COMPUTE_PGM_RSRC2:TGID_Y_EN: 0
; COMPUTE_PGM_RSRC2:TGID_Z_EN: 0
; COMPUTE_PGM_RSRC2:TIDIG_COMP_CNT: 0
	.section	.text._ZN2at6native14lpnorm_cleanupIN3c104HalfELNS0_8NormTypeE2EdLb1EdEEvPKT3_NS0_19TensorListAddressesEi,"axG",@progbits,_ZN2at6native14lpnorm_cleanupIN3c104HalfELNS0_8NormTypeE2EdLb1EdEEvPKT3_NS0_19TensorListAddressesEi,comdat
	.protected	_ZN2at6native14lpnorm_cleanupIN3c104HalfELNS0_8NormTypeE2EdLb1EdEEvPKT3_NS0_19TensorListAddressesEi ; -- Begin function _ZN2at6native14lpnorm_cleanupIN3c104HalfELNS0_8NormTypeE2EdLb1EdEEvPKT3_NS0_19TensorListAddressesEi
	.globl	_ZN2at6native14lpnorm_cleanupIN3c104HalfELNS0_8NormTypeE2EdLb1EdEEvPKT3_NS0_19TensorListAddressesEi
	.p2align	8
	.type	_ZN2at6native14lpnorm_cleanupIN3c104HalfELNS0_8NormTypeE2EdLb1EdEEvPKT3_NS0_19TensorListAddressesEi,@function
_ZN2at6native14lpnorm_cleanupIN3c104HalfELNS0_8NormTypeE2EdLb1EdEEvPKT3_NS0_19TensorListAddressesEi: ; @_ZN2at6native14lpnorm_cleanupIN3c104HalfELNS0_8NormTypeE2EdLb1EdEEvPKT3_NS0_19TensorListAddressesEi
; %bb.0:
	s_load_b32 s2, s[0:1], 0xc88
	s_bfe_u32 s3, ttmp6, 0x4000c
	s_and_b32 s4, ttmp6, 15
	s_add_co_i32 s3, s3, 1
	v_mov_b64_e32 v[2:3], 0
	s_mul_i32 s3, ttmp9, s3
	s_mov_b32 s5, 0
	s_add_co_i32 s4, s4, s3
	s_getreg_b32 s3, hwreg(HW_REG_IB_STS2, 6, 4)
	s_mov_b32 s9, exec_lo
	s_cmp_eq_u32 s3, 0
	s_cselect_b32 s8, ttmp9, s4
	s_wait_kmcnt 0x0
	v_cmpx_gt_u32_e64 s2, v0
	s_cbranch_execz .LBB90_4
; %bb.1:
	s_clause 0x1
	s_load_b64 s[6:7], s[0:1], 0x0
	s_load_b32 s4, s[0:1], 0xc9c
	v_dual_mov_b32 v1, 0 :: v_dual_lshlrev_b32 v2, 3, v0
	s_mul_i32 s10, s2, s8
	s_mov_b32 s11, s5
	s_ashr_i32 s3, s2, 31
	s_delay_alu instid0(VALU_DEP_1)
	v_mov_b32_e32 v3, v1
	s_lshl_b64 s[10:11], s[10:11], 3
	v_mov_b64_e32 v[6:7], v[0:1]
	s_wait_kmcnt 0x0
	s_add_nc_u64 s[6:7], s[6:7], s[10:11]
	s_and_b32 s4, s4, 0xffff
	v_add_nc_u64_e32 v[4:5], s[6:7], v[2:3]
	v_mov_b64_e32 v[2:3], 0
	s_lshl_b32 s6, s4, 3
	s_mov_b32 s7, s5
	s_mov_b32 s10, s5
.LBB90_2:                               ; =>This Inner Loop Header: Depth=1
	global_load_b64 v[8:9], v[4:5], off
	v_add_nc_u64_e32 v[6:7], s[4:5], v[6:7]
	s_wait_xcnt 0x0
	v_add_nc_u64_e32 v[4:5], s[6:7], v[4:5]
	s_delay_alu instid0(VALU_DEP_2)
	v_cmp_le_u64_e32 vcc_lo, s[2:3], v[6:7]
	s_or_b32 s10, vcc_lo, s10
	s_wait_loadcnt 0x0
	v_add_f64_e32 v[2:3], v[2:3], v[8:9]
	s_and_not1_b32 exec_lo, exec_lo, s10
	s_cbranch_execnz .LBB90_2
; %bb.3:
	s_or_b32 exec_lo, exec_lo, s10
.LBB90_4:
	s_delay_alu instid0(SALU_CYCLE_1) | instskip(SKIP_4) | instid1(VALU_DEP_2)
	s_or_b32 exec_lo, exec_lo, s9
	v_mbcnt_lo_u32_b32 v9, -1, 0
	v_and_b32_e32 v10, 31, v0
	s_mov_b32 s2, exec_lo
	s_barrier_signal -1
	v_lshl_or_b32 v1, v9, 2, 64
	v_cmp_gt_u32_e32 vcc_lo, 24, v9
	s_barrier_wait -1
	ds_bpermute_b32 v4, v1, v2
	ds_bpermute_b32 v5, v1, v3
	s_wait_dscnt 0x0
	v_add_f64_e32 v[2:3], v[2:3], v[4:5]
	v_cndmask_b32_e64 v4, 0, 8, vcc_lo
	v_cmp_gt_u32_e32 vcc_lo, 28, v9
	s_delay_alu instid0(VALU_DEP_2)
	v_add_lshl_u32 v6, v4, v9, 2
	ds_bpermute_b32 v4, v6, v2
	ds_bpermute_b32 v5, v6, v3
	s_wait_dscnt 0x0
	v_add_f64_e32 v[2:3], v[2:3], v[4:5]
	v_cndmask_b32_e64 v4, 0, 4, vcc_lo
	v_cmp_gt_u32_e32 vcc_lo, 30, v9
	s_delay_alu instid0(VALU_DEP_2)
	v_add_lshl_u32 v7, v4, v9, 2
	ds_bpermute_b32 v4, v7, v2
	ds_bpermute_b32 v5, v7, v3
	s_wait_dscnt 0x0
	v_add_f64_e32 v[2:3], v[2:3], v[4:5]
	v_cndmask_b32_e64 v4, 0, 2, vcc_lo
	v_cmp_ne_u32_e32 vcc_lo, 31, v9
	s_delay_alu instid0(VALU_DEP_2)
	v_add_lshl_u32 v8, v4, v9, 2
	ds_bpermute_b32 v4, v8, v2
	ds_bpermute_b32 v5, v8, v3
	s_wait_dscnt 0x0
	v_add_f64_e32 v[2:3], v[2:3], v[4:5]
	v_add_co_ci_u32_e64 v4, null, 0, v9, vcc_lo
	s_delay_alu instid0(VALU_DEP_1)
	v_lshlrev_b32_e32 v9, 2, v4
	ds_bpermute_b32 v4, v9, v2
	ds_bpermute_b32 v5, v9, v3
	v_cmpx_eq_u32_e32 0, v10
	s_cbranch_execz .LBB90_6
; %bb.5:
	s_wait_dscnt 0x0
	v_add_f64_e32 v[2:3], v[2:3], v[4:5]
	v_lshrrev_b32_e32 v4, 2, v0
	ds_store_b64 v4, v[2:3]
.LBB90_6:
	s_or_b32 exec_lo, exec_lo, s2
	s_wait_dscnt 0x0
	s_barrier_signal -1
	s_barrier_wait -1
	s_load_b32 s2, s[0:1], 0xc9c
	v_mov_b64_e32 v[2:3], 0
	s_wait_kmcnt 0x0
	s_bfe_u32 s2, s2, 0xb0005
	s_delay_alu instid0(SALU_CYCLE_1)
	v_cmp_gt_u32_e32 vcc_lo, s2, v0
	s_and_saveexec_b32 s2, vcc_lo
; %bb.7:
	v_lshlrev_b32_e32 v2, 3, v10
	ds_load_b64 v[2:3], v2
; %bb.8:
	s_or_b32 exec_lo, exec_lo, s2
	s_delay_alu instid0(SALU_CYCLE_1)
	s_mov_b32 s2, exec_lo
	v_cmpx_gt_u32_e32 32, v0
	s_cbranch_execz .LBB90_10
; %bb.9:
	s_wait_dscnt 0x0
	ds_bpermute_b32 v4, v1, v2
	ds_bpermute_b32 v5, v1, v3
	s_wait_dscnt 0x0
	v_add_f64_e32 v[2:3], v[2:3], v[4:5]
	ds_bpermute_b32 v4, v6, v2
	ds_bpermute_b32 v5, v6, v3
	s_wait_dscnt 0x0
	v_add_f64_e32 v[2:3], v[2:3], v[4:5]
	;; [unrolled: 4-line block ×5, first 2 shown]
.LBB90_10:
	s_or_b32 exec_lo, exec_lo, s2
	s_delay_alu instid0(SALU_CYCLE_1)
	s_mov_b32 s2, exec_lo
	v_cmpx_eq_u32_e32 0, v0
	s_cbranch_execz .LBB90_12
; %bb.11:
	s_wait_dscnt 0x0
	s_delay_alu instid0(VALU_DEP_2) | instskip(SKIP_2) | instid1(VALU_DEP_1)
	v_cmp_gt_f64_e32 vcc_lo, 0x10000000, v[2:3]
	s_load_b64 s[0:1], s[0:1], s8 offset:0x8 scale_offset
	v_cndmask_b32_e64 v0, 0, 0x100, vcc_lo
	v_ldexp_f64 v[0:1], v[2:3], v0
	s_delay_alu instid0(VALU_DEP_1) | instskip(SKIP_1) | instid1(TRANS32_DEP_1)
	v_rsq_f64_e32 v[2:3], v[0:1]
	v_nop
	v_mul_f64_e32 v[4:5], v[0:1], v[2:3]
	v_mul_f64_e32 v[2:3], 0.5, v[2:3]
	s_delay_alu instid0(VALU_DEP_1) | instskip(NEXT) | instid1(VALU_DEP_1)
	v_fma_f64 v[6:7], -v[2:3], v[4:5], 0.5
	v_fmac_f64_e32 v[4:5], v[4:5], v[6:7]
	v_fmac_f64_e32 v[2:3], v[2:3], v[6:7]
	s_delay_alu instid0(VALU_DEP_2) | instskip(NEXT) | instid1(VALU_DEP_1)
	v_fma_f64 v[6:7], -v[4:5], v[4:5], v[0:1]
	v_fmac_f64_e32 v[4:5], v[6:7], v[2:3]
	s_delay_alu instid0(VALU_DEP_1) | instskip(NEXT) | instid1(VALU_DEP_1)
	v_fma_f64 v[6:7], -v[4:5], v[4:5], v[0:1]
	v_fmac_f64_e32 v[4:5], v[6:7], v[2:3]
	v_cndmask_b32_e64 v2, 0, 0xffffff80, vcc_lo
	v_cmp_class_f64_e64 vcc_lo, v[0:1], 0x260
	s_delay_alu instid0(VALU_DEP_2) | instskip(NEXT) | instid1(VALU_DEP_1)
	v_ldexp_f64 v[2:3], v[4:5], v2
	v_dual_cndmask_b32 v1, v3, v1 :: v_dual_cndmask_b32 v0, v2, v0
	v_mov_b32_e32 v2, 0
	s_wait_kmcnt 0x0
	global_store_b64 v2, v[0:1], s[0:1]
.LBB90_12:
	s_endpgm
	.section	.rodata,"a",@progbits
	.p2align	6, 0x0
	.amdhsa_kernel _ZN2at6native14lpnorm_cleanupIN3c104HalfELNS0_8NormTypeE2EdLb1EdEEvPKT3_NS0_19TensorListAddressesEi
		.amdhsa_group_segment_fixed_size 4096
		.amdhsa_private_segment_fixed_size 0
		.amdhsa_kernarg_size 3472
		.amdhsa_user_sgpr_count 2
		.amdhsa_user_sgpr_dispatch_ptr 0
		.amdhsa_user_sgpr_queue_ptr 0
		.amdhsa_user_sgpr_kernarg_segment_ptr 1
		.amdhsa_user_sgpr_dispatch_id 0
		.amdhsa_user_sgpr_kernarg_preload_length 0
		.amdhsa_user_sgpr_kernarg_preload_offset 0
		.amdhsa_user_sgpr_private_segment_size 0
		.amdhsa_wavefront_size32 1
		.amdhsa_uses_dynamic_stack 0
		.amdhsa_enable_private_segment 0
		.amdhsa_system_sgpr_workgroup_id_x 1
		.amdhsa_system_sgpr_workgroup_id_y 0
		.amdhsa_system_sgpr_workgroup_id_z 0
		.amdhsa_system_sgpr_workgroup_info 0
		.amdhsa_system_vgpr_workitem_id 0
		.amdhsa_next_free_vgpr 11
		.amdhsa_next_free_sgpr 12
		.amdhsa_named_barrier_count 0
		.amdhsa_reserve_vcc 1
		.amdhsa_float_round_mode_32 0
		.amdhsa_float_round_mode_16_64 0
		.amdhsa_float_denorm_mode_32 3
		.amdhsa_float_denorm_mode_16_64 3
		.amdhsa_fp16_overflow 0
		.amdhsa_memory_ordered 1
		.amdhsa_forward_progress 1
		.amdhsa_inst_pref_size 8
		.amdhsa_round_robin_scheduling 0
		.amdhsa_exception_fp_ieee_invalid_op 0
		.amdhsa_exception_fp_denorm_src 0
		.amdhsa_exception_fp_ieee_div_zero 0
		.amdhsa_exception_fp_ieee_overflow 0
		.amdhsa_exception_fp_ieee_underflow 0
		.amdhsa_exception_fp_ieee_inexact 0
		.amdhsa_exception_int_div_zero 0
	.end_amdhsa_kernel
	.section	.text._ZN2at6native14lpnorm_cleanupIN3c104HalfELNS0_8NormTypeE2EdLb1EdEEvPKT3_NS0_19TensorListAddressesEi,"axG",@progbits,_ZN2at6native14lpnorm_cleanupIN3c104HalfELNS0_8NormTypeE2EdLb1EdEEvPKT3_NS0_19TensorListAddressesEi,comdat
.Lfunc_end90:
	.size	_ZN2at6native14lpnorm_cleanupIN3c104HalfELNS0_8NormTypeE2EdLb1EdEEvPKT3_NS0_19TensorListAddressesEi, .Lfunc_end90-_ZN2at6native14lpnorm_cleanupIN3c104HalfELNS0_8NormTypeE2EdLb1EdEEvPKT3_NS0_19TensorListAddressesEi
                                        ; -- End function
	.set _ZN2at6native14lpnorm_cleanupIN3c104HalfELNS0_8NormTypeE2EdLb1EdEEvPKT3_NS0_19TensorListAddressesEi.num_vgpr, 11
	.set _ZN2at6native14lpnorm_cleanupIN3c104HalfELNS0_8NormTypeE2EdLb1EdEEvPKT3_NS0_19TensorListAddressesEi.num_agpr, 0
	.set _ZN2at6native14lpnorm_cleanupIN3c104HalfELNS0_8NormTypeE2EdLb1EdEEvPKT3_NS0_19TensorListAddressesEi.numbered_sgpr, 12
	.set _ZN2at6native14lpnorm_cleanupIN3c104HalfELNS0_8NormTypeE2EdLb1EdEEvPKT3_NS0_19TensorListAddressesEi.num_named_barrier, 0
	.set _ZN2at6native14lpnorm_cleanupIN3c104HalfELNS0_8NormTypeE2EdLb1EdEEvPKT3_NS0_19TensorListAddressesEi.private_seg_size, 0
	.set _ZN2at6native14lpnorm_cleanupIN3c104HalfELNS0_8NormTypeE2EdLb1EdEEvPKT3_NS0_19TensorListAddressesEi.uses_vcc, 1
	.set _ZN2at6native14lpnorm_cleanupIN3c104HalfELNS0_8NormTypeE2EdLb1EdEEvPKT3_NS0_19TensorListAddressesEi.uses_flat_scratch, 0
	.set _ZN2at6native14lpnorm_cleanupIN3c104HalfELNS0_8NormTypeE2EdLb1EdEEvPKT3_NS0_19TensorListAddressesEi.has_dyn_sized_stack, 0
	.set _ZN2at6native14lpnorm_cleanupIN3c104HalfELNS0_8NormTypeE2EdLb1EdEEvPKT3_NS0_19TensorListAddressesEi.has_recursion, 0
	.set _ZN2at6native14lpnorm_cleanupIN3c104HalfELNS0_8NormTypeE2EdLb1EdEEvPKT3_NS0_19TensorListAddressesEi.has_indirect_call, 0
	.section	.AMDGPU.csdata,"",@progbits
; Kernel info:
; codeLenInByte = 904
; TotalNumSgprs: 14
; NumVgprs: 11
; ScratchSize: 0
; MemoryBound: 0
; FloatMode: 240
; IeeeMode: 1
; LDSByteSize: 4096 bytes/workgroup (compile time only)
; SGPRBlocks: 0
; VGPRBlocks: 0
; NumSGPRsForWavesPerEU: 14
; NumVGPRsForWavesPerEU: 11
; NamedBarCnt: 0
; Occupancy: 16
; WaveLimiterHint : 0
; COMPUTE_PGM_RSRC2:SCRATCH_EN: 0
; COMPUTE_PGM_RSRC2:USER_SGPR: 2
; COMPUTE_PGM_RSRC2:TRAP_HANDLER: 0
; COMPUTE_PGM_RSRC2:TGID_X_EN: 1
; COMPUTE_PGM_RSRC2:TGID_Y_EN: 0
; COMPUTE_PGM_RSRC2:TGID_Z_EN: 0
; COMPUTE_PGM_RSRC2:TIDIG_COMP_CNT: 0
	.section	.text._ZN2at6native14lpnorm_cleanupIN3c104HalfELNS0_8NormTypeE3EdLb1EdEEvPKT3_NS0_19TensorListAddressesEi,"axG",@progbits,_ZN2at6native14lpnorm_cleanupIN3c104HalfELNS0_8NormTypeE3EdLb1EdEEvPKT3_NS0_19TensorListAddressesEi,comdat
	.protected	_ZN2at6native14lpnorm_cleanupIN3c104HalfELNS0_8NormTypeE3EdLb1EdEEvPKT3_NS0_19TensorListAddressesEi ; -- Begin function _ZN2at6native14lpnorm_cleanupIN3c104HalfELNS0_8NormTypeE3EdLb1EdEEvPKT3_NS0_19TensorListAddressesEi
	.globl	_ZN2at6native14lpnorm_cleanupIN3c104HalfELNS0_8NormTypeE3EdLb1EdEEvPKT3_NS0_19TensorListAddressesEi
	.p2align	8
	.type	_ZN2at6native14lpnorm_cleanupIN3c104HalfELNS0_8NormTypeE3EdLb1EdEEvPKT3_NS0_19TensorListAddressesEi,@function
_ZN2at6native14lpnorm_cleanupIN3c104HalfELNS0_8NormTypeE3EdLb1EdEEvPKT3_NS0_19TensorListAddressesEi: ; @_ZN2at6native14lpnorm_cleanupIN3c104HalfELNS0_8NormTypeE3EdLb1EdEEvPKT3_NS0_19TensorListAddressesEi
; %bb.0:
	s_load_b32 s4, s[0:1], 0xc88
	s_bfe_u32 s2, ttmp6, 0x4000c
	s_and_b32 s3, ttmp6, 15
	s_add_co_i32 s2, s2, 1
	v_mov_b64_e32 v[2:3], 0
	s_mul_i32 s2, ttmp9, s2
	s_mov_b32 s7, 0
	s_add_co_i32 s3, s3, s2
	s_getreg_b32 s2, hwreg(HW_REG_IB_STS2, 6, 4)
	s_mov_b32 s11, exec_lo
	s_cmp_eq_u32 s2, 0
	s_cselect_b32 s10, ttmp9, s3
	s_wait_kmcnt 0x0
	v_cmpx_gt_u32_e64 s4, v0
	s_cbranch_execz .LBB91_4
; %bb.1:
	s_clause 0x1
	s_load_b64 s[2:3], s[0:1], 0x0
	s_load_b32 s6, s[0:1], 0xc9c
	v_dual_mov_b32 v1, 0 :: v_dual_lshlrev_b32 v2, 3, v0
	s_mul_i32 s8, s4, s10
	s_mov_b32 s9, s7
	s_ashr_i32 s5, s4, 31
	s_delay_alu instid0(VALU_DEP_1)
	v_mov_b32_e32 v3, v1
	s_lshl_b64 s[8:9], s[8:9], 3
	v_mov_b64_e32 v[6:7], v[0:1]
	s_mov_b32 s12, s7
	s_wait_kmcnt 0x0
	s_add_nc_u64 s[2:3], s[2:3], s[8:9]
	s_and_b32 s6, s6, 0xffff
	v_add_nc_u64_e32 v[4:5], s[2:3], v[2:3]
	v_mov_b64_e32 v[2:3], 0
	s_lshl_b32 s8, s6, 3
	s_mov_b32 s9, s7
.LBB91_2:                               ; =>This Inner Loop Header: Depth=1
	global_load_b64 v[8:9], v[4:5], off
	v_add_nc_u64_e32 v[6:7], s[6:7], v[6:7]
	s_wait_xcnt 0x0
	v_add_nc_u64_e32 v[4:5], s[8:9], v[4:5]
	s_delay_alu instid0(VALU_DEP_2)
	v_cmp_le_u64_e64 s3, s[4:5], v[6:7]
	s_wait_loadcnt 0x0
	v_cmp_u_f64_e32 vcc_lo, v[8:9], v[8:9]
	v_cmp_lt_f64_e64 s2, v[2:3], v[8:9]
	s_or_b32 vcc_lo, vcc_lo, s2
	s_or_b32 s12, s3, s12
	v_dual_cndmask_b32 v3, v3, v9 :: v_dual_cndmask_b32 v2, v2, v8
	s_and_not1_b32 exec_lo, exec_lo, s12
	s_cbranch_execnz .LBB91_2
; %bb.3:
	s_or_b32 exec_lo, exec_lo, s12
.LBB91_4:
	s_delay_alu instid0(SALU_CYCLE_1) | instskip(SKIP_3) | instid1(VALU_DEP_1)
	s_or_b32 exec_lo, exec_lo, s11
	v_mbcnt_lo_u32_b32 v9, -1, 0
	s_barrier_signal -1
	s_barrier_wait -1
	v_lshl_or_b32 v1, v9, 2, 64
	v_cmp_gt_u32_e64 s3, 24, v9
	v_and_b32_e32 v10, 31, v0
	ds_bpermute_b32 v4, v1, v2
	ds_bpermute_b32 v5, v1, v3
	v_cndmask_b32_e64 v6, 0, 8, s3
	v_cmp_gt_u32_e64 s3, 28, v9
	s_delay_alu instid0(VALU_DEP_2) | instskip(NEXT) | instid1(VALU_DEP_2)
	v_add_lshl_u32 v6, v6, v9, 2
	v_cndmask_b32_e64 v7, 0, 4, s3
	v_cmp_gt_u32_e64 s3, 30, v9
	s_delay_alu instid0(VALU_DEP_2) | instskip(NEXT) | instid1(VALU_DEP_2)
	v_add_lshl_u32 v7, v7, v9, 2
	v_cndmask_b32_e64 v8, 0, 2, s3
	v_cmp_ne_u32_e64 s3, 31, v9
	s_delay_alu instid0(VALU_DEP_2) | instskip(NEXT) | instid1(VALU_DEP_2)
	v_add_lshl_u32 v8, v8, v9, 2
	v_add_co_ci_u32_e64 v9, null, 0, v9, s3
	s_wait_dscnt 0x0
	v_cmp_u_f64_e32 vcc_lo, v[4:5], v[4:5]
	v_cmp_lt_f64_e64 s2, v[2:3], v[4:5]
	s_mov_b32 s3, exec_lo
	s_or_b32 vcc_lo, vcc_lo, s2
	v_dual_cndmask_b32 v3, v3, v5 :: v_dual_cndmask_b32 v2, v2, v4
	ds_bpermute_b32 v5, v6, v3
	ds_bpermute_b32 v4, v6, v2
	s_wait_dscnt 0x0
	v_cmp_u_f64_e32 vcc_lo, v[4:5], v[4:5]
	v_cmp_lt_f64_e64 s2, v[2:3], v[4:5]
	s_or_b32 vcc_lo, vcc_lo, s2
	v_dual_cndmask_b32 v3, v3, v5 :: v_dual_cndmask_b32 v2, v2, v4
	ds_bpermute_b32 v5, v7, v3
	ds_bpermute_b32 v4, v7, v2
	s_wait_dscnt 0x0
	v_cmp_u_f64_e32 vcc_lo, v[4:5], v[4:5]
	v_cmp_lt_f64_e64 s2, v[2:3], v[4:5]
	;; [unrolled: 7-line block ×3, first 2 shown]
	s_or_b32 vcc_lo, vcc_lo, s2
	v_dual_cndmask_b32 v2, v2, v4 :: v_dual_lshlrev_b32 v9, 2, v9
	v_cndmask_b32_e32 v3, v3, v5, vcc_lo
	ds_bpermute_b32 v4, v9, v2
	ds_bpermute_b32 v5, v9, v3
	v_cmpx_eq_u32_e32 0, v10
	s_cbranch_execz .LBB91_6
; %bb.5:
	s_wait_dscnt 0x0
	v_cmp_u_f64_e32 vcc_lo, v[4:5], v[4:5]
	v_cmp_lt_f64_e64 s2, v[2:3], v[4:5]
	s_or_b32 vcc_lo, vcc_lo, s2
	s_delay_alu instid0(SALU_CYCLE_1)
	v_dual_lshrrev_b32 v11, 2, v0 :: v_dual_cndmask_b32 v3, v3, v5, vcc_lo
	v_cndmask_b32_e32 v2, v2, v4, vcc_lo
	ds_store_b64 v11, v[2:3]
.LBB91_6:
	s_or_b32 exec_lo, exec_lo, s3
	s_wait_dscnt 0x0
	s_barrier_signal -1
	s_barrier_wait -1
	s_load_b32 s2, s[0:1], 0xc9c
	v_mov_b64_e32 v[2:3], 0xffefffffffffffff
	s_wait_kmcnt 0x0
	s_bfe_u32 s2, s2, 0xb0005
	s_delay_alu instid0(SALU_CYCLE_1)
	v_cmp_gt_u32_e32 vcc_lo, s2, v0
	s_and_saveexec_b32 s2, vcc_lo
; %bb.7:
	v_lshlrev_b32_e32 v2, 3, v10
	ds_load_b64 v[2:3], v2
; %bb.8:
	s_or_b32 exec_lo, exec_lo, s2
	s_delay_alu instid0(SALU_CYCLE_1)
	s_mov_b32 s3, exec_lo
	v_cmpx_gt_u32_e32 32, v0
	s_cbranch_execz .LBB91_10
; %bb.9:
	s_wait_dscnt 0x0
	ds_bpermute_b32 v4, v1, v2
	ds_bpermute_b32 v5, v1, v3
	s_wait_dscnt 0x0
	v_cmp_u_f64_e32 vcc_lo, v[4:5], v[4:5]
	v_cmp_lt_f64_e64 s2, v[2:3], v[4:5]
	s_or_b32 vcc_lo, vcc_lo, s2
	v_dual_cndmask_b32 v3, v3, v5 :: v_dual_cndmask_b32 v2, v2, v4
	ds_bpermute_b32 v5, v6, v3
	ds_bpermute_b32 v4, v6, v2
	s_wait_dscnt 0x0
	v_cmp_u_f64_e32 vcc_lo, v[4:5], v[4:5]
	v_cmp_lt_f64_e64 s2, v[2:3], v[4:5]
	s_or_b32 vcc_lo, vcc_lo, s2
	v_dual_cndmask_b32 v3, v3, v5 :: v_dual_cndmask_b32 v2, v2, v4
	;; [unrolled: 7-line block ×5, first 2 shown]
.LBB91_10:
	s_or_b32 exec_lo, exec_lo, s3
	s_delay_alu instid0(SALU_CYCLE_1)
	s_mov_b32 s2, exec_lo
	v_cmpx_eq_u32_e32 0, v0
	s_cbranch_execz .LBB91_12
; %bb.11:
	s_load_b64 s[0:1], s[0:1], s10 offset:0x8 scale_offset
	v_mov_b32_e32 v0, 0
	s_wait_dscnt 0x0
	s_wait_kmcnt 0x0
	global_store_b64 v0, v[2:3], s[0:1]
.LBB91_12:
	s_endpgm
	.section	.rodata,"a",@progbits
	.p2align	6, 0x0
	.amdhsa_kernel _ZN2at6native14lpnorm_cleanupIN3c104HalfELNS0_8NormTypeE3EdLb1EdEEvPKT3_NS0_19TensorListAddressesEi
		.amdhsa_group_segment_fixed_size 4096
		.amdhsa_private_segment_fixed_size 0
		.amdhsa_kernarg_size 3472
		.amdhsa_user_sgpr_count 2
		.amdhsa_user_sgpr_dispatch_ptr 0
		.amdhsa_user_sgpr_queue_ptr 0
		.amdhsa_user_sgpr_kernarg_segment_ptr 1
		.amdhsa_user_sgpr_dispatch_id 0
		.amdhsa_user_sgpr_kernarg_preload_length 0
		.amdhsa_user_sgpr_kernarg_preload_offset 0
		.amdhsa_user_sgpr_private_segment_size 0
		.amdhsa_wavefront_size32 1
		.amdhsa_uses_dynamic_stack 0
		.amdhsa_enable_private_segment 0
		.amdhsa_system_sgpr_workgroup_id_x 1
		.amdhsa_system_sgpr_workgroup_id_y 0
		.amdhsa_system_sgpr_workgroup_id_z 0
		.amdhsa_system_sgpr_workgroup_info 0
		.amdhsa_system_vgpr_workitem_id 0
		.amdhsa_next_free_vgpr 12
		.amdhsa_next_free_sgpr 13
		.amdhsa_named_barrier_count 0
		.amdhsa_reserve_vcc 1
		.amdhsa_float_round_mode_32 0
		.amdhsa_float_round_mode_16_64 0
		.amdhsa_float_denorm_mode_32 3
		.amdhsa_float_denorm_mode_16_64 3
		.amdhsa_fp16_overflow 0
		.amdhsa_memory_ordered 1
		.amdhsa_forward_progress 1
		.amdhsa_inst_pref_size 8
		.amdhsa_round_robin_scheduling 0
		.amdhsa_exception_fp_ieee_invalid_op 0
		.amdhsa_exception_fp_denorm_src 0
		.amdhsa_exception_fp_ieee_div_zero 0
		.amdhsa_exception_fp_ieee_overflow 0
		.amdhsa_exception_fp_ieee_underflow 0
		.amdhsa_exception_fp_ieee_inexact 0
		.amdhsa_exception_int_div_zero 0
	.end_amdhsa_kernel
	.section	.text._ZN2at6native14lpnorm_cleanupIN3c104HalfELNS0_8NormTypeE3EdLb1EdEEvPKT3_NS0_19TensorListAddressesEi,"axG",@progbits,_ZN2at6native14lpnorm_cleanupIN3c104HalfELNS0_8NormTypeE3EdLb1EdEEvPKT3_NS0_19TensorListAddressesEi,comdat
.Lfunc_end91:
	.size	_ZN2at6native14lpnorm_cleanupIN3c104HalfELNS0_8NormTypeE3EdLb1EdEEvPKT3_NS0_19TensorListAddressesEi, .Lfunc_end91-_ZN2at6native14lpnorm_cleanupIN3c104HalfELNS0_8NormTypeE3EdLb1EdEEvPKT3_NS0_19TensorListAddressesEi
                                        ; -- End function
	.set _ZN2at6native14lpnorm_cleanupIN3c104HalfELNS0_8NormTypeE3EdLb1EdEEvPKT3_NS0_19TensorListAddressesEi.num_vgpr, 12
	.set _ZN2at6native14lpnorm_cleanupIN3c104HalfELNS0_8NormTypeE3EdLb1EdEEvPKT3_NS0_19TensorListAddressesEi.num_agpr, 0
	.set _ZN2at6native14lpnorm_cleanupIN3c104HalfELNS0_8NormTypeE3EdLb1EdEEvPKT3_NS0_19TensorListAddressesEi.numbered_sgpr, 13
	.set _ZN2at6native14lpnorm_cleanupIN3c104HalfELNS0_8NormTypeE3EdLb1EdEEvPKT3_NS0_19TensorListAddressesEi.num_named_barrier, 0
	.set _ZN2at6native14lpnorm_cleanupIN3c104HalfELNS0_8NormTypeE3EdLb1EdEEvPKT3_NS0_19TensorListAddressesEi.private_seg_size, 0
	.set _ZN2at6native14lpnorm_cleanupIN3c104HalfELNS0_8NormTypeE3EdLb1EdEEvPKT3_NS0_19TensorListAddressesEi.uses_vcc, 1
	.set _ZN2at6native14lpnorm_cleanupIN3c104HalfELNS0_8NormTypeE3EdLb1EdEEvPKT3_NS0_19TensorListAddressesEi.uses_flat_scratch, 0
	.set _ZN2at6native14lpnorm_cleanupIN3c104HalfELNS0_8NormTypeE3EdLb1EdEEvPKT3_NS0_19TensorListAddressesEi.has_dyn_sized_stack, 0
	.set _ZN2at6native14lpnorm_cleanupIN3c104HalfELNS0_8NormTypeE3EdLb1EdEEvPKT3_NS0_19TensorListAddressesEi.has_recursion, 0
	.set _ZN2at6native14lpnorm_cleanupIN3c104HalfELNS0_8NormTypeE3EdLb1EdEEvPKT3_NS0_19TensorListAddressesEi.has_indirect_call, 0
	.section	.AMDGPU.csdata,"",@progbits
; Kernel info:
; codeLenInByte = 1008
; TotalNumSgprs: 15
; NumVgprs: 12
; ScratchSize: 0
; MemoryBound: 0
; FloatMode: 240
; IeeeMode: 1
; LDSByteSize: 4096 bytes/workgroup (compile time only)
; SGPRBlocks: 0
; VGPRBlocks: 0
; NumSGPRsForWavesPerEU: 15
; NumVGPRsForWavesPerEU: 12
; NamedBarCnt: 0
; Occupancy: 16
; WaveLimiterHint : 0
; COMPUTE_PGM_RSRC2:SCRATCH_EN: 0
; COMPUTE_PGM_RSRC2:USER_SGPR: 2
; COMPUTE_PGM_RSRC2:TRAP_HANDLER: 0
; COMPUTE_PGM_RSRC2:TGID_X_EN: 1
; COMPUTE_PGM_RSRC2:TGID_Y_EN: 0
; COMPUTE_PGM_RSRC2:TGID_Z_EN: 0
; COMPUTE_PGM_RSRC2:TIDIG_COMP_CNT: 0
	.section	.text._ZN2at6native12_GLOBAL__N_125multi_tensor_apply_kernelINS1_18TensorListMetadataILi1EEENS0_13LpNormFunctorIN3c104HalfELNS0_8NormTypeE0EfLi1ELi1ELi0EEEJPfiEEEvT_T0_DpT1_,"axG",@progbits,_ZN2at6native12_GLOBAL__N_125multi_tensor_apply_kernelINS1_18TensorListMetadataILi1EEENS0_13LpNormFunctorIN3c104HalfELNS0_8NormTypeE0EfLi1ELi1ELi0EEEJPfiEEEvT_T0_DpT1_,comdat
	.globl	_ZN2at6native12_GLOBAL__N_125multi_tensor_apply_kernelINS1_18TensorListMetadataILi1EEENS0_13LpNormFunctorIN3c104HalfELNS0_8NormTypeE0EfLi1ELi1ELi0EEEJPfiEEEvT_T0_DpT1_ ; -- Begin function _ZN2at6native12_GLOBAL__N_125multi_tensor_apply_kernelINS1_18TensorListMetadataILi1EEENS0_13LpNormFunctorIN3c104HalfELNS0_8NormTypeE0EfLi1ELi1ELi0EEEJPfiEEEvT_T0_DpT1_
	.p2align	8
	.type	_ZN2at6native12_GLOBAL__N_125multi_tensor_apply_kernelINS1_18TensorListMetadataILi1EEENS0_13LpNormFunctorIN3c104HalfELNS0_8NormTypeE0EfLi1ELi1ELi0EEEJPfiEEEvT_T0_DpT1_,@function
_ZN2at6native12_GLOBAL__N_125multi_tensor_apply_kernelINS1_18TensorListMetadataILi1EEENS0_13LpNormFunctorIN3c104HalfELNS0_8NormTypeE0EfLi1ELi1ELi0EEEJPfiEEEvT_T0_DpT1_: ; @_ZN2at6native12_GLOBAL__N_125multi_tensor_apply_kernelINS1_18TensorListMetadataILi1EEENS0_13LpNormFunctorIN3c104HalfELNS0_8NormTypeE0EfLi1ELi1ELi0EEEJPfiEEEvT_T0_DpT1_
; %bb.0:
	s_bfe_u32 s2, ttmp6, 0x4000c
	s_and_b32 s3, ttmp6, 15
	s_add_co_i32 s2, s2, 1
	s_getreg_b32 s4, hwreg(HW_REG_IB_STS2, 6, 4)
	s_mul_i32 s2, ttmp9, s2
	s_delay_alu instid0(SALU_CYCLE_1)
	s_add_co_i32 s3, s3, s2
	s_cmp_eq_u32 s4, 0
	s_cselect_b32 s2, ttmp9, s3
	s_mov_b32 s3, 0
	v_mov_b32_e32 v1, s2
	s_add_nc_u64 s[4:5], s[0:1], s[2:3]
	s_mul_u64 s[6:7], s[2:3], 3
	s_delay_alu instid0(SALU_CYCLE_1) | instskip(SKIP_4) | instid1(SALU_CYCLE_1)
	s_add_nc_u64 s[4:5], s[4:5], s[6:7]
	global_load_u8 v13, v1, s[0:1] offset:1760
	s_load_b32 s4, s[4:5], 0x820
	s_wait_kmcnt 0x0
	s_ashr_i32 s5, s4, 31
	s_lshl_b64 s[10:11], s[4:5], 17
	s_lshl_b64 s[12:13], s[4:5], 16
	s_wait_loadcnt 0x0
	v_readfirstlane_b32 s2, v13
	s_and_b32 s2, s2, 0xff
	s_clause 0x1
	s_load_b64 s[6:7], s[0:1], s2 offset:0x0 scale_offset
	s_load_b64 s[8:9], s[0:1], s2 offset:0x370 scale_offset
	s_wait_kmcnt 0x0
	s_add_nc_u64 s[6:7], s[6:7], s[10:11]
	s_and_b32 s2, s8, 3
	s_and_b64 s[10:11], s[6:7], 7
	s_sub_nc_u64 s[8:9], s[8:9], s[12:13]
	s_or_b64 s[10:11], s[2:3], s[10:11]
	s_delay_alu instid0(SALU_CYCLE_1)
	s_cmp_eq_u64 s[10:11], 0
	s_cbranch_scc1 .LBB92_12
; %bb.1:
	v_cmp_lt_i64_e64 s2, s[8:9], 1
	s_and_b32 vcc_lo, exec_lo, s2
	s_cbranch_vccnz .LBB92_28
; %bb.2:
	s_load_b32 s2, s[0:1], 0xd4c
	v_min_i64 v[10:11], 0x10000, s[8:9]
	s_mov_b32 s11, 0
	s_mov_b64 s[12:13], 0
	s_wait_kmcnt 0x0
	s_and_b32 s2, s2, 0xffff
	s_delay_alu instid0(SALU_CYCLE_1) | instskip(SKIP_3) | instid1(VALU_DEP_3)
	v_dual_mov_b32 v7, 0 :: v_dual_add_nc_u32 v16, s2, v0
	v_mad_u32 v12, s2, 3, v0
	v_lshl_add_u32 v14, s2, 1, v0
	s_lshl_b32 s10, s2, 2
	v_dual_mov_b32 v6, v7 :: v_dual_mov_b32 v8, v7
	v_mov_b32_e32 v9, v7
	s_delay_alu instid0(VALU_DEP_2) | instskip(NEXT) | instid1(VALU_DEP_2)
	v_mov_b64_e32 v[2:3], v[6:7]
	v_mov_b64_e32 v[4:5], v[8:9]
	s_branch .LBB92_4
.LBB92_3:                               ;   in Loop: Header=BB92_4 Depth=1
	s_or_b32 exec_lo, exec_lo, s2
	s_add_nc_u64 s[12:13], s[12:13], s[10:11]
	s_delay_alu instid0(SALU_CYCLE_1)
	v_cmp_ge_i64_e32 vcc_lo, s[12:13], v[10:11]
	s_cbranch_vccnz .LBB92_13
.LBB92_4:                               ; =>This Inner Loop Header: Depth=1
	v_add_nc_u32_e32 v6, s12, v0
	s_delay_alu instid0(VALU_DEP_1) | instskip(SKIP_2) | instid1(SALU_CYCLE_1)
	v_cmp_gt_i64_e32 vcc_lo, s[8:9], v[6:7]
	v_cmp_gt_u32_e64 s2, 0x10000, v6
	s_and_b32 s5, s2, vcc_lo
	s_and_saveexec_b32 s2, s5
	s_cbranch_execz .LBB92_6
; %bb.5:                                ;   in Loop: Header=BB92_4 Depth=1
	v_lshl_add_u64 v[8:9], v[6:7], 1, s[6:7]
	global_load_u16 v1, v[8:9], off
	s_wait_loadcnt 0x0
	v_cmp_neq_f16_e32 vcc_lo, 0, v1
	v_cndmask_b32_e64 v1, 0, 1.0, vcc_lo
	s_delay_alu instid0(VALU_DEP_1)
	v_add_f32_e32 v2, v2, v1
.LBB92_6:                               ;   in Loop: Header=BB92_4 Depth=1
	s_or_b32 exec_lo, exec_lo, s2
	v_add_nc_u32_e32 v6, s12, v16
	s_delay_alu instid0(VALU_DEP_1) | instskip(SKIP_2) | instid1(SALU_CYCLE_1)
	v_cmp_gt_i64_e32 vcc_lo, s[8:9], v[6:7]
	v_cmp_gt_u32_e64 s2, 0x10000, v6
	s_and_b32 s5, s2, vcc_lo
	s_and_saveexec_b32 s2, s5
	s_cbranch_execz .LBB92_8
; %bb.7:                                ;   in Loop: Header=BB92_4 Depth=1
	v_lshl_add_u64 v[8:9], v[6:7], 1, s[6:7]
	global_load_u16 v1, v[8:9], off
	s_wait_loadcnt 0x0
	v_cmp_neq_f16_e32 vcc_lo, 0, v1
	v_cndmask_b32_e64 v1, 0, 1.0, vcc_lo
	s_delay_alu instid0(VALU_DEP_1)
	v_add_f32_e32 v3, v3, v1
.LBB92_8:                               ;   in Loop: Header=BB92_4 Depth=1
	s_or_b32 exec_lo, exec_lo, s2
	v_add_nc_u32_e32 v6, s12, v14
	s_delay_alu instid0(VALU_DEP_1) | instskip(SKIP_2) | instid1(SALU_CYCLE_1)
	v_cmp_gt_i64_e32 vcc_lo, s[8:9], v[6:7]
	v_cmp_gt_u32_e64 s2, 0x10000, v6
	s_and_b32 s5, s2, vcc_lo
	s_and_saveexec_b32 s2, s5
	s_cbranch_execz .LBB92_10
; %bb.9:                                ;   in Loop: Header=BB92_4 Depth=1
	v_lshl_add_u64 v[8:9], v[6:7], 1, s[6:7]
	global_load_u16 v1, v[8:9], off
	s_wait_loadcnt 0x0
	v_cmp_neq_f16_e32 vcc_lo, 0, v1
	v_cndmask_b32_e64 v1, 0, 1.0, vcc_lo
	s_delay_alu instid0(VALU_DEP_1)
	v_add_f32_e32 v4, v4, v1
.LBB92_10:                              ;   in Loop: Header=BB92_4 Depth=1
	s_or_b32 exec_lo, exec_lo, s2
	v_add_nc_u32_e32 v6, s12, v12
	s_delay_alu instid0(VALU_DEP_1) | instskip(SKIP_2) | instid1(SALU_CYCLE_1)
	v_cmp_gt_i64_e32 vcc_lo, s[8:9], v[6:7]
	v_cmp_gt_u32_e64 s2, 0x10000, v6
	s_and_b32 s5, s2, vcc_lo
	s_and_saveexec_b32 s2, s5
	s_cbranch_execz .LBB92_3
; %bb.11:                               ;   in Loop: Header=BB92_4 Depth=1
	v_lshl_add_u64 v[8:9], v[6:7], 1, s[6:7]
	global_load_u16 v1, v[8:9], off
	s_wait_loadcnt 0x0
	v_cmp_neq_f16_e32 vcc_lo, 0, v1
	v_cndmask_b32_e64 v1, 0, 1.0, vcc_lo
	s_delay_alu instid0(VALU_DEP_1)
	v_add_f32_e32 v5, v5, v1
	s_branch .LBB92_3
.LBB92_12:
	s_mov_b32 s3, -1
                                        ; implicit-def: $vgpr2_vgpr3_vgpr4_vgpr5
.LBB92_13:
	s_delay_alu instid0(SALU_CYCLE_1)
	s_and_not1_b32 vcc_lo, exec_lo, s3
	s_cbranch_vccnz .LBB92_19
.LBB92_14:
	v_min_i64 v[6:7], 0x10000, s[8:9]
	v_dual_mov_b32 v2, 0 :: v_dual_lshlrev_b32 v4, 2, v0
	s_mov_b32 s9, 0
	s_delay_alu instid0(VALU_DEP_1) | instskip(NEXT) | instid1(VALU_DEP_1)
	v_dual_mov_b32 v5, v2 :: v_dual_mov_b32 v3, v2
	v_cmp_lt_i64_e32 vcc_lo, v[4:5], v[6:7]
	v_mov_b32_e32 v4, v2
	s_and_saveexec_b32 s3, vcc_lo
	s_cbranch_execz .LBB92_18
; %bb.15:
	s_load_b32 s2, s[0:1], 0xd4c
	v_dual_mov_b32 v5, v2 :: v_dual_lshlrev_b32 v4, 3, v0
	v_dual_mov_b32 v1, v2 :: v_dual_mov_b32 v3, v2
	s_mov_b32 s5, s9
	s_delay_alu instid0(VALU_DEP_2) | instskip(NEXT) | instid1(VALU_DEP_2)
	v_add_nc_u64_e32 v[8:9], s[6:7], v[4:5]
	v_mov_b64_e32 v[10:11], v[0:1]
	v_mov_b32_e32 v4, v2
	s_mov_b32 s7, s9
	s_delay_alu instid0(VALU_DEP_3) | instskip(SKIP_2) | instid1(SALU_CYCLE_1)
	v_add_nc_u64_e32 v[8:9], 4, v[8:9]
	s_wait_kmcnt 0x0
	s_and_b32 s8, s2, 0xffff
	s_lshl_b32 s6, s8, 3
.LBB92_16:                              ; =>This Inner Loop Header: Depth=1
	global_load_b64 v[14:15], v[8:9], off offset:-4
	v_add_nc_u64_e32 v[10:11], s[8:9], v[10:11]
	s_wait_xcnt 0x0
	v_add_nc_u64_e32 v[8:9], s[6:7], v[8:9]
	s_delay_alu instid0(VALU_DEP_2) | instskip(NEXT) | instid1(VALU_DEP_1)
	v_lshlrev_b64_e32 v[16:17], 2, v[10:11]
	v_cmp_ge_i64_e32 vcc_lo, v[16:17], v[6:7]
	s_or_b32 s5, vcc_lo, s5
	s_wait_loadcnt 0x0
	v_cmp_neq_f16_e64 s2, 0, v14
	v_dual_lshrrev_b32 v1, 16, v14 :: v_dual_lshrrev_b32 v12, 16, v15
	s_delay_alu instid0(VALU_DEP_2) | instskip(SKIP_1) | instid1(VALU_DEP_1)
	v_cndmask_b32_e64 v14, 0, 1.0, s2
	v_cmp_neq_f16_e64 s2, 0, v15
	v_cndmask_b32_e64 v16, 0, 1.0, s2
	s_delay_alu instid0(VALU_DEP_4) | instskip(NEXT) | instid1(VALU_DEP_1)
	v_cmp_neq_f16_e64 s2, 0, v1
	v_cndmask_b32_e64 v15, 0, 1.0, s2
	v_cmp_neq_f16_e64 s2, 0, v12
	s_delay_alu instid0(VALU_DEP_2) | instskip(NEXT) | instid1(VALU_DEP_2)
	v_pk_add_f32 v[2:3], v[2:3], v[14:15]
	v_cndmask_b32_e64 v17, 0, 1.0, s2
	s_delay_alu instid0(VALU_DEP_1)
	v_pk_add_f32 v[4:5], v[4:5], v[16:17]
	s_and_not1_b32 exec_lo, exec_lo, s5
	s_cbranch_execnz .LBB92_16
; %bb.17:
	s_or_b32 exec_lo, exec_lo, s5
.LBB92_18:
	s_delay_alu instid0(SALU_CYCLE_1)
	s_or_b32 exec_lo, exec_lo, s3
.LBB92_19:
	v_add_f32_e32 v1, 0, v2
	v_mbcnt_lo_u32_b32 v6, -1, 0
	s_mov_b32 s2, exec_lo
	s_barrier_signal -1
	s_delay_alu instid0(VALU_DEP_2) | instskip(NEXT) | instid1(VALU_DEP_2)
	v_add_f32_e32 v1, v3, v1
	v_cmp_gt_u32_e32 vcc_lo, 24, v6
	s_barrier_wait -1
	s_delay_alu instid0(VALU_DEP_2) | instskip(SKIP_1) | instid1(VALU_DEP_2)
	v_add_f32_e32 v2, v4, v1
	v_lshl_or_b32 v1, v6, 2, 64
	v_add_f32_e32 v3, v5, v2
	v_cndmask_b32_e64 v2, 0, 8, vcc_lo
	v_cmp_gt_u32_e32 vcc_lo, 28, v6
	ds_bpermute_b32 v4, v1, v3
	v_add_lshl_u32 v2, v2, v6, 2
	s_wait_dscnt 0x0
	v_add_f32_e32 v4, v3, v4
	v_cndmask_b32_e64 v3, 0, 4, vcc_lo
	v_cmp_gt_u32_e32 vcc_lo, 30, v6
	ds_bpermute_b32 v5, v2, v4
	v_add_lshl_u32 v3, v3, v6, 2
	s_wait_dscnt 0x0
	v_add_f32_e32 v5, v4, v5
	v_cndmask_b32_e64 v4, 0, 2, vcc_lo
	v_cmp_ne_u32_e32 vcc_lo, 31, v6
	ds_bpermute_b32 v7, v3, v5
	v_add_lshl_u32 v4, v4, v6, 2
	v_add_co_ci_u32_e64 v8, null, 0, v6, vcc_lo
	s_wait_dscnt 0x0
	v_add_f32_e32 v5, v5, v7
	ds_bpermute_b32 v7, v4, v5
	s_wait_dscnt 0x0
	v_dual_add_f32 v6, v5, v7 :: v_dual_lshlrev_b32 v5, 2, v8
	v_and_b32_e32 v7, 31, v0
	ds_bpermute_b32 v8, v5, v6
	v_cmpx_eq_u32_e32 0, v7
	s_cbranch_execz .LBB92_21
; %bb.20:
	v_lshrrev_b32_e32 v9, 3, v0
	s_wait_dscnt 0x0
	v_add_f32_e32 v6, v6, v8
	ds_store_b32 v9, v6
.LBB92_21:
	s_or_b32 exec_lo, exec_lo, s2
	s_wait_dscnt 0x0
	s_barrier_signal -1
	s_barrier_wait -1
	s_load_b32 s2, s[0:1], 0xd4c
	v_mov_b32_e32 v6, 0
	s_wait_kmcnt 0x0
	s_bfe_u32 s2, s2, 0xb0005
	s_delay_alu instid0(SALU_CYCLE_1)
	v_cmp_gt_u32_e32 vcc_lo, s2, v0
	s_and_saveexec_b32 s2, vcc_lo
; %bb.22:
	v_lshlrev_b32_e32 v6, 2, v7
	ds_load_b32 v6, v6
; %bb.23:
	s_or_b32 exec_lo, exec_lo, s2
	s_delay_alu instid0(SALU_CYCLE_1)
	s_mov_b32 s2, exec_lo
	v_cmpx_gt_u32_e32 32, v0
	s_cbranch_execz .LBB92_25
; %bb.24:
	s_wait_dscnt 0x0
	ds_bpermute_b32 v1, v1, v6
	s_wait_dscnt 0x0
	v_add_f32_e32 v1, v6, v1
	ds_bpermute_b32 v2, v2, v1
	s_wait_dscnt 0x0
	v_add_f32_e32 v1, v1, v2
	;; [unrolled: 3-line block ×5, first 2 shown]
.LBB92_25:
	s_or_b32 exec_lo, exec_lo, s2
	s_delay_alu instid0(SALU_CYCLE_1)
	s_mov_b32 s2, exec_lo
	v_cmpx_eq_u32_e32 0, v0
	s_cbranch_execz .LBB92_27
; %bb.26:
	s_clause 0x1
	s_load_b32 s2, s[0:1], 0xd20
	s_load_b96 s[8:10], s[0:1], 0xd30
	v_and_b32_e32 v0, 0xff, v13
	s_wait_kmcnt 0x0
	s_delay_alu instid0(VALU_DEP_1) | instskip(NEXT) | instid1(VALU_DEP_1)
	v_add_nc_u32_e32 v0, s2, v0
	v_mul_lo_u32 v0, v0, s10
	s_delay_alu instid0(VALU_DEP_1)
	v_add_nc_u32_e32 v0, s4, v0
	s_wait_dscnt 0x0
	global_store_b32 v0, v6, s[8:9] scale_offset
.LBB92_27:
	s_endpgm
.LBB92_28:
	v_mov_b32_e32 v2, 0
	s_delay_alu instid0(VALU_DEP_1)
	v_dual_mov_b32 v3, v2 :: v_dual_mov_b32 v4, v2
	v_mov_b32_e32 v5, v2
	s_and_not1_b32 vcc_lo, exec_lo, s3
	s_cbranch_vccz .LBB92_14
	s_branch .LBB92_19
	.section	.rodata,"a",@progbits
	.p2align	6, 0x0
	.amdhsa_kernel _ZN2at6native12_GLOBAL__N_125multi_tensor_apply_kernelINS1_18TensorListMetadataILi1EEENS0_13LpNormFunctorIN3c104HalfELNS0_8NormTypeE0EfLi1ELi1ELi0EEEJPfiEEEvT_T0_DpT1_
		.amdhsa_group_segment_fixed_size 2048
		.amdhsa_private_segment_fixed_size 0
		.amdhsa_kernarg_size 3648
		.amdhsa_user_sgpr_count 2
		.amdhsa_user_sgpr_dispatch_ptr 0
		.amdhsa_user_sgpr_queue_ptr 0
		.amdhsa_user_sgpr_kernarg_segment_ptr 1
		.amdhsa_user_sgpr_dispatch_id 0
		.amdhsa_user_sgpr_kernarg_preload_length 0
		.amdhsa_user_sgpr_kernarg_preload_offset 0
		.amdhsa_user_sgpr_private_segment_size 0
		.amdhsa_wavefront_size32 1
		.amdhsa_uses_dynamic_stack 0
		.amdhsa_enable_private_segment 0
		.amdhsa_system_sgpr_workgroup_id_x 1
		.amdhsa_system_sgpr_workgroup_id_y 0
		.amdhsa_system_sgpr_workgroup_id_z 0
		.amdhsa_system_sgpr_workgroup_info 0
		.amdhsa_system_vgpr_workitem_id 0
		.amdhsa_next_free_vgpr 18
		.amdhsa_next_free_sgpr 14
		.amdhsa_named_barrier_count 0
		.amdhsa_reserve_vcc 1
		.amdhsa_float_round_mode_32 0
		.amdhsa_float_round_mode_16_64 0
		.amdhsa_float_denorm_mode_32 3
		.amdhsa_float_denorm_mode_16_64 3
		.amdhsa_fp16_overflow 0
		.amdhsa_memory_ordered 1
		.amdhsa_forward_progress 1
		.amdhsa_inst_pref_size 12
		.amdhsa_round_robin_scheduling 0
		.amdhsa_exception_fp_ieee_invalid_op 0
		.amdhsa_exception_fp_denorm_src 0
		.amdhsa_exception_fp_ieee_div_zero 0
		.amdhsa_exception_fp_ieee_overflow 0
		.amdhsa_exception_fp_ieee_underflow 0
		.amdhsa_exception_fp_ieee_inexact 0
		.amdhsa_exception_int_div_zero 0
	.end_amdhsa_kernel
	.section	.text._ZN2at6native12_GLOBAL__N_125multi_tensor_apply_kernelINS1_18TensorListMetadataILi1EEENS0_13LpNormFunctorIN3c104HalfELNS0_8NormTypeE0EfLi1ELi1ELi0EEEJPfiEEEvT_T0_DpT1_,"axG",@progbits,_ZN2at6native12_GLOBAL__N_125multi_tensor_apply_kernelINS1_18TensorListMetadataILi1EEENS0_13LpNormFunctorIN3c104HalfELNS0_8NormTypeE0EfLi1ELi1ELi0EEEJPfiEEEvT_T0_DpT1_,comdat
.Lfunc_end92:
	.size	_ZN2at6native12_GLOBAL__N_125multi_tensor_apply_kernelINS1_18TensorListMetadataILi1EEENS0_13LpNormFunctorIN3c104HalfELNS0_8NormTypeE0EfLi1ELi1ELi0EEEJPfiEEEvT_T0_DpT1_, .Lfunc_end92-_ZN2at6native12_GLOBAL__N_125multi_tensor_apply_kernelINS1_18TensorListMetadataILi1EEENS0_13LpNormFunctorIN3c104HalfELNS0_8NormTypeE0EfLi1ELi1ELi0EEEJPfiEEEvT_T0_DpT1_
                                        ; -- End function
	.set _ZN2at6native12_GLOBAL__N_125multi_tensor_apply_kernelINS1_18TensorListMetadataILi1EEENS0_13LpNormFunctorIN3c104HalfELNS0_8NormTypeE0EfLi1ELi1ELi0EEEJPfiEEEvT_T0_DpT1_.num_vgpr, 18
	.set _ZN2at6native12_GLOBAL__N_125multi_tensor_apply_kernelINS1_18TensorListMetadataILi1EEENS0_13LpNormFunctorIN3c104HalfELNS0_8NormTypeE0EfLi1ELi1ELi0EEEJPfiEEEvT_T0_DpT1_.num_agpr, 0
	.set _ZN2at6native12_GLOBAL__N_125multi_tensor_apply_kernelINS1_18TensorListMetadataILi1EEENS0_13LpNormFunctorIN3c104HalfELNS0_8NormTypeE0EfLi1ELi1ELi0EEEJPfiEEEvT_T0_DpT1_.numbered_sgpr, 14
	.set _ZN2at6native12_GLOBAL__N_125multi_tensor_apply_kernelINS1_18TensorListMetadataILi1EEENS0_13LpNormFunctorIN3c104HalfELNS0_8NormTypeE0EfLi1ELi1ELi0EEEJPfiEEEvT_T0_DpT1_.num_named_barrier, 0
	.set _ZN2at6native12_GLOBAL__N_125multi_tensor_apply_kernelINS1_18TensorListMetadataILi1EEENS0_13LpNormFunctorIN3c104HalfELNS0_8NormTypeE0EfLi1ELi1ELi0EEEJPfiEEEvT_T0_DpT1_.private_seg_size, 0
	.set _ZN2at6native12_GLOBAL__N_125multi_tensor_apply_kernelINS1_18TensorListMetadataILi1EEENS0_13LpNormFunctorIN3c104HalfELNS0_8NormTypeE0EfLi1ELi1ELi0EEEJPfiEEEvT_T0_DpT1_.uses_vcc, 1
	.set _ZN2at6native12_GLOBAL__N_125multi_tensor_apply_kernelINS1_18TensorListMetadataILi1EEENS0_13LpNormFunctorIN3c104HalfELNS0_8NormTypeE0EfLi1ELi1ELi0EEEJPfiEEEvT_T0_DpT1_.uses_flat_scratch, 0
	.set _ZN2at6native12_GLOBAL__N_125multi_tensor_apply_kernelINS1_18TensorListMetadataILi1EEENS0_13LpNormFunctorIN3c104HalfELNS0_8NormTypeE0EfLi1ELi1ELi0EEEJPfiEEEvT_T0_DpT1_.has_dyn_sized_stack, 0
	.set _ZN2at6native12_GLOBAL__N_125multi_tensor_apply_kernelINS1_18TensorListMetadataILi1EEENS0_13LpNormFunctorIN3c104HalfELNS0_8NormTypeE0EfLi1ELi1ELi0EEEJPfiEEEvT_T0_DpT1_.has_recursion, 0
	.set _ZN2at6native12_GLOBAL__N_125multi_tensor_apply_kernelINS1_18TensorListMetadataILi1EEENS0_13LpNormFunctorIN3c104HalfELNS0_8NormTypeE0EfLi1ELi1ELi0EEEJPfiEEEvT_T0_DpT1_.has_indirect_call, 0
	.section	.AMDGPU.csdata,"",@progbits
; Kernel info:
; codeLenInByte = 1500
; TotalNumSgprs: 16
; NumVgprs: 18
; ScratchSize: 0
; MemoryBound: 0
; FloatMode: 240
; IeeeMode: 1
; LDSByteSize: 2048 bytes/workgroup (compile time only)
; SGPRBlocks: 0
; VGPRBlocks: 1
; NumSGPRsForWavesPerEU: 16
; NumVGPRsForWavesPerEU: 18
; NamedBarCnt: 0
; Occupancy: 16
; WaveLimiterHint : 0
; COMPUTE_PGM_RSRC2:SCRATCH_EN: 0
; COMPUTE_PGM_RSRC2:USER_SGPR: 2
; COMPUTE_PGM_RSRC2:TRAP_HANDLER: 0
; COMPUTE_PGM_RSRC2:TGID_X_EN: 1
; COMPUTE_PGM_RSRC2:TGID_Y_EN: 0
; COMPUTE_PGM_RSRC2:TGID_Z_EN: 0
; COMPUTE_PGM_RSRC2:TIDIG_COMP_CNT: 0
	.section	.text._ZN2at6native12_GLOBAL__N_125multi_tensor_apply_kernelINS1_18TensorListMetadataILi1EEENS0_13LpNormFunctorIN3c104HalfELNS0_8NormTypeE1EfLi1ELi1ELi0EEEJPfiEEEvT_T0_DpT1_,"axG",@progbits,_ZN2at6native12_GLOBAL__N_125multi_tensor_apply_kernelINS1_18TensorListMetadataILi1EEENS0_13LpNormFunctorIN3c104HalfELNS0_8NormTypeE1EfLi1ELi1ELi0EEEJPfiEEEvT_T0_DpT1_,comdat
	.globl	_ZN2at6native12_GLOBAL__N_125multi_tensor_apply_kernelINS1_18TensorListMetadataILi1EEENS0_13LpNormFunctorIN3c104HalfELNS0_8NormTypeE1EfLi1ELi1ELi0EEEJPfiEEEvT_T0_DpT1_ ; -- Begin function _ZN2at6native12_GLOBAL__N_125multi_tensor_apply_kernelINS1_18TensorListMetadataILi1EEENS0_13LpNormFunctorIN3c104HalfELNS0_8NormTypeE1EfLi1ELi1ELi0EEEJPfiEEEvT_T0_DpT1_
	.p2align	8
	.type	_ZN2at6native12_GLOBAL__N_125multi_tensor_apply_kernelINS1_18TensorListMetadataILi1EEENS0_13LpNormFunctorIN3c104HalfELNS0_8NormTypeE1EfLi1ELi1ELi0EEEJPfiEEEvT_T0_DpT1_,@function
_ZN2at6native12_GLOBAL__N_125multi_tensor_apply_kernelINS1_18TensorListMetadataILi1EEENS0_13LpNormFunctorIN3c104HalfELNS0_8NormTypeE1EfLi1ELi1ELi0EEEJPfiEEEvT_T0_DpT1_: ; @_ZN2at6native12_GLOBAL__N_125multi_tensor_apply_kernelINS1_18TensorListMetadataILi1EEENS0_13LpNormFunctorIN3c104HalfELNS0_8NormTypeE1EfLi1ELi1ELi0EEEJPfiEEEvT_T0_DpT1_
; %bb.0:
	s_bfe_u32 s2, ttmp6, 0x4000c
	s_and_b32 s3, ttmp6, 15
	s_add_co_i32 s2, s2, 1
	s_getreg_b32 s4, hwreg(HW_REG_IB_STS2, 6, 4)
	s_mul_i32 s2, ttmp9, s2
	s_delay_alu instid0(SALU_CYCLE_1)
	s_add_co_i32 s3, s3, s2
	s_cmp_eq_u32 s4, 0
	s_cselect_b32 s2, ttmp9, s3
	s_mov_b32 s3, 0
	v_mov_b32_e32 v1, s2
	s_add_nc_u64 s[4:5], s[0:1], s[2:3]
	s_mul_u64 s[6:7], s[2:3], 3
	s_delay_alu instid0(SALU_CYCLE_1) | instskip(SKIP_4) | instid1(SALU_CYCLE_1)
	s_add_nc_u64 s[4:5], s[4:5], s[6:7]
	global_load_u8 v13, v1, s[0:1] offset:1760
	s_load_b32 s4, s[4:5], 0x820
	s_wait_kmcnt 0x0
	s_ashr_i32 s5, s4, 31
	s_lshl_b64 s[10:11], s[4:5], 17
	s_lshl_b64 s[12:13], s[4:5], 16
	s_wait_loadcnt 0x0
	v_readfirstlane_b32 s2, v13
	s_and_b32 s2, s2, 0xff
	s_clause 0x1
	s_load_b64 s[6:7], s[0:1], s2 offset:0x0 scale_offset
	s_load_b64 s[8:9], s[0:1], s2 offset:0x370 scale_offset
	s_wait_kmcnt 0x0
	s_add_nc_u64 s[6:7], s[6:7], s[10:11]
	s_and_b32 s2, s8, 3
	s_and_b64 s[10:11], s[6:7], 7
	s_sub_nc_u64 s[8:9], s[8:9], s[12:13]
	s_or_b64 s[10:11], s[2:3], s[10:11]
	s_delay_alu instid0(SALU_CYCLE_1)
	s_cmp_eq_u64 s[10:11], 0
	s_cbranch_scc1 .LBB93_12
; %bb.1:
	v_cmp_lt_i64_e64 s2, s[8:9], 1
	s_and_b32 vcc_lo, exec_lo, s2
	s_cbranch_vccnz .LBB93_28
; %bb.2:
	s_load_b32 s2, s[0:1], 0xd4c
	v_min_i64 v[10:11], 0x10000, s[8:9]
	s_mov_b32 s11, 0
	s_mov_b64 s[12:13], 0
	s_wait_kmcnt 0x0
	s_and_b32 s2, s2, 0xffff
	s_delay_alu instid0(SALU_CYCLE_1) | instskip(SKIP_3) | instid1(VALU_DEP_3)
	v_dual_mov_b32 v7, 0 :: v_dual_add_nc_u32 v16, s2, v0
	v_mad_u32 v12, s2, 3, v0
	v_lshl_add_u32 v14, s2, 1, v0
	s_lshl_b32 s10, s2, 2
	v_dual_mov_b32 v6, v7 :: v_dual_mov_b32 v8, v7
	v_mov_b32_e32 v9, v7
	s_delay_alu instid0(VALU_DEP_2) | instskip(NEXT) | instid1(VALU_DEP_2)
	v_mov_b64_e32 v[2:3], v[6:7]
	v_mov_b64_e32 v[4:5], v[8:9]
	s_branch .LBB93_4
.LBB93_3:                               ;   in Loop: Header=BB93_4 Depth=1
	s_or_b32 exec_lo, exec_lo, s2
	s_add_nc_u64 s[12:13], s[12:13], s[10:11]
	s_delay_alu instid0(SALU_CYCLE_1)
	v_cmp_lt_i64_e32 vcc_lo, s[12:13], v[10:11]
	s_cbranch_vccz .LBB93_13
.LBB93_4:                               ; =>This Inner Loop Header: Depth=1
	v_add_nc_u32_e32 v6, s12, v0
	s_delay_alu instid0(VALU_DEP_1) | instskip(SKIP_2) | instid1(SALU_CYCLE_1)
	v_cmp_gt_i64_e32 vcc_lo, s[8:9], v[6:7]
	v_cmp_gt_u32_e64 s2, 0x10000, v6
	s_and_b32 s5, s2, vcc_lo
	s_and_saveexec_b32 s2, s5
	s_cbranch_execz .LBB93_6
; %bb.5:                                ;   in Loop: Header=BB93_4 Depth=1
	v_lshl_add_u64 v[8:9], v[6:7], 1, s[6:7]
	global_load_u16 v1, v[8:9], off
	s_wait_loadcnt 0x0
	v_cvt_f32_f16_e64 v1, |v1|
	s_delay_alu instid0(VALU_DEP_1)
	v_add_f32_e32 v2, v2, v1
.LBB93_6:                               ;   in Loop: Header=BB93_4 Depth=1
	s_or_b32 exec_lo, exec_lo, s2
	v_add_nc_u32_e32 v6, s12, v16
	s_delay_alu instid0(VALU_DEP_1) | instskip(SKIP_2) | instid1(SALU_CYCLE_1)
	v_cmp_gt_i64_e32 vcc_lo, s[8:9], v[6:7]
	v_cmp_gt_u32_e64 s2, 0x10000, v6
	s_and_b32 s5, s2, vcc_lo
	s_and_saveexec_b32 s2, s5
	s_cbranch_execz .LBB93_8
; %bb.7:                                ;   in Loop: Header=BB93_4 Depth=1
	v_lshl_add_u64 v[8:9], v[6:7], 1, s[6:7]
	global_load_u16 v1, v[8:9], off
	s_wait_loadcnt 0x0
	v_cvt_f32_f16_e64 v1, |v1|
	s_delay_alu instid0(VALU_DEP_1)
	v_add_f32_e32 v3, v3, v1
.LBB93_8:                               ;   in Loop: Header=BB93_4 Depth=1
	s_or_b32 exec_lo, exec_lo, s2
	v_add_nc_u32_e32 v6, s12, v14
	s_delay_alu instid0(VALU_DEP_1) | instskip(SKIP_2) | instid1(SALU_CYCLE_1)
	v_cmp_gt_i64_e32 vcc_lo, s[8:9], v[6:7]
	v_cmp_gt_u32_e64 s2, 0x10000, v6
	s_and_b32 s5, s2, vcc_lo
	s_and_saveexec_b32 s2, s5
	s_cbranch_execz .LBB93_10
; %bb.9:                                ;   in Loop: Header=BB93_4 Depth=1
	v_lshl_add_u64 v[8:9], v[6:7], 1, s[6:7]
	global_load_u16 v1, v[8:9], off
	s_wait_loadcnt 0x0
	v_cvt_f32_f16_e64 v1, |v1|
	s_delay_alu instid0(VALU_DEP_1)
	v_add_f32_e32 v4, v4, v1
.LBB93_10:                              ;   in Loop: Header=BB93_4 Depth=1
	s_or_b32 exec_lo, exec_lo, s2
	v_add_nc_u32_e32 v6, s12, v12
	s_delay_alu instid0(VALU_DEP_1) | instskip(SKIP_2) | instid1(SALU_CYCLE_1)
	v_cmp_gt_i64_e32 vcc_lo, s[8:9], v[6:7]
	v_cmp_gt_u32_e64 s2, 0x10000, v6
	s_and_b32 s5, s2, vcc_lo
	s_and_saveexec_b32 s2, s5
	s_cbranch_execz .LBB93_3
; %bb.11:                               ;   in Loop: Header=BB93_4 Depth=1
	v_lshl_add_u64 v[8:9], v[6:7], 1, s[6:7]
	global_load_u16 v1, v[8:9], off
	s_wait_loadcnt 0x0
	v_cvt_f32_f16_e64 v1, |v1|
	s_delay_alu instid0(VALU_DEP_1)
	v_add_f32_e32 v5, v5, v1
	s_branch .LBB93_3
.LBB93_12:
	s_mov_b32 s3, -1
                                        ; implicit-def: $vgpr2_vgpr3_vgpr4_vgpr5
.LBB93_13:
	s_delay_alu instid0(SALU_CYCLE_1)
	s_and_not1_b32 vcc_lo, exec_lo, s3
	s_cbranch_vccnz .LBB93_19
.LBB93_14:
	v_min_i64 v[6:7], 0x10000, s[8:9]
	v_dual_mov_b32 v2, 0 :: v_dual_lshlrev_b32 v4, 2, v0
	s_mov_b32 s3, 0
	s_delay_alu instid0(VALU_DEP_1) | instskip(NEXT) | instid1(VALU_DEP_1)
	v_dual_mov_b32 v5, v2 :: v_dual_mov_b32 v3, v2
	v_cmp_lt_i64_e32 vcc_lo, v[4:5], v[6:7]
	v_mov_b32_e32 v4, v2
	s_and_saveexec_b32 s5, vcc_lo
	s_cbranch_execz .LBB93_18
; %bb.15:
	s_load_b32 s2, s[0:1], 0xd4c
	v_dual_mov_b32 v5, v2 :: v_dual_lshlrev_b32 v4, 3, v0
	v_dual_mov_b32 v1, v2 :: v_dual_mov_b32 v3, v2
	s_mov_b32 s8, s3
	s_delay_alu instid0(VALU_DEP_2) | instskip(NEXT) | instid1(VALU_DEP_2)
	v_add_nc_u64_e32 v[8:9], s[6:7], v[4:5]
	v_mov_b64_e32 v[10:11], v[0:1]
	v_mov_b32_e32 v4, v2
	s_mov_b32 s7, s3
	s_delay_alu instid0(VALU_DEP_3) | instskip(SKIP_2) | instid1(SALU_CYCLE_1)
	v_add_nc_u64_e32 v[8:9], 4, v[8:9]
	s_wait_kmcnt 0x0
	s_and_b32 s2, s2, 0xffff
	s_lshl_b32 s6, s2, 3
.LBB93_16:                              ; =>This Inner Loop Header: Depth=1
	global_load_b64 v[14:15], v[8:9], off offset:-4
	v_add_nc_u64_e32 v[10:11], s[2:3], v[10:11]
	s_wait_xcnt 0x0
	v_add_nc_u64_e32 v[8:9], s[6:7], v[8:9]
	s_delay_alu instid0(VALU_DEP_2) | instskip(NEXT) | instid1(VALU_DEP_1)
	v_lshlrev_b64_e32 v[16:17], 2, v[10:11]
	v_cmp_ge_i64_e32 vcc_lo, v[16:17], v[6:7]
	s_or_b32 s8, vcc_lo, s8
	s_wait_loadcnt 0x0
	v_dual_lshrrev_b32 v1, 16, v15 :: v_dual_lshrrev_b32 v12, 16, v14
	v_cvt_f32_f16_e64 v14, |v14|
	v_cvt_f32_f16_e64 v16, |v15|
	s_delay_alu instid0(VALU_DEP_3) | instskip(NEXT) | instid1(VALU_DEP_4)
	v_cvt_f32_f16_e64 v17, |v1|
	v_cvt_f32_f16_e64 v15, |v12|
	s_delay_alu instid0(VALU_DEP_2) | instskip(NEXT) | instid1(VALU_DEP_2)
	v_pk_add_f32 v[4:5], v[4:5], v[16:17]
	v_pk_add_f32 v[2:3], v[2:3], v[14:15]
	s_and_not1_b32 exec_lo, exec_lo, s8
	s_cbranch_execnz .LBB93_16
; %bb.17:
	s_or_b32 exec_lo, exec_lo, s8
.LBB93_18:
	s_delay_alu instid0(SALU_CYCLE_1)
	s_or_b32 exec_lo, exec_lo, s5
.LBB93_19:
	v_add_f32_e32 v1, 0, v2
	v_mbcnt_lo_u32_b32 v6, -1, 0
	s_mov_b32 s2, exec_lo
	s_barrier_signal -1
	s_delay_alu instid0(VALU_DEP_2) | instskip(NEXT) | instid1(VALU_DEP_2)
	v_add_f32_e32 v1, v3, v1
	v_cmp_gt_u32_e32 vcc_lo, 24, v6
	s_barrier_wait -1
	s_delay_alu instid0(VALU_DEP_2) | instskip(SKIP_1) | instid1(VALU_DEP_2)
	v_add_f32_e32 v2, v4, v1
	v_lshl_or_b32 v1, v6, 2, 64
	v_add_f32_e32 v3, v5, v2
	v_cndmask_b32_e64 v2, 0, 8, vcc_lo
	v_cmp_gt_u32_e32 vcc_lo, 28, v6
	ds_bpermute_b32 v4, v1, v3
	v_add_lshl_u32 v2, v2, v6, 2
	s_wait_dscnt 0x0
	v_add_f32_e32 v4, v3, v4
	v_cndmask_b32_e64 v3, 0, 4, vcc_lo
	v_cmp_gt_u32_e32 vcc_lo, 30, v6
	ds_bpermute_b32 v5, v2, v4
	v_add_lshl_u32 v3, v3, v6, 2
	s_wait_dscnt 0x0
	v_add_f32_e32 v5, v4, v5
	v_cndmask_b32_e64 v4, 0, 2, vcc_lo
	v_cmp_ne_u32_e32 vcc_lo, 31, v6
	ds_bpermute_b32 v7, v3, v5
	v_add_lshl_u32 v4, v4, v6, 2
	v_add_co_ci_u32_e64 v8, null, 0, v6, vcc_lo
	s_wait_dscnt 0x0
	v_add_f32_e32 v5, v5, v7
	ds_bpermute_b32 v7, v4, v5
	s_wait_dscnt 0x0
	v_dual_add_f32 v6, v5, v7 :: v_dual_lshlrev_b32 v5, 2, v8
	v_and_b32_e32 v7, 31, v0
	ds_bpermute_b32 v8, v5, v6
	v_cmpx_eq_u32_e32 0, v7
	s_cbranch_execz .LBB93_21
; %bb.20:
	v_lshrrev_b32_e32 v9, 3, v0
	s_wait_dscnt 0x0
	v_add_f32_e32 v6, v6, v8
	ds_store_b32 v9, v6
.LBB93_21:
	s_or_b32 exec_lo, exec_lo, s2
	s_wait_dscnt 0x0
	s_barrier_signal -1
	s_barrier_wait -1
	s_load_b32 s2, s[0:1], 0xd4c
	v_mov_b32_e32 v6, 0
	s_wait_kmcnt 0x0
	s_bfe_u32 s2, s2, 0xb0005
	s_delay_alu instid0(SALU_CYCLE_1)
	v_cmp_gt_u32_e32 vcc_lo, s2, v0
	s_and_saveexec_b32 s2, vcc_lo
; %bb.22:
	v_lshlrev_b32_e32 v6, 2, v7
	ds_load_b32 v6, v6
; %bb.23:
	s_or_b32 exec_lo, exec_lo, s2
	s_delay_alu instid0(SALU_CYCLE_1)
	s_mov_b32 s2, exec_lo
	v_cmpx_gt_u32_e32 32, v0
	s_cbranch_execz .LBB93_25
; %bb.24:
	s_wait_dscnt 0x0
	ds_bpermute_b32 v1, v1, v6
	s_wait_dscnt 0x0
	v_add_f32_e32 v1, v6, v1
	ds_bpermute_b32 v2, v2, v1
	s_wait_dscnt 0x0
	v_add_f32_e32 v1, v1, v2
	;; [unrolled: 3-line block ×5, first 2 shown]
.LBB93_25:
	s_or_b32 exec_lo, exec_lo, s2
	s_delay_alu instid0(SALU_CYCLE_1)
	s_mov_b32 s2, exec_lo
	v_cmpx_eq_u32_e32 0, v0
	s_cbranch_execz .LBB93_27
; %bb.26:
	s_clause 0x1
	s_load_b32 s2, s[0:1], 0xd20
	s_load_b96 s[8:10], s[0:1], 0xd30
	v_and_b32_e32 v0, 0xff, v13
	s_wait_kmcnt 0x0
	s_delay_alu instid0(VALU_DEP_1) | instskip(NEXT) | instid1(VALU_DEP_1)
	v_add_nc_u32_e32 v0, s2, v0
	v_mul_lo_u32 v0, v0, s10
	s_delay_alu instid0(VALU_DEP_1)
	v_add_nc_u32_e32 v0, s4, v0
	s_wait_dscnt 0x0
	global_store_b32 v0, v6, s[8:9] scale_offset
.LBB93_27:
	s_endpgm
.LBB93_28:
	v_mov_b32_e32 v2, 0
	s_delay_alu instid0(VALU_DEP_1)
	v_dual_mov_b32 v3, v2 :: v_dual_mov_b32 v4, v2
	v_mov_b32_e32 v5, v2
	s_and_not1_b32 vcc_lo, exec_lo, s3
	s_cbranch_vccz .LBB93_14
	s_branch .LBB93_19
	.section	.rodata,"a",@progbits
	.p2align	6, 0x0
	.amdhsa_kernel _ZN2at6native12_GLOBAL__N_125multi_tensor_apply_kernelINS1_18TensorListMetadataILi1EEENS0_13LpNormFunctorIN3c104HalfELNS0_8NormTypeE1EfLi1ELi1ELi0EEEJPfiEEEvT_T0_DpT1_
		.amdhsa_group_segment_fixed_size 2048
		.amdhsa_private_segment_fixed_size 0
		.amdhsa_kernarg_size 3648
		.amdhsa_user_sgpr_count 2
		.amdhsa_user_sgpr_dispatch_ptr 0
		.amdhsa_user_sgpr_queue_ptr 0
		.amdhsa_user_sgpr_kernarg_segment_ptr 1
		.amdhsa_user_sgpr_dispatch_id 0
		.amdhsa_user_sgpr_kernarg_preload_length 0
		.amdhsa_user_sgpr_kernarg_preload_offset 0
		.amdhsa_user_sgpr_private_segment_size 0
		.amdhsa_wavefront_size32 1
		.amdhsa_uses_dynamic_stack 0
		.amdhsa_enable_private_segment 0
		.amdhsa_system_sgpr_workgroup_id_x 1
		.amdhsa_system_sgpr_workgroup_id_y 0
		.amdhsa_system_sgpr_workgroup_id_z 0
		.amdhsa_system_sgpr_workgroup_info 0
		.amdhsa_system_vgpr_workitem_id 0
		.amdhsa_next_free_vgpr 18
		.amdhsa_next_free_sgpr 14
		.amdhsa_named_barrier_count 0
		.amdhsa_reserve_vcc 1
		.amdhsa_float_round_mode_32 0
		.amdhsa_float_round_mode_16_64 0
		.amdhsa_float_denorm_mode_32 3
		.amdhsa_float_denorm_mode_16_64 3
		.amdhsa_fp16_overflow 0
		.amdhsa_memory_ordered 1
		.amdhsa_forward_progress 1
		.amdhsa_inst_pref_size 12
		.amdhsa_round_robin_scheduling 0
		.amdhsa_exception_fp_ieee_invalid_op 0
		.amdhsa_exception_fp_denorm_src 0
		.amdhsa_exception_fp_ieee_div_zero 0
		.amdhsa_exception_fp_ieee_overflow 0
		.amdhsa_exception_fp_ieee_underflow 0
		.amdhsa_exception_fp_ieee_inexact 0
		.amdhsa_exception_int_div_zero 0
	.end_amdhsa_kernel
	.section	.text._ZN2at6native12_GLOBAL__N_125multi_tensor_apply_kernelINS1_18TensorListMetadataILi1EEENS0_13LpNormFunctorIN3c104HalfELNS0_8NormTypeE1EfLi1ELi1ELi0EEEJPfiEEEvT_T0_DpT1_,"axG",@progbits,_ZN2at6native12_GLOBAL__N_125multi_tensor_apply_kernelINS1_18TensorListMetadataILi1EEENS0_13LpNormFunctorIN3c104HalfELNS0_8NormTypeE1EfLi1ELi1ELi0EEEJPfiEEEvT_T0_DpT1_,comdat
.Lfunc_end93:
	.size	_ZN2at6native12_GLOBAL__N_125multi_tensor_apply_kernelINS1_18TensorListMetadataILi1EEENS0_13LpNormFunctorIN3c104HalfELNS0_8NormTypeE1EfLi1ELi1ELi0EEEJPfiEEEvT_T0_DpT1_, .Lfunc_end93-_ZN2at6native12_GLOBAL__N_125multi_tensor_apply_kernelINS1_18TensorListMetadataILi1EEENS0_13LpNormFunctorIN3c104HalfELNS0_8NormTypeE1EfLi1ELi1ELi0EEEJPfiEEEvT_T0_DpT1_
                                        ; -- End function
	.set _ZN2at6native12_GLOBAL__N_125multi_tensor_apply_kernelINS1_18TensorListMetadataILi1EEENS0_13LpNormFunctorIN3c104HalfELNS0_8NormTypeE1EfLi1ELi1ELi0EEEJPfiEEEvT_T0_DpT1_.num_vgpr, 18
	.set _ZN2at6native12_GLOBAL__N_125multi_tensor_apply_kernelINS1_18TensorListMetadataILi1EEENS0_13LpNormFunctorIN3c104HalfELNS0_8NormTypeE1EfLi1ELi1ELi0EEEJPfiEEEvT_T0_DpT1_.num_agpr, 0
	.set _ZN2at6native12_GLOBAL__N_125multi_tensor_apply_kernelINS1_18TensorListMetadataILi1EEENS0_13LpNormFunctorIN3c104HalfELNS0_8NormTypeE1EfLi1ELi1ELi0EEEJPfiEEEvT_T0_DpT1_.numbered_sgpr, 14
	.set _ZN2at6native12_GLOBAL__N_125multi_tensor_apply_kernelINS1_18TensorListMetadataILi1EEENS0_13LpNormFunctorIN3c104HalfELNS0_8NormTypeE1EfLi1ELi1ELi0EEEJPfiEEEvT_T0_DpT1_.num_named_barrier, 0
	.set _ZN2at6native12_GLOBAL__N_125multi_tensor_apply_kernelINS1_18TensorListMetadataILi1EEENS0_13LpNormFunctorIN3c104HalfELNS0_8NormTypeE1EfLi1ELi1ELi0EEEJPfiEEEvT_T0_DpT1_.private_seg_size, 0
	.set _ZN2at6native12_GLOBAL__N_125multi_tensor_apply_kernelINS1_18TensorListMetadataILi1EEENS0_13LpNormFunctorIN3c104HalfELNS0_8NormTypeE1EfLi1ELi1ELi0EEEJPfiEEEvT_T0_DpT1_.uses_vcc, 1
	.set _ZN2at6native12_GLOBAL__N_125multi_tensor_apply_kernelINS1_18TensorListMetadataILi1EEENS0_13LpNormFunctorIN3c104HalfELNS0_8NormTypeE1EfLi1ELi1ELi0EEEJPfiEEEvT_T0_DpT1_.uses_flat_scratch, 0
	.set _ZN2at6native12_GLOBAL__N_125multi_tensor_apply_kernelINS1_18TensorListMetadataILi1EEENS0_13LpNormFunctorIN3c104HalfELNS0_8NormTypeE1EfLi1ELi1ELi0EEEJPfiEEEvT_T0_DpT1_.has_dyn_sized_stack, 0
	.set _ZN2at6native12_GLOBAL__N_125multi_tensor_apply_kernelINS1_18TensorListMetadataILi1EEENS0_13LpNormFunctorIN3c104HalfELNS0_8NormTypeE1EfLi1ELi1ELi0EEEJPfiEEEvT_T0_DpT1_.has_recursion, 0
	.set _ZN2at6native12_GLOBAL__N_125multi_tensor_apply_kernelINS1_18TensorListMetadataILi1EEENS0_13LpNormFunctorIN3c104HalfELNS0_8NormTypeE1EfLi1ELi1ELi0EEEJPfiEEEvT_T0_DpT1_.has_indirect_call, 0
	.section	.AMDGPU.csdata,"",@progbits
; Kernel info:
; codeLenInByte = 1444
; TotalNumSgprs: 16
; NumVgprs: 18
; ScratchSize: 0
; MemoryBound: 0
; FloatMode: 240
; IeeeMode: 1
; LDSByteSize: 2048 bytes/workgroup (compile time only)
; SGPRBlocks: 0
; VGPRBlocks: 1
; NumSGPRsForWavesPerEU: 16
; NumVGPRsForWavesPerEU: 18
; NamedBarCnt: 0
; Occupancy: 16
; WaveLimiterHint : 0
; COMPUTE_PGM_RSRC2:SCRATCH_EN: 0
; COMPUTE_PGM_RSRC2:USER_SGPR: 2
; COMPUTE_PGM_RSRC2:TRAP_HANDLER: 0
; COMPUTE_PGM_RSRC2:TGID_X_EN: 1
; COMPUTE_PGM_RSRC2:TGID_Y_EN: 0
; COMPUTE_PGM_RSRC2:TGID_Z_EN: 0
; COMPUTE_PGM_RSRC2:TIDIG_COMP_CNT: 0
	.section	.text._ZN2at6native12_GLOBAL__N_125multi_tensor_apply_kernelINS1_18TensorListMetadataILi1EEENS0_13LpNormFunctorIN3c104HalfELNS0_8NormTypeE2EfLi1ELi1ELi0EEEJPfiEEEvT_T0_DpT1_,"axG",@progbits,_ZN2at6native12_GLOBAL__N_125multi_tensor_apply_kernelINS1_18TensorListMetadataILi1EEENS0_13LpNormFunctorIN3c104HalfELNS0_8NormTypeE2EfLi1ELi1ELi0EEEJPfiEEEvT_T0_DpT1_,comdat
	.globl	_ZN2at6native12_GLOBAL__N_125multi_tensor_apply_kernelINS1_18TensorListMetadataILi1EEENS0_13LpNormFunctorIN3c104HalfELNS0_8NormTypeE2EfLi1ELi1ELi0EEEJPfiEEEvT_T0_DpT1_ ; -- Begin function _ZN2at6native12_GLOBAL__N_125multi_tensor_apply_kernelINS1_18TensorListMetadataILi1EEENS0_13LpNormFunctorIN3c104HalfELNS0_8NormTypeE2EfLi1ELi1ELi0EEEJPfiEEEvT_T0_DpT1_
	.p2align	8
	.type	_ZN2at6native12_GLOBAL__N_125multi_tensor_apply_kernelINS1_18TensorListMetadataILi1EEENS0_13LpNormFunctorIN3c104HalfELNS0_8NormTypeE2EfLi1ELi1ELi0EEEJPfiEEEvT_T0_DpT1_,@function
_ZN2at6native12_GLOBAL__N_125multi_tensor_apply_kernelINS1_18TensorListMetadataILi1EEENS0_13LpNormFunctorIN3c104HalfELNS0_8NormTypeE2EfLi1ELi1ELi0EEEJPfiEEEvT_T0_DpT1_: ; @_ZN2at6native12_GLOBAL__N_125multi_tensor_apply_kernelINS1_18TensorListMetadataILi1EEENS0_13LpNormFunctorIN3c104HalfELNS0_8NormTypeE2EfLi1ELi1ELi0EEEJPfiEEEvT_T0_DpT1_
; %bb.0:
	s_bfe_u32 s2, ttmp6, 0x4000c
	s_and_b32 s3, ttmp6, 15
	s_add_co_i32 s2, s2, 1
	s_getreg_b32 s4, hwreg(HW_REG_IB_STS2, 6, 4)
	s_mul_i32 s2, ttmp9, s2
	s_delay_alu instid0(SALU_CYCLE_1)
	s_add_co_i32 s3, s3, s2
	s_cmp_eq_u32 s4, 0
	s_cselect_b32 s2, ttmp9, s3
	s_mov_b32 s3, 0
	v_mov_b32_e32 v1, s2
	s_add_nc_u64 s[4:5], s[0:1], s[2:3]
	s_mul_u64 s[6:7], s[2:3], 3
	s_delay_alu instid0(SALU_CYCLE_1) | instskip(SKIP_4) | instid1(SALU_CYCLE_1)
	s_add_nc_u64 s[4:5], s[4:5], s[6:7]
	global_load_u8 v13, v1, s[0:1] offset:1760
	s_load_b32 s4, s[4:5], 0x820
	s_wait_kmcnt 0x0
	s_ashr_i32 s5, s4, 31
	s_lshl_b64 s[10:11], s[4:5], 17
	s_lshl_b64 s[12:13], s[4:5], 16
	s_wait_loadcnt 0x0
	v_readfirstlane_b32 s2, v13
	s_and_b32 s2, s2, 0xff
	s_clause 0x1
	s_load_b64 s[6:7], s[0:1], s2 offset:0x0 scale_offset
	s_load_b64 s[8:9], s[0:1], s2 offset:0x370 scale_offset
	s_wait_kmcnt 0x0
	s_add_nc_u64 s[6:7], s[6:7], s[10:11]
	s_and_b32 s2, s8, 3
	s_and_b64 s[10:11], s[6:7], 7
	s_sub_nc_u64 s[8:9], s[8:9], s[12:13]
	s_or_b64 s[10:11], s[2:3], s[10:11]
	s_delay_alu instid0(SALU_CYCLE_1)
	s_cmp_eq_u64 s[10:11], 0
	s_cbranch_scc1 .LBB94_12
; %bb.1:
	v_cmp_lt_i64_e64 s2, s[8:9], 1
	s_and_b32 vcc_lo, exec_lo, s2
	s_cbranch_vccnz .LBB94_28
; %bb.2:
	s_load_b32 s2, s[0:1], 0xd4c
	v_min_i64 v[10:11], 0x10000, s[8:9]
	s_mov_b32 s11, 0
	s_mov_b64 s[12:13], 0
	s_wait_kmcnt 0x0
	s_and_b32 s2, s2, 0xffff
	s_delay_alu instid0(SALU_CYCLE_1) | instskip(SKIP_3) | instid1(VALU_DEP_3)
	v_dual_mov_b32 v7, 0 :: v_dual_add_nc_u32 v16, s2, v0
	v_mad_u32 v12, s2, 3, v0
	v_lshl_add_u32 v14, s2, 1, v0
	s_lshl_b32 s10, s2, 2
	v_dual_mov_b32 v6, v7 :: v_dual_mov_b32 v8, v7
	v_mov_b32_e32 v9, v7
	s_delay_alu instid0(VALU_DEP_2) | instskip(NEXT) | instid1(VALU_DEP_2)
	v_mov_b64_e32 v[2:3], v[6:7]
	v_mov_b64_e32 v[4:5], v[8:9]
	s_branch .LBB94_4
.LBB94_3:                               ;   in Loop: Header=BB94_4 Depth=1
	s_or_b32 exec_lo, exec_lo, s2
	s_add_nc_u64 s[12:13], s[12:13], s[10:11]
	s_delay_alu instid0(SALU_CYCLE_1)
	v_cmp_lt_i64_e32 vcc_lo, s[12:13], v[10:11]
	s_cbranch_vccz .LBB94_13
.LBB94_4:                               ; =>This Inner Loop Header: Depth=1
	v_add_nc_u32_e32 v6, s12, v0
	s_delay_alu instid0(VALU_DEP_1) | instskip(SKIP_2) | instid1(SALU_CYCLE_1)
	v_cmp_gt_i64_e32 vcc_lo, s[8:9], v[6:7]
	v_cmp_gt_u32_e64 s2, 0x10000, v6
	s_and_b32 s5, s2, vcc_lo
	s_and_saveexec_b32 s2, s5
	s_cbranch_execz .LBB94_6
; %bb.5:                                ;   in Loop: Header=BB94_4 Depth=1
	v_lshl_add_u64 v[8:9], v[6:7], 1, s[6:7]
	global_load_u16 v1, v[8:9], off
	s_wait_loadcnt 0x0
	v_fma_mix_f32 v2, v1, v1, v2 op_sel_hi:[1,1,0]
.LBB94_6:                               ;   in Loop: Header=BB94_4 Depth=1
	s_or_b32 exec_lo, exec_lo, s2
	v_add_nc_u32_e32 v6, s12, v16
	s_delay_alu instid0(VALU_DEP_1) | instskip(SKIP_2) | instid1(SALU_CYCLE_1)
	v_cmp_gt_i64_e32 vcc_lo, s[8:9], v[6:7]
	v_cmp_gt_u32_e64 s2, 0x10000, v6
	s_and_b32 s5, s2, vcc_lo
	s_and_saveexec_b32 s2, s5
	s_cbranch_execz .LBB94_8
; %bb.7:                                ;   in Loop: Header=BB94_4 Depth=1
	v_lshl_add_u64 v[8:9], v[6:7], 1, s[6:7]
	global_load_u16 v1, v[8:9], off
	s_wait_loadcnt 0x0
	v_fma_mix_f32 v3, v1, v1, v3 op_sel_hi:[1,1,0]
.LBB94_8:                               ;   in Loop: Header=BB94_4 Depth=1
	s_or_b32 exec_lo, exec_lo, s2
	v_add_nc_u32_e32 v6, s12, v14
	s_delay_alu instid0(VALU_DEP_1) | instskip(SKIP_2) | instid1(SALU_CYCLE_1)
	v_cmp_gt_i64_e32 vcc_lo, s[8:9], v[6:7]
	v_cmp_gt_u32_e64 s2, 0x10000, v6
	s_and_b32 s5, s2, vcc_lo
	s_and_saveexec_b32 s2, s5
	s_cbranch_execz .LBB94_10
; %bb.9:                                ;   in Loop: Header=BB94_4 Depth=1
	v_lshl_add_u64 v[8:9], v[6:7], 1, s[6:7]
	global_load_u16 v1, v[8:9], off
	s_wait_loadcnt 0x0
	v_fma_mix_f32 v4, v1, v1, v4 op_sel_hi:[1,1,0]
.LBB94_10:                              ;   in Loop: Header=BB94_4 Depth=1
	s_or_b32 exec_lo, exec_lo, s2
	v_add_nc_u32_e32 v6, s12, v12
	s_delay_alu instid0(VALU_DEP_1) | instskip(SKIP_2) | instid1(SALU_CYCLE_1)
	v_cmp_gt_i64_e32 vcc_lo, s[8:9], v[6:7]
	v_cmp_gt_u32_e64 s2, 0x10000, v6
	s_and_b32 s5, s2, vcc_lo
	s_and_saveexec_b32 s2, s5
	s_cbranch_execz .LBB94_3
; %bb.11:                               ;   in Loop: Header=BB94_4 Depth=1
	v_lshl_add_u64 v[8:9], v[6:7], 1, s[6:7]
	global_load_u16 v1, v[8:9], off
	s_wait_loadcnt 0x0
	v_fma_mix_f32 v5, v1, v1, v5 op_sel_hi:[1,1,0]
	s_branch .LBB94_3
.LBB94_12:
	s_mov_b32 s3, -1
                                        ; implicit-def: $vgpr2_vgpr3_vgpr4_vgpr5
.LBB94_13:
	s_delay_alu instid0(SALU_CYCLE_1)
	s_and_not1_b32 vcc_lo, exec_lo, s3
	s_cbranch_vccnz .LBB94_19
.LBB94_14:
	v_min_i64 v[6:7], 0x10000, s[8:9]
	v_dual_mov_b32 v2, 0 :: v_dual_lshlrev_b32 v4, 2, v0
	s_mov_b32 s3, 0
	s_delay_alu instid0(VALU_DEP_1) | instskip(NEXT) | instid1(VALU_DEP_1)
	v_dual_mov_b32 v5, v2 :: v_dual_mov_b32 v3, v2
	v_cmp_lt_i64_e32 vcc_lo, v[4:5], v[6:7]
	v_mov_b32_e32 v4, v2
	s_and_saveexec_b32 s5, vcc_lo
	s_cbranch_execz .LBB94_18
; %bb.15:
	s_load_b32 s2, s[0:1], 0xd4c
	v_dual_mov_b32 v5, v2 :: v_dual_lshlrev_b32 v4, 3, v0
	v_dual_mov_b32 v1, v2 :: v_dual_mov_b32 v3, v2
	s_mov_b32 s8, s3
	s_delay_alu instid0(VALU_DEP_2) | instskip(NEXT) | instid1(VALU_DEP_2)
	v_add_nc_u64_e32 v[8:9], s[6:7], v[4:5]
	v_mov_b64_e32 v[10:11], v[0:1]
	v_mov_b32_e32 v4, v2
	s_mov_b32 s7, s3
	s_delay_alu instid0(VALU_DEP_3) | instskip(SKIP_2) | instid1(SALU_CYCLE_1)
	v_add_nc_u64_e32 v[8:9], 4, v[8:9]
	s_wait_kmcnt 0x0
	s_and_b32 s2, s2, 0xffff
	s_lshl_b32 s6, s2, 3
.LBB94_16:                              ; =>This Inner Loop Header: Depth=1
	global_load_b64 v[14:15], v[8:9], off offset:-4
	v_add_nc_u64_e32 v[10:11], s[2:3], v[10:11]
	s_wait_xcnt 0x0
	v_add_nc_u64_e32 v[8:9], s[6:7], v[8:9]
	s_delay_alu instid0(VALU_DEP_2) | instskip(NEXT) | instid1(VALU_DEP_1)
	v_lshlrev_b64_e32 v[16:17], 2, v[10:11]
	v_cmp_ge_i64_e32 vcc_lo, v[16:17], v[6:7]
	s_or_b32 s8, vcc_lo, s8
	s_wait_loadcnt 0x0
	v_dual_lshrrev_b32 v1, 16, v15 :: v_dual_lshrrev_b32 v12, 16, v14
	v_cvt_f32_f16_e32 v14, v14
	v_cvt_f32_f16_e32 v16, v15
	s_delay_alu instid0(VALU_DEP_3) | instskip(NEXT) | instid1(VALU_DEP_4)
	v_cvt_f32_f16_e32 v17, v1
	v_cvt_f32_f16_e32 v15, v12
	s_delay_alu instid0(VALU_DEP_2) | instskip(NEXT) | instid1(VALU_DEP_2)
	v_pk_fma_f32 v[4:5], v[16:17], v[16:17], v[4:5]
	v_pk_fma_f32 v[2:3], v[14:15], v[14:15], v[2:3]
	s_and_not1_b32 exec_lo, exec_lo, s8
	s_cbranch_execnz .LBB94_16
; %bb.17:
	s_or_b32 exec_lo, exec_lo, s8
.LBB94_18:
	s_delay_alu instid0(SALU_CYCLE_1)
	s_or_b32 exec_lo, exec_lo, s5
.LBB94_19:
	v_add_f32_e32 v1, 0, v2
	v_mbcnt_lo_u32_b32 v6, -1, 0
	s_mov_b32 s2, exec_lo
	s_barrier_signal -1
	s_delay_alu instid0(VALU_DEP_2) | instskip(NEXT) | instid1(VALU_DEP_2)
	v_add_f32_e32 v1, v3, v1
	v_cmp_gt_u32_e32 vcc_lo, 24, v6
	s_barrier_wait -1
	s_delay_alu instid0(VALU_DEP_2) | instskip(SKIP_1) | instid1(VALU_DEP_2)
	v_add_f32_e32 v2, v4, v1
	v_lshl_or_b32 v1, v6, 2, 64
	v_add_f32_e32 v3, v5, v2
	v_cndmask_b32_e64 v2, 0, 8, vcc_lo
	v_cmp_gt_u32_e32 vcc_lo, 28, v6
	ds_bpermute_b32 v4, v1, v3
	v_add_lshl_u32 v2, v2, v6, 2
	s_wait_dscnt 0x0
	v_add_f32_e32 v4, v3, v4
	v_cndmask_b32_e64 v3, 0, 4, vcc_lo
	v_cmp_gt_u32_e32 vcc_lo, 30, v6
	ds_bpermute_b32 v5, v2, v4
	v_add_lshl_u32 v3, v3, v6, 2
	s_wait_dscnt 0x0
	v_add_f32_e32 v5, v4, v5
	v_cndmask_b32_e64 v4, 0, 2, vcc_lo
	v_cmp_ne_u32_e32 vcc_lo, 31, v6
	ds_bpermute_b32 v7, v3, v5
	v_add_lshl_u32 v4, v4, v6, 2
	v_add_co_ci_u32_e64 v8, null, 0, v6, vcc_lo
	s_wait_dscnt 0x0
	v_add_f32_e32 v5, v5, v7
	ds_bpermute_b32 v7, v4, v5
	s_wait_dscnt 0x0
	v_dual_add_f32 v6, v5, v7 :: v_dual_lshlrev_b32 v5, 2, v8
	v_and_b32_e32 v7, 31, v0
	ds_bpermute_b32 v8, v5, v6
	v_cmpx_eq_u32_e32 0, v7
	s_cbranch_execz .LBB94_21
; %bb.20:
	v_lshrrev_b32_e32 v9, 3, v0
	s_wait_dscnt 0x0
	v_add_f32_e32 v6, v6, v8
	ds_store_b32 v9, v6
.LBB94_21:
	s_or_b32 exec_lo, exec_lo, s2
	s_wait_dscnt 0x0
	s_barrier_signal -1
	s_barrier_wait -1
	s_load_b32 s2, s[0:1], 0xd4c
	v_mov_b32_e32 v6, 0
	s_wait_kmcnt 0x0
	s_bfe_u32 s2, s2, 0xb0005
	s_delay_alu instid0(SALU_CYCLE_1)
	v_cmp_gt_u32_e32 vcc_lo, s2, v0
	s_and_saveexec_b32 s2, vcc_lo
; %bb.22:
	v_lshlrev_b32_e32 v6, 2, v7
	ds_load_b32 v6, v6
; %bb.23:
	s_or_b32 exec_lo, exec_lo, s2
	s_delay_alu instid0(SALU_CYCLE_1)
	s_mov_b32 s2, exec_lo
	v_cmpx_gt_u32_e32 32, v0
	s_cbranch_execz .LBB94_25
; %bb.24:
	s_wait_dscnt 0x0
	ds_bpermute_b32 v1, v1, v6
	s_wait_dscnt 0x0
	v_add_f32_e32 v1, v6, v1
	ds_bpermute_b32 v2, v2, v1
	s_wait_dscnt 0x0
	v_add_f32_e32 v1, v1, v2
	;; [unrolled: 3-line block ×5, first 2 shown]
.LBB94_25:
	s_or_b32 exec_lo, exec_lo, s2
	s_delay_alu instid0(SALU_CYCLE_1)
	s_mov_b32 s2, exec_lo
	v_cmpx_eq_u32_e32 0, v0
	s_cbranch_execz .LBB94_27
; %bb.26:
	s_clause 0x1
	s_load_b32 s2, s[0:1], 0xd20
	s_load_b96 s[8:10], s[0:1], 0xd30
	v_and_b32_e32 v0, 0xff, v13
	s_wait_kmcnt 0x0
	s_delay_alu instid0(VALU_DEP_1) | instskip(NEXT) | instid1(VALU_DEP_1)
	v_add_nc_u32_e32 v0, s2, v0
	v_mul_lo_u32 v0, v0, s10
	s_delay_alu instid0(VALU_DEP_1)
	v_add_nc_u32_e32 v0, s4, v0
	s_wait_dscnt 0x0
	global_store_b32 v0, v6, s[8:9] scale_offset
.LBB94_27:
	s_endpgm
.LBB94_28:
	v_mov_b32_e32 v2, 0
	s_delay_alu instid0(VALU_DEP_1)
	v_dual_mov_b32 v3, v2 :: v_dual_mov_b32 v4, v2
	v_mov_b32_e32 v5, v2
	s_and_not1_b32 vcc_lo, exec_lo, s3
	s_cbranch_vccz .LBB94_14
	s_branch .LBB94_19
	.section	.rodata,"a",@progbits
	.p2align	6, 0x0
	.amdhsa_kernel _ZN2at6native12_GLOBAL__N_125multi_tensor_apply_kernelINS1_18TensorListMetadataILi1EEENS0_13LpNormFunctorIN3c104HalfELNS0_8NormTypeE2EfLi1ELi1ELi0EEEJPfiEEEvT_T0_DpT1_
		.amdhsa_group_segment_fixed_size 2048
		.amdhsa_private_segment_fixed_size 0
		.amdhsa_kernarg_size 3648
		.amdhsa_user_sgpr_count 2
		.amdhsa_user_sgpr_dispatch_ptr 0
		.amdhsa_user_sgpr_queue_ptr 0
		.amdhsa_user_sgpr_kernarg_segment_ptr 1
		.amdhsa_user_sgpr_dispatch_id 0
		.amdhsa_user_sgpr_kernarg_preload_length 0
		.amdhsa_user_sgpr_kernarg_preload_offset 0
		.amdhsa_user_sgpr_private_segment_size 0
		.amdhsa_wavefront_size32 1
		.amdhsa_uses_dynamic_stack 0
		.amdhsa_enable_private_segment 0
		.amdhsa_system_sgpr_workgroup_id_x 1
		.amdhsa_system_sgpr_workgroup_id_y 0
		.amdhsa_system_sgpr_workgroup_id_z 0
		.amdhsa_system_sgpr_workgroup_info 0
		.amdhsa_system_vgpr_workitem_id 0
		.amdhsa_next_free_vgpr 18
		.amdhsa_next_free_sgpr 14
		.amdhsa_named_barrier_count 0
		.amdhsa_reserve_vcc 1
		.amdhsa_float_round_mode_32 0
		.amdhsa_float_round_mode_16_64 0
		.amdhsa_float_denorm_mode_32 3
		.amdhsa_float_denorm_mode_16_64 3
		.amdhsa_fp16_overflow 0
		.amdhsa_memory_ordered 1
		.amdhsa_forward_progress 1
		.amdhsa_inst_pref_size 11
		.amdhsa_round_robin_scheduling 0
		.amdhsa_exception_fp_ieee_invalid_op 0
		.amdhsa_exception_fp_denorm_src 0
		.amdhsa_exception_fp_ieee_div_zero 0
		.amdhsa_exception_fp_ieee_overflow 0
		.amdhsa_exception_fp_ieee_underflow 0
		.amdhsa_exception_fp_ieee_inexact 0
		.amdhsa_exception_int_div_zero 0
	.end_amdhsa_kernel
	.section	.text._ZN2at6native12_GLOBAL__N_125multi_tensor_apply_kernelINS1_18TensorListMetadataILi1EEENS0_13LpNormFunctorIN3c104HalfELNS0_8NormTypeE2EfLi1ELi1ELi0EEEJPfiEEEvT_T0_DpT1_,"axG",@progbits,_ZN2at6native12_GLOBAL__N_125multi_tensor_apply_kernelINS1_18TensorListMetadataILi1EEENS0_13LpNormFunctorIN3c104HalfELNS0_8NormTypeE2EfLi1ELi1ELi0EEEJPfiEEEvT_T0_DpT1_,comdat
.Lfunc_end94:
	.size	_ZN2at6native12_GLOBAL__N_125multi_tensor_apply_kernelINS1_18TensorListMetadataILi1EEENS0_13LpNormFunctorIN3c104HalfELNS0_8NormTypeE2EfLi1ELi1ELi0EEEJPfiEEEvT_T0_DpT1_, .Lfunc_end94-_ZN2at6native12_GLOBAL__N_125multi_tensor_apply_kernelINS1_18TensorListMetadataILi1EEENS0_13LpNormFunctorIN3c104HalfELNS0_8NormTypeE2EfLi1ELi1ELi0EEEJPfiEEEvT_T0_DpT1_
                                        ; -- End function
	.set _ZN2at6native12_GLOBAL__N_125multi_tensor_apply_kernelINS1_18TensorListMetadataILi1EEENS0_13LpNormFunctorIN3c104HalfELNS0_8NormTypeE2EfLi1ELi1ELi0EEEJPfiEEEvT_T0_DpT1_.num_vgpr, 18
	.set _ZN2at6native12_GLOBAL__N_125multi_tensor_apply_kernelINS1_18TensorListMetadataILi1EEENS0_13LpNormFunctorIN3c104HalfELNS0_8NormTypeE2EfLi1ELi1ELi0EEEJPfiEEEvT_T0_DpT1_.num_agpr, 0
	.set _ZN2at6native12_GLOBAL__N_125multi_tensor_apply_kernelINS1_18TensorListMetadataILi1EEENS0_13LpNormFunctorIN3c104HalfELNS0_8NormTypeE2EfLi1ELi1ELi0EEEJPfiEEEvT_T0_DpT1_.numbered_sgpr, 14
	.set _ZN2at6native12_GLOBAL__N_125multi_tensor_apply_kernelINS1_18TensorListMetadataILi1EEENS0_13LpNormFunctorIN3c104HalfELNS0_8NormTypeE2EfLi1ELi1ELi0EEEJPfiEEEvT_T0_DpT1_.num_named_barrier, 0
	.set _ZN2at6native12_GLOBAL__N_125multi_tensor_apply_kernelINS1_18TensorListMetadataILi1EEENS0_13LpNormFunctorIN3c104HalfELNS0_8NormTypeE2EfLi1ELi1ELi0EEEJPfiEEEvT_T0_DpT1_.private_seg_size, 0
	.set _ZN2at6native12_GLOBAL__N_125multi_tensor_apply_kernelINS1_18TensorListMetadataILi1EEENS0_13LpNormFunctorIN3c104HalfELNS0_8NormTypeE2EfLi1ELi1ELi0EEEJPfiEEEvT_T0_DpT1_.uses_vcc, 1
	.set _ZN2at6native12_GLOBAL__N_125multi_tensor_apply_kernelINS1_18TensorListMetadataILi1EEENS0_13LpNormFunctorIN3c104HalfELNS0_8NormTypeE2EfLi1ELi1ELi0EEEJPfiEEEvT_T0_DpT1_.uses_flat_scratch, 0
	.set _ZN2at6native12_GLOBAL__N_125multi_tensor_apply_kernelINS1_18TensorListMetadataILi1EEENS0_13LpNormFunctorIN3c104HalfELNS0_8NormTypeE2EfLi1ELi1ELi0EEEJPfiEEEvT_T0_DpT1_.has_dyn_sized_stack, 0
	.set _ZN2at6native12_GLOBAL__N_125multi_tensor_apply_kernelINS1_18TensorListMetadataILi1EEENS0_13LpNormFunctorIN3c104HalfELNS0_8NormTypeE2EfLi1ELi1ELi0EEEJPfiEEEvT_T0_DpT1_.has_recursion, 0
	.set _ZN2at6native12_GLOBAL__N_125multi_tensor_apply_kernelINS1_18TensorListMetadataILi1EEENS0_13LpNormFunctorIN3c104HalfELNS0_8NormTypeE2EfLi1ELi1ELi0EEEJPfiEEEvT_T0_DpT1_.has_indirect_call, 0
	.section	.AMDGPU.csdata,"",@progbits
; Kernel info:
; codeLenInByte = 1396
; TotalNumSgprs: 16
; NumVgprs: 18
; ScratchSize: 0
; MemoryBound: 0
; FloatMode: 240
; IeeeMode: 1
; LDSByteSize: 2048 bytes/workgroup (compile time only)
; SGPRBlocks: 0
; VGPRBlocks: 1
; NumSGPRsForWavesPerEU: 16
; NumVGPRsForWavesPerEU: 18
; NamedBarCnt: 0
; Occupancy: 16
; WaveLimiterHint : 0
; COMPUTE_PGM_RSRC2:SCRATCH_EN: 0
; COMPUTE_PGM_RSRC2:USER_SGPR: 2
; COMPUTE_PGM_RSRC2:TRAP_HANDLER: 0
; COMPUTE_PGM_RSRC2:TGID_X_EN: 1
; COMPUTE_PGM_RSRC2:TGID_Y_EN: 0
; COMPUTE_PGM_RSRC2:TGID_Z_EN: 0
; COMPUTE_PGM_RSRC2:TIDIG_COMP_CNT: 0
	.section	.text._ZN2at6native12_GLOBAL__N_125multi_tensor_apply_kernelINS1_18TensorListMetadataILi1EEENS0_13LpNormFunctorIN3c104HalfELNS0_8NormTypeE3EfLi1ELi1ELi0EEEJPfiEEEvT_T0_DpT1_,"axG",@progbits,_ZN2at6native12_GLOBAL__N_125multi_tensor_apply_kernelINS1_18TensorListMetadataILi1EEENS0_13LpNormFunctorIN3c104HalfELNS0_8NormTypeE3EfLi1ELi1ELi0EEEJPfiEEEvT_T0_DpT1_,comdat
	.globl	_ZN2at6native12_GLOBAL__N_125multi_tensor_apply_kernelINS1_18TensorListMetadataILi1EEENS0_13LpNormFunctorIN3c104HalfELNS0_8NormTypeE3EfLi1ELi1ELi0EEEJPfiEEEvT_T0_DpT1_ ; -- Begin function _ZN2at6native12_GLOBAL__N_125multi_tensor_apply_kernelINS1_18TensorListMetadataILi1EEENS0_13LpNormFunctorIN3c104HalfELNS0_8NormTypeE3EfLi1ELi1ELi0EEEJPfiEEEvT_T0_DpT1_
	.p2align	8
	.type	_ZN2at6native12_GLOBAL__N_125multi_tensor_apply_kernelINS1_18TensorListMetadataILi1EEENS0_13LpNormFunctorIN3c104HalfELNS0_8NormTypeE3EfLi1ELi1ELi0EEEJPfiEEEvT_T0_DpT1_,@function
_ZN2at6native12_GLOBAL__N_125multi_tensor_apply_kernelINS1_18TensorListMetadataILi1EEENS0_13LpNormFunctorIN3c104HalfELNS0_8NormTypeE3EfLi1ELi1ELi0EEEJPfiEEEvT_T0_DpT1_: ; @_ZN2at6native12_GLOBAL__N_125multi_tensor_apply_kernelINS1_18TensorListMetadataILi1EEENS0_13LpNormFunctorIN3c104HalfELNS0_8NormTypeE3EfLi1ELi1ELi0EEEJPfiEEEvT_T0_DpT1_
; %bb.0:
	s_bfe_u32 s2, ttmp6, 0x4000c
	s_and_b32 s3, ttmp6, 15
	s_add_co_i32 s2, s2, 1
	s_getreg_b32 s4, hwreg(HW_REG_IB_STS2, 6, 4)
	s_mul_i32 s2, ttmp9, s2
	s_delay_alu instid0(SALU_CYCLE_1)
	s_add_co_i32 s3, s3, s2
	s_cmp_eq_u32 s4, 0
	s_cselect_b32 s2, ttmp9, s3
	s_mov_b32 s3, 0
	v_mov_b32_e32 v1, s2
	s_add_nc_u64 s[4:5], s[0:1], s[2:3]
	s_mul_u64 s[6:7], s[2:3], 3
	s_delay_alu instid0(SALU_CYCLE_1) | instskip(SKIP_4) | instid1(SALU_CYCLE_1)
	s_add_nc_u64 s[4:5], s[4:5], s[6:7]
	global_load_u8 v15, v1, s[0:1] offset:1760
	s_load_b32 s10, s[4:5], 0x820
	s_wait_kmcnt 0x0
	s_ashr_i32 s11, s10, 31
	s_lshl_b64 s[8:9], s[10:11], 17
	s_lshl_b64 s[12:13], s[10:11], 16
	s_wait_loadcnt 0x0
	v_readfirstlane_b32 s2, v15
	s_and_b32 s2, s2, 0xff
	s_clause 0x1
	s_load_b64 s[4:5], s[0:1], s2 offset:0x0 scale_offset
	s_load_b64 s[6:7], s[0:1], s2 offset:0x370 scale_offset
	s_wait_kmcnt 0x0
	s_add_nc_u64 s[4:5], s[4:5], s[8:9]
	s_and_b32 s2, s6, 3
	s_and_b64 s[8:9], s[4:5], 7
	s_sub_nc_u64 s[6:7], s[6:7], s[12:13]
	s_or_b64 s[8:9], s[2:3], s[8:9]
	s_delay_alu instid0(SALU_CYCLE_1)
	s_cmp_eq_u64 s[8:9], 0
	s_cbranch_scc1 .LBB95_12
; %bb.1:
	v_cmp_lt_i64_e64 s2, s[6:7], 1
	s_and_b32 vcc_lo, exec_lo, s2
	s_cbranch_vccnz .LBB95_28
; %bb.2:
	s_load_b32 s2, s[0:1], 0xd4c
	v_min_i64 v[10:11], 0x10000, s[6:7]
	s_mov_b32 s9, 0
	s_mov_b64 s[12:13], 0
	s_wait_kmcnt 0x0
	s_and_b32 s2, s2, 0xffff
	s_delay_alu instid0(SALU_CYCLE_1) | instskip(SKIP_3) | instid1(VALU_DEP_3)
	v_dual_mov_b32 v7, 0 :: v_dual_add_nc_u32 v16, s2, v0
	v_mad_u32 v12, s2, 3, v0
	v_lshl_add_u32 v14, s2, 1, v0
	s_lshl_b32 s8, s2, 2
	v_dual_mov_b32 v6, v7 :: v_dual_mov_b32 v8, v7
	v_mov_b32_e32 v9, v7
	s_delay_alu instid0(VALU_DEP_2) | instskip(NEXT) | instid1(VALU_DEP_2)
	v_mov_b64_e32 v[2:3], v[6:7]
	v_mov_b64_e32 v[4:5], v[8:9]
	s_branch .LBB95_4
.LBB95_3:                               ;   in Loop: Header=BB95_4 Depth=1
	s_or_b32 exec_lo, exec_lo, s11
	s_add_nc_u64 s[12:13], s[12:13], s[8:9]
	s_delay_alu instid0(SALU_CYCLE_1)
	v_cmp_lt_i64_e32 vcc_lo, s[12:13], v[10:11]
	s_cbranch_vccz .LBB95_13
.LBB95_4:                               ; =>This Inner Loop Header: Depth=1
	v_add_nc_u32_e32 v6, s12, v0
	s_delay_alu instid0(VALU_DEP_1) | instskip(SKIP_2) | instid1(SALU_CYCLE_1)
	v_cmp_gt_i64_e32 vcc_lo, s[6:7], v[6:7]
	v_cmp_gt_u32_e64 s2, 0x10000, v6
	s_and_b32 s2, s2, vcc_lo
	s_and_saveexec_b32 s11, s2
	s_cbranch_execz .LBB95_6
; %bb.5:                                ;   in Loop: Header=BB95_4 Depth=1
	v_lshl_add_u64 v[8:9], v[6:7], 1, s[4:5]
	global_load_u16 v1, v[8:9], off
	s_wait_loadcnt 0x0
	v_cvt_f32_f16_e64 v6, |v1|
	v_cmp_u_f16_e32 vcc_lo, v1, v1
	s_delay_alu instid0(VALU_DEP_2)
	v_cmp_lt_f32_e64 s2, v2, v6
	s_or_b32 vcc_lo, vcc_lo, s2
	v_cndmask_b32_e32 v2, v2, v6, vcc_lo
.LBB95_6:                               ;   in Loop: Header=BB95_4 Depth=1
	s_or_b32 exec_lo, exec_lo, s11
	v_add_nc_u32_e32 v6, s12, v16
	s_delay_alu instid0(VALU_DEP_1) | instskip(SKIP_2) | instid1(SALU_CYCLE_1)
	v_cmp_gt_i64_e32 vcc_lo, s[6:7], v[6:7]
	v_cmp_gt_u32_e64 s2, 0x10000, v6
	s_and_b32 s2, s2, vcc_lo
	s_and_saveexec_b32 s11, s2
	s_cbranch_execz .LBB95_8
; %bb.7:                                ;   in Loop: Header=BB95_4 Depth=1
	v_lshl_add_u64 v[8:9], v[6:7], 1, s[4:5]
	global_load_u16 v1, v[8:9], off
	s_wait_loadcnt 0x0
	v_cvt_f32_f16_e64 v6, |v1|
	v_cmp_u_f16_e32 vcc_lo, v1, v1
	s_delay_alu instid0(VALU_DEP_2)
	v_cmp_lt_f32_e64 s2, v3, v6
	s_or_b32 vcc_lo, vcc_lo, s2
	v_cndmask_b32_e32 v3, v3, v6, vcc_lo
.LBB95_8:                               ;   in Loop: Header=BB95_4 Depth=1
	s_or_b32 exec_lo, exec_lo, s11
	v_add_nc_u32_e32 v6, s12, v14
	s_delay_alu instid0(VALU_DEP_1) | instskip(SKIP_2) | instid1(SALU_CYCLE_1)
	v_cmp_gt_i64_e32 vcc_lo, s[6:7], v[6:7]
	v_cmp_gt_u32_e64 s2, 0x10000, v6
	s_and_b32 s2, s2, vcc_lo
	s_and_saveexec_b32 s11, s2
	s_cbranch_execz .LBB95_10
; %bb.9:                                ;   in Loop: Header=BB95_4 Depth=1
	v_lshl_add_u64 v[8:9], v[6:7], 1, s[4:5]
	global_load_u16 v1, v[8:9], off
	s_wait_loadcnt 0x0
	v_cvt_f32_f16_e64 v6, |v1|
	v_cmp_u_f16_e32 vcc_lo, v1, v1
	s_delay_alu instid0(VALU_DEP_2)
	v_cmp_lt_f32_e64 s2, v4, v6
	s_or_b32 vcc_lo, vcc_lo, s2
	v_cndmask_b32_e32 v4, v4, v6, vcc_lo
.LBB95_10:                              ;   in Loop: Header=BB95_4 Depth=1
	s_or_b32 exec_lo, exec_lo, s11
	v_add_nc_u32_e32 v6, s12, v12
	s_delay_alu instid0(VALU_DEP_1) | instskip(SKIP_2) | instid1(SALU_CYCLE_1)
	v_cmp_gt_i64_e32 vcc_lo, s[6:7], v[6:7]
	v_cmp_gt_u32_e64 s2, 0x10000, v6
	s_and_b32 s2, s2, vcc_lo
	s_and_saveexec_b32 s11, s2
	s_cbranch_execz .LBB95_3
; %bb.11:                               ;   in Loop: Header=BB95_4 Depth=1
	v_lshl_add_u64 v[8:9], v[6:7], 1, s[4:5]
	global_load_u16 v1, v[8:9], off
	s_wait_loadcnt 0x0
	v_cvt_f32_f16_e64 v6, |v1|
	v_cmp_u_f16_e32 vcc_lo, v1, v1
	s_delay_alu instid0(VALU_DEP_2)
	v_cmp_lt_f32_e64 s2, v5, v6
	s_or_b32 vcc_lo, vcc_lo, s2
	v_cndmask_b32_e32 v5, v5, v6, vcc_lo
	s_branch .LBB95_3
.LBB95_12:
	s_mov_b32 s3, -1
                                        ; implicit-def: $vgpr2_vgpr3_vgpr4_vgpr5
.LBB95_13:
	s_delay_alu instid0(SALU_CYCLE_1)
	s_and_not1_b32 vcc_lo, exec_lo, s3
	s_cbranch_vccnz .LBB95_19
.LBB95_14:
	v_min_i64 v[8:9], 0x10000, s[6:7]
	v_dual_mov_b32 v3, 0 :: v_dual_lshlrev_b32 v2, 2, v0
	s_mov_b32 s13, 0
	s_delay_alu instid0(VALU_DEP_1) | instskip(NEXT) | instid1(VALU_DEP_2)
	v_dual_mov_b32 v5, v3 :: v_dual_mov_b32 v4, v3
	v_cmp_lt_i64_e32 vcc_lo, v[2:3], v[8:9]
	v_mov_b32_e32 v2, v3
	s_and_saveexec_b32 s9, vcc_lo
	s_cbranch_execz .LBB95_18
; %bb.15:
	s_load_b32 s2, s[0:1], 0xd4c
	v_dual_mov_b32 v1, v3 :: v_dual_lshlrev_b32 v2, 3, v0
	v_dual_mov_b32 v5, 0 :: v_dual_mov_b32 v6, 0
	v_mov_b32_e32 v7, 0
	s_delay_alu instid0(VALU_DEP_3) | instskip(NEXT) | instid1(VALU_DEP_4)
	v_add_nc_u64_e32 v[10:11], s[4:5], v[2:3]
	v_mov_b64_e32 v[12:13], v[0:1]
	s_mov_b32 s15, s13
	s_mov_b32 s11, s13
	s_delay_alu instid0(VALU_DEP_2) | instskip(SKIP_2) | instid1(SALU_CYCLE_1)
	v_add_nc_u64_e32 v[10:11], 4, v[10:11]
	s_wait_kmcnt 0x0
	s_and_b32 s12, s2, 0xffff
	s_lshl_b32 s14, s12, 3
.LBB95_16:                              ; =>This Inner Loop Header: Depth=1
	global_load_b64 v[16:17], v[10:11], off offset:-4
	v_add_nc_u64_e32 v[12:13], s[12:13], v[12:13]
	s_wait_xcnt 0x0
	v_add_nc_u64_e32 v[10:11], s[14:15], v[10:11]
	s_delay_alu instid0(VALU_DEP_2) | instskip(NEXT) | instid1(VALU_DEP_1)
	v_lshlrev_b64_e32 v[18:19], 2, v[12:13]
	v_cmp_ge_i64_e32 vcc_lo, v[18:19], v[8:9]
	s_wait_loadcnt 0x0
	v_dual_lshrrev_b32 v1, 16, v16 :: v_dual_lshrrev_b32 v4, 16, v17
	v_cvt_f32_f16_e64 v2, |v16|
	v_cvt_f32_f16_e64 v14, |v17|
	v_cmp_u_f16_e64 s2, v16, v16
	s_delay_alu instid0(VALU_DEP_4)
	v_cvt_f32_f16_e64 v16, |v1|
	v_cmp_u_f16_e64 s3, v17, v17
	v_cmp_lt_f32_e64 s4, v3, v2
	v_cmp_lt_f32_e64 s6, v6, v14
	v_cmp_u_f16_e64 s5, v1, v1
	v_cvt_f32_f16_e64 v1, |v4|
	v_cmp_lt_f32_e64 s8, v5, v16
	s_or_b32 s2, s2, s4
	s_or_b32 s3, s3, s6
	v_cmp_u_f16_e64 s7, v4, v4
	v_cndmask_b32_e64 v6, v6, v14, s3
	s_or_b32 s3, s5, s8
	s_delay_alu instid0(SALU_CYCLE_1)
	v_dual_cndmask_b32 v3, v3, v2, s2 :: v_dual_cndmask_b32 v5, v5, v16, s3
	v_cmp_lt_f32_e64 s2, v7, v1
	s_or_b32 s2, s7, s2
	s_or_b32 s11, vcc_lo, s11
	v_cndmask_b32_e64 v7, v7, v1, s2
	s_and_not1_b32 exec_lo, exec_lo, s11
	s_cbranch_execnz .LBB95_16
; %bb.17:
	s_or_b32 exec_lo, exec_lo, s11
	v_mov_b32_e32 v4, v3
	s_delay_alu instid0(VALU_DEP_1)
	v_mov_b64_e32 v[2:3], v[4:5]
	v_mov_b64_e32 v[4:5], v[6:7]
.LBB95_18:
	s_or_b32 exec_lo, exec_lo, s9
.LBB95_19:
	s_delay_alu instid0(VALU_DEP_1)
	v_cmp_nge_f32_e32 vcc_lo, 0, v2
	v_mbcnt_lo_u32_b32 v6, -1, 0
	s_barrier_signal -1
	s_barrier_wait -1
	v_cndmask_b32_e32 v1, 0, v2, vcc_lo
	v_cmp_u_f32_e32 vcc_lo, v3, v3
	v_cmp_ne_u32_e64 s3, 31, v6
	s_delay_alu instid0(VALU_DEP_3) | instskip(NEXT) | instid1(VALU_DEP_2)
	v_cmp_lt_f32_e64 s2, v1, v3
	v_add_co_ci_u32_e64 v8, null, 0, v6, s3
	s_mov_b32 s3, exec_lo
	s_or_b32 vcc_lo, vcc_lo, s2
	v_cndmask_b32_e32 v1, v1, v3, vcc_lo
	v_cmp_u_f32_e32 vcc_lo, v4, v4
	s_delay_alu instid0(VALU_DEP_2) | instskip(SKIP_4) | instid1(VALU_DEP_3)
	v_cmp_lt_f32_e64 s2, v1, v4
	s_or_b32 vcc_lo, vcc_lo, s2
	v_cndmask_b32_e32 v2, v1, v4, vcc_lo
	v_cmp_u_f32_e32 vcc_lo, v5, v5
	v_lshl_or_b32 v1, v6, 2, 64
	v_cmp_lt_f32_e64 s2, v2, v5
	s_or_b32 vcc_lo, vcc_lo, s2
	v_cndmask_b32_e32 v3, v2, v5, vcc_lo
	v_cmp_gt_u32_e32 vcc_lo, 24, v6
	ds_bpermute_b32 v4, v1, v3
	v_cndmask_b32_e64 v2, 0, 8, vcc_lo
	s_delay_alu instid0(VALU_DEP_1)
	v_add_lshl_u32 v2, v2, v6, 2
	s_wait_dscnt 0x0
	v_cmp_u_f32_e32 vcc_lo, v4, v4
	v_cmp_lt_f32_e64 s2, v3, v4
	s_or_b32 vcc_lo, vcc_lo, s2
	v_cndmask_b32_e32 v4, v3, v4, vcc_lo
	v_cmp_gt_u32_e32 vcc_lo, 28, v6
	ds_bpermute_b32 v5, v2, v4
	v_cndmask_b32_e64 v3, 0, 4, vcc_lo
	s_delay_alu instid0(VALU_DEP_1)
	v_add_lshl_u32 v3, v3, v6, 2
	s_wait_dscnt 0x0
	v_cmp_u_f32_e32 vcc_lo, v5, v5
	v_cmp_lt_f32_e64 s2, v4, v5
	s_or_b32 vcc_lo, vcc_lo, s2
	v_cndmask_b32_e32 v5, v4, v5, vcc_lo
	v_cmp_gt_u32_e32 vcc_lo, 30, v6
	ds_bpermute_b32 v7, v3, v5
	v_cndmask_b32_e64 v4, 0, 2, vcc_lo
	s_delay_alu instid0(VALU_DEP_1)
	v_add_lshl_u32 v4, v4, v6, 2
	s_wait_dscnt 0x0
	v_cmp_u_f32_e32 vcc_lo, v7, v7
	v_cmp_lt_f32_e64 s2, v5, v7
	s_or_b32 vcc_lo, vcc_lo, s2
	v_cndmask_b32_e32 v5, v5, v7, vcc_lo
	ds_bpermute_b32 v7, v4, v5
	s_wait_dscnt 0x0
	v_cmp_u_f32_e32 vcc_lo, v7, v7
	v_cmp_lt_f32_e64 s2, v5, v7
	s_or_b32 vcc_lo, vcc_lo, s2
	v_dual_cndmask_b32 v6, v5, v7 :: v_dual_lshlrev_b32 v5, 2, v8
	v_and_b32_e32 v7, 31, v0
	ds_bpermute_b32 v8, v5, v6
	v_cmpx_eq_u32_e32 0, v7
	s_cbranch_execz .LBB95_21
; %bb.20:
	s_wait_dscnt 0x0
	v_cmp_u_f32_e32 vcc_lo, v8, v8
	v_cmp_lt_f32_e64 s2, v6, v8
	v_lshrrev_b32_e32 v9, 3, v0
	s_or_b32 vcc_lo, vcc_lo, s2
	v_cndmask_b32_e32 v6, v6, v8, vcc_lo
	ds_store_b32 v9, v6
.LBB95_21:
	s_or_b32 exec_lo, exec_lo, s3
	s_wait_dscnt 0x0
	s_barrier_signal -1
	s_barrier_wait -1
	s_load_b32 s2, s[0:1], 0xd4c
	v_mov_b32_e32 v6, 0xff7fffff
	s_wait_kmcnt 0x0
	s_bfe_u32 s2, s2, 0xb0005
	s_delay_alu instid0(SALU_CYCLE_1)
	v_cmp_gt_u32_e32 vcc_lo, s2, v0
	s_and_saveexec_b32 s2, vcc_lo
; %bb.22:
	v_lshlrev_b32_e32 v6, 2, v7
	ds_load_b32 v6, v6
; %bb.23:
	s_or_b32 exec_lo, exec_lo, s2
	s_delay_alu instid0(SALU_CYCLE_1)
	s_mov_b32 s3, exec_lo
	v_cmpx_gt_u32_e32 32, v0
	s_cbranch_execz .LBB95_25
; %bb.24:
	s_wait_dscnt 0x0
	ds_bpermute_b32 v1, v1, v6
	s_wait_dscnt 0x0
	v_cmp_u_f32_e32 vcc_lo, v1, v1
	v_cmp_lt_f32_e64 s2, v6, v1
	s_or_b32 vcc_lo, vcc_lo, s2
	v_cndmask_b32_e32 v1, v6, v1, vcc_lo
	ds_bpermute_b32 v2, v2, v1
	s_wait_dscnt 0x0
	v_cmp_u_f32_e32 vcc_lo, v2, v2
	v_cmp_lt_f32_e64 s2, v1, v2
	s_or_b32 vcc_lo, vcc_lo, s2
	v_cndmask_b32_e32 v1, v1, v2, vcc_lo
	;; [unrolled: 6-line block ×5, first 2 shown]
.LBB95_25:
	s_or_b32 exec_lo, exec_lo, s3
	s_delay_alu instid0(SALU_CYCLE_1)
	s_mov_b32 s2, exec_lo
	v_cmpx_eq_u32_e32 0, v0
	s_cbranch_execz .LBB95_27
; %bb.26:
	s_clause 0x1
	s_load_b32 s2, s[0:1], 0xd20
	s_load_b96 s[4:6], s[0:1], 0xd30
	v_and_b32_e32 v0, 0xff, v15
	s_wait_kmcnt 0x0
	s_delay_alu instid0(VALU_DEP_1) | instskip(NEXT) | instid1(VALU_DEP_1)
	v_add_nc_u32_e32 v0, s2, v0
	v_mul_lo_u32 v0, v0, s6
	s_delay_alu instid0(VALU_DEP_1)
	v_add_nc_u32_e32 v0, s10, v0
	s_wait_dscnt 0x0
	global_store_b32 v0, v6, s[4:5] scale_offset
.LBB95_27:
	s_endpgm
.LBB95_28:
	v_mov_b32_e32 v2, 0
	s_delay_alu instid0(VALU_DEP_1)
	v_dual_mov_b32 v3, v2 :: v_dual_mov_b32 v4, v2
	v_mov_b32_e32 v5, v2
	s_and_not1_b32 vcc_lo, exec_lo, s3
	s_cbranch_vccz .LBB95_14
	s_branch .LBB95_19
	.section	.rodata,"a",@progbits
	.p2align	6, 0x0
	.amdhsa_kernel _ZN2at6native12_GLOBAL__N_125multi_tensor_apply_kernelINS1_18TensorListMetadataILi1EEENS0_13LpNormFunctorIN3c104HalfELNS0_8NormTypeE3EfLi1ELi1ELi0EEEJPfiEEEvT_T0_DpT1_
		.amdhsa_group_segment_fixed_size 2048
		.amdhsa_private_segment_fixed_size 0
		.amdhsa_kernarg_size 3648
		.amdhsa_user_sgpr_count 2
		.amdhsa_user_sgpr_dispatch_ptr 0
		.amdhsa_user_sgpr_queue_ptr 0
		.amdhsa_user_sgpr_kernarg_segment_ptr 1
		.amdhsa_user_sgpr_dispatch_id 0
		.amdhsa_user_sgpr_kernarg_preload_length 0
		.amdhsa_user_sgpr_kernarg_preload_offset 0
		.amdhsa_user_sgpr_private_segment_size 0
		.amdhsa_wavefront_size32 1
		.amdhsa_uses_dynamic_stack 0
		.amdhsa_enable_private_segment 0
		.amdhsa_system_sgpr_workgroup_id_x 1
		.amdhsa_system_sgpr_workgroup_id_y 0
		.amdhsa_system_sgpr_workgroup_id_z 0
		.amdhsa_system_sgpr_workgroup_info 0
		.amdhsa_system_vgpr_workitem_id 0
		.amdhsa_next_free_vgpr 20
		.amdhsa_next_free_sgpr 16
		.amdhsa_named_barrier_count 0
		.amdhsa_reserve_vcc 1
		.amdhsa_float_round_mode_32 0
		.amdhsa_float_round_mode_16_64 0
		.amdhsa_float_denorm_mode_32 3
		.amdhsa_float_denorm_mode_16_64 3
		.amdhsa_fp16_overflow 0
		.amdhsa_memory_ordered 1
		.amdhsa_forward_progress 1
		.amdhsa_inst_pref_size 15
		.amdhsa_round_robin_scheduling 0
		.amdhsa_exception_fp_ieee_invalid_op 0
		.amdhsa_exception_fp_denorm_src 0
		.amdhsa_exception_fp_ieee_div_zero 0
		.amdhsa_exception_fp_ieee_overflow 0
		.amdhsa_exception_fp_ieee_underflow 0
		.amdhsa_exception_fp_ieee_inexact 0
		.amdhsa_exception_int_div_zero 0
	.end_amdhsa_kernel
	.section	.text._ZN2at6native12_GLOBAL__N_125multi_tensor_apply_kernelINS1_18TensorListMetadataILi1EEENS0_13LpNormFunctorIN3c104HalfELNS0_8NormTypeE3EfLi1ELi1ELi0EEEJPfiEEEvT_T0_DpT1_,"axG",@progbits,_ZN2at6native12_GLOBAL__N_125multi_tensor_apply_kernelINS1_18TensorListMetadataILi1EEENS0_13LpNormFunctorIN3c104HalfELNS0_8NormTypeE3EfLi1ELi1ELi0EEEJPfiEEEvT_T0_DpT1_,comdat
.Lfunc_end95:
	.size	_ZN2at6native12_GLOBAL__N_125multi_tensor_apply_kernelINS1_18TensorListMetadataILi1EEENS0_13LpNormFunctorIN3c104HalfELNS0_8NormTypeE3EfLi1ELi1ELi0EEEJPfiEEEvT_T0_DpT1_, .Lfunc_end95-_ZN2at6native12_GLOBAL__N_125multi_tensor_apply_kernelINS1_18TensorListMetadataILi1EEENS0_13LpNormFunctorIN3c104HalfELNS0_8NormTypeE3EfLi1ELi1ELi0EEEJPfiEEEvT_T0_DpT1_
                                        ; -- End function
	.set _ZN2at6native12_GLOBAL__N_125multi_tensor_apply_kernelINS1_18TensorListMetadataILi1EEENS0_13LpNormFunctorIN3c104HalfELNS0_8NormTypeE3EfLi1ELi1ELi0EEEJPfiEEEvT_T0_DpT1_.num_vgpr, 20
	.set _ZN2at6native12_GLOBAL__N_125multi_tensor_apply_kernelINS1_18TensorListMetadataILi1EEENS0_13LpNormFunctorIN3c104HalfELNS0_8NormTypeE3EfLi1ELi1ELi0EEEJPfiEEEvT_T0_DpT1_.num_agpr, 0
	.set _ZN2at6native12_GLOBAL__N_125multi_tensor_apply_kernelINS1_18TensorListMetadataILi1EEENS0_13LpNormFunctorIN3c104HalfELNS0_8NormTypeE3EfLi1ELi1ELi0EEEJPfiEEEvT_T0_DpT1_.numbered_sgpr, 16
	.set _ZN2at6native12_GLOBAL__N_125multi_tensor_apply_kernelINS1_18TensorListMetadataILi1EEENS0_13LpNormFunctorIN3c104HalfELNS0_8NormTypeE3EfLi1ELi1ELi0EEEJPfiEEEvT_T0_DpT1_.num_named_barrier, 0
	.set _ZN2at6native12_GLOBAL__N_125multi_tensor_apply_kernelINS1_18TensorListMetadataILi1EEENS0_13LpNormFunctorIN3c104HalfELNS0_8NormTypeE3EfLi1ELi1ELi0EEEJPfiEEEvT_T0_DpT1_.private_seg_size, 0
	.set _ZN2at6native12_GLOBAL__N_125multi_tensor_apply_kernelINS1_18TensorListMetadataILi1EEENS0_13LpNormFunctorIN3c104HalfELNS0_8NormTypeE3EfLi1ELi1ELi0EEEJPfiEEEvT_T0_DpT1_.uses_vcc, 1
	.set _ZN2at6native12_GLOBAL__N_125multi_tensor_apply_kernelINS1_18TensorListMetadataILi1EEENS0_13LpNormFunctorIN3c104HalfELNS0_8NormTypeE3EfLi1ELi1ELi0EEEJPfiEEEvT_T0_DpT1_.uses_flat_scratch, 0
	.set _ZN2at6native12_GLOBAL__N_125multi_tensor_apply_kernelINS1_18TensorListMetadataILi1EEENS0_13LpNormFunctorIN3c104HalfELNS0_8NormTypeE3EfLi1ELi1ELi0EEEJPfiEEEvT_T0_DpT1_.has_dyn_sized_stack, 0
	.set _ZN2at6native12_GLOBAL__N_125multi_tensor_apply_kernelINS1_18TensorListMetadataILi1EEENS0_13LpNormFunctorIN3c104HalfELNS0_8NormTypeE3EfLi1ELi1ELi0EEEJPfiEEEvT_T0_DpT1_.has_recursion, 0
	.set _ZN2at6native12_GLOBAL__N_125multi_tensor_apply_kernelINS1_18TensorListMetadataILi1EEENS0_13LpNormFunctorIN3c104HalfELNS0_8NormTypeE3EfLi1ELi1ELi0EEEJPfiEEEvT_T0_DpT1_.has_indirect_call, 0
	.section	.AMDGPU.csdata,"",@progbits
; Kernel info:
; codeLenInByte = 1836
; TotalNumSgprs: 18
; NumVgprs: 20
; ScratchSize: 0
; MemoryBound: 0
; FloatMode: 240
; IeeeMode: 1
; LDSByteSize: 2048 bytes/workgroup (compile time only)
; SGPRBlocks: 0
; VGPRBlocks: 1
; NumSGPRsForWavesPerEU: 18
; NumVGPRsForWavesPerEU: 20
; NamedBarCnt: 0
; Occupancy: 16
; WaveLimiterHint : 0
; COMPUTE_PGM_RSRC2:SCRATCH_EN: 0
; COMPUTE_PGM_RSRC2:USER_SGPR: 2
; COMPUTE_PGM_RSRC2:TRAP_HANDLER: 0
; COMPUTE_PGM_RSRC2:TGID_X_EN: 1
; COMPUTE_PGM_RSRC2:TGID_Y_EN: 0
; COMPUTE_PGM_RSRC2:TGID_Z_EN: 0
; COMPUTE_PGM_RSRC2:TIDIG_COMP_CNT: 0
	.section	.text._ZN2at6native14lpnorm_cleanupIN3c104HalfELNS0_8NormTypeE0EfLb1EfEEvPKT3_NS0_19TensorListAddressesEi,"axG",@progbits,_ZN2at6native14lpnorm_cleanupIN3c104HalfELNS0_8NormTypeE0EfLb1EfEEvPKT3_NS0_19TensorListAddressesEi,comdat
	.protected	_ZN2at6native14lpnorm_cleanupIN3c104HalfELNS0_8NormTypeE0EfLb1EfEEvPKT3_NS0_19TensorListAddressesEi ; -- Begin function _ZN2at6native14lpnorm_cleanupIN3c104HalfELNS0_8NormTypeE0EfLb1EfEEvPKT3_NS0_19TensorListAddressesEi
	.globl	_ZN2at6native14lpnorm_cleanupIN3c104HalfELNS0_8NormTypeE0EfLb1EfEEvPKT3_NS0_19TensorListAddressesEi
	.p2align	8
	.type	_ZN2at6native14lpnorm_cleanupIN3c104HalfELNS0_8NormTypeE0EfLb1EfEEvPKT3_NS0_19TensorListAddressesEi,@function
_ZN2at6native14lpnorm_cleanupIN3c104HalfELNS0_8NormTypeE0EfLb1EfEEvPKT3_NS0_19TensorListAddressesEi: ; @_ZN2at6native14lpnorm_cleanupIN3c104HalfELNS0_8NormTypeE0EfLb1EfEEvPKT3_NS0_19TensorListAddressesEi
; %bb.0:
	s_load_b32 s2, s[0:1], 0xc88
	s_bfe_u32 s3, ttmp6, 0x4000c
	s_and_b32 s4, ttmp6, 15
	s_add_co_i32 s3, s3, 1
	s_getreg_b32 s5, hwreg(HW_REG_IB_STS2, 6, 4)
	s_mul_i32 s3, ttmp9, s3
	v_mov_b32_e32 v1, 0
	s_add_co_i32 s4, s4, s3
	s_cmp_eq_u32 s5, 0
	s_mov_b32 s5, 0
	s_cselect_b32 s8, ttmp9, s4
	s_mov_b32 s9, exec_lo
	s_wait_kmcnt 0x0
	v_cmpx_gt_u32_e64 s2, v0
	s_cbranch_execz .LBB96_4
; %bb.1:
	s_clause 0x1
	s_load_b64 s[6:7], s[0:1], 0x0
	s_load_b32 s4, s[0:1], 0xc9c
	v_dual_mov_b32 v1, 0 :: v_dual_lshlrev_b32 v2, 2, v0
	s_mul_i32 s10, s2, s8
	s_mov_b32 s11, s5
	s_ashr_i32 s3, s2, 31
	s_delay_alu instid0(VALU_DEP_1)
	v_mov_b32_e32 v3, v1
	s_lshl_b64 s[10:11], s[10:11], 2
	v_mov_b64_e32 v[4:5], v[0:1]
	s_wait_kmcnt 0x0
	s_add_nc_u64 s[6:7], s[6:7], s[10:11]
	s_and_b32 s4, s4, 0xffff
	v_add_nc_u64_e32 v[2:3], s[6:7], v[2:3]
	s_lshl_b32 s6, s4, 2
	s_mov_b32 s7, s5
	s_mov_b32 s10, s5
.LBB96_2:                               ; =>This Inner Loop Header: Depth=1
	global_load_b32 v6, v[2:3], off
	v_add_nc_u64_e32 v[4:5], s[4:5], v[4:5]
	s_wait_xcnt 0x0
	v_add_nc_u64_e32 v[2:3], s[6:7], v[2:3]
	s_delay_alu instid0(VALU_DEP_2)
	v_cmp_le_u64_e32 vcc_lo, s[2:3], v[4:5]
	s_or_b32 s10, vcc_lo, s10
	s_wait_loadcnt 0x0
	v_add_f32_e32 v1, v1, v6
	s_and_not1_b32 exec_lo, exec_lo, s10
	s_cbranch_execnz .LBB96_2
; %bb.3:
	s_or_b32 exec_lo, exec_lo, s10
.LBB96_4:
	s_delay_alu instid0(SALU_CYCLE_1) | instskip(SKIP_4) | instid1(VALU_DEP_1)
	s_or_b32 exec_lo, exec_lo, s9
	v_mbcnt_lo_u32_b32 v5, -1, 0
	s_mov_b32 s2, exec_lo
	s_barrier_signal -1
	s_barrier_wait -1
	v_lshl_or_b32 v2, v5, 2, 64
	v_cmp_gt_u32_e32 vcc_lo, 24, v5
	ds_bpermute_b32 v4, v2, v1
	v_cndmask_b32_e64 v3, 0, 8, vcc_lo
	v_cmp_gt_u32_e32 vcc_lo, 28, v5
	s_delay_alu instid0(VALU_DEP_2)
	v_add_lshl_u32 v3, v3, v5, 2
	s_wait_dscnt 0x0
	v_add_f32_e32 v4, v1, v4
	v_cndmask_b32_e64 v1, 0, 4, vcc_lo
	v_cmp_gt_u32_e32 vcc_lo, 30, v5
	ds_bpermute_b32 v6, v3, v4
	v_add_lshl_u32 v1, v1, v5, 2
	s_wait_dscnt 0x0
	v_add_f32_e32 v6, v4, v6
	v_cndmask_b32_e64 v4, 0, 2, vcc_lo
	v_cmp_ne_u32_e32 vcc_lo, 31, v5
	s_delay_alu instid0(VALU_DEP_2) | instskip(SKIP_1) | instid1(VALU_DEP_1)
	v_add_lshl_u32 v4, v4, v5, 2
	v_add_co_ci_u32_e64 v5, null, 0, v5, vcc_lo
	v_lshlrev_b32_e32 v5, 2, v5
	ds_bpermute_b32 v7, v1, v6
	s_wait_dscnt 0x0
	v_add_f32_e32 v6, v6, v7
	ds_bpermute_b32 v7, v4, v6
	s_wait_dscnt 0x0
	v_dual_add_f32 v7, v6, v7 :: v_dual_bitop2_b32 v6, 31, v0 bitop3:0x40
	ds_bpermute_b32 v8, v5, v7
	v_cmpx_eq_u32_e32 0, v6
	s_cbranch_execz .LBB96_6
; %bb.5:
	s_wait_dscnt 0x0
	v_add_f32_e32 v7, v7, v8
	v_lshrrev_b32_e32 v8, 3, v0
	ds_store_b32 v8, v7
.LBB96_6:
	s_or_b32 exec_lo, exec_lo, s2
	s_wait_dscnt 0x0
	s_barrier_signal -1
	s_barrier_wait -1
	s_load_b32 s2, s[0:1], 0xc9c
	v_mov_b32_e32 v7, 0
	s_wait_kmcnt 0x0
	s_bfe_u32 s2, s2, 0xb0005
	s_delay_alu instid0(SALU_CYCLE_1)
	v_cmp_gt_u32_e32 vcc_lo, s2, v0
	s_and_saveexec_b32 s2, vcc_lo
; %bb.7:
	v_lshlrev_b32_e32 v6, 2, v6
	ds_load_b32 v7, v6
; %bb.8:
	s_or_b32 exec_lo, exec_lo, s2
	s_delay_alu instid0(SALU_CYCLE_1)
	s_mov_b32 s2, exec_lo
	v_cmpx_gt_u32_e32 32, v0
	s_cbranch_execz .LBB96_10
; %bb.9:
	s_wait_dscnt 0x0
	ds_bpermute_b32 v2, v2, v7
	s_wait_dscnt 0x0
	v_add_f32_e32 v2, v7, v2
	ds_bpermute_b32 v3, v3, v2
	s_wait_dscnt 0x0
	v_add_f32_e32 v2, v2, v3
	;; [unrolled: 3-line block ×5, first 2 shown]
.LBB96_10:
	s_or_b32 exec_lo, exec_lo, s2
	s_delay_alu instid0(SALU_CYCLE_1)
	s_mov_b32 s2, exec_lo
	v_cmpx_eq_u32_e32 0, v0
	s_cbranch_execz .LBB96_12
; %bb.11:
	s_load_b64 s[0:1], s[0:1], s8 offset:0x8 scale_offset
	v_mov_b32_e32 v0, 0
	s_wait_dscnt 0x0
	s_wait_kmcnt 0x0
	global_store_b32 v0, v7, s[0:1]
.LBB96_12:
	s_endpgm
	.section	.rodata,"a",@progbits
	.p2align	6, 0x0
	.amdhsa_kernel _ZN2at6native14lpnorm_cleanupIN3c104HalfELNS0_8NormTypeE0EfLb1EfEEvPKT3_NS0_19TensorListAddressesEi
		.amdhsa_group_segment_fixed_size 2048
		.amdhsa_private_segment_fixed_size 0
		.amdhsa_kernarg_size 3472
		.amdhsa_user_sgpr_count 2
		.amdhsa_user_sgpr_dispatch_ptr 0
		.amdhsa_user_sgpr_queue_ptr 0
		.amdhsa_user_sgpr_kernarg_segment_ptr 1
		.amdhsa_user_sgpr_dispatch_id 0
		.amdhsa_user_sgpr_kernarg_preload_length 0
		.amdhsa_user_sgpr_kernarg_preload_offset 0
		.amdhsa_user_sgpr_private_segment_size 0
		.amdhsa_wavefront_size32 1
		.amdhsa_uses_dynamic_stack 0
		.amdhsa_enable_private_segment 0
		.amdhsa_system_sgpr_workgroup_id_x 1
		.amdhsa_system_sgpr_workgroup_id_y 0
		.amdhsa_system_sgpr_workgroup_id_z 0
		.amdhsa_system_sgpr_workgroup_info 0
		.amdhsa_system_vgpr_workitem_id 0
		.amdhsa_next_free_vgpr 9
		.amdhsa_next_free_sgpr 12
		.amdhsa_named_barrier_count 0
		.amdhsa_reserve_vcc 1
		.amdhsa_float_round_mode_32 0
		.amdhsa_float_round_mode_16_64 0
		.amdhsa_float_denorm_mode_32 3
		.amdhsa_float_denorm_mode_16_64 3
		.amdhsa_fp16_overflow 0
		.amdhsa_memory_ordered 1
		.amdhsa_forward_progress 1
		.amdhsa_inst_pref_size 6
		.amdhsa_round_robin_scheduling 0
		.amdhsa_exception_fp_ieee_invalid_op 0
		.amdhsa_exception_fp_denorm_src 0
		.amdhsa_exception_fp_ieee_div_zero 0
		.amdhsa_exception_fp_ieee_overflow 0
		.amdhsa_exception_fp_ieee_underflow 0
		.amdhsa_exception_fp_ieee_inexact 0
		.amdhsa_exception_int_div_zero 0
	.end_amdhsa_kernel
	.section	.text._ZN2at6native14lpnorm_cleanupIN3c104HalfELNS0_8NormTypeE0EfLb1EfEEvPKT3_NS0_19TensorListAddressesEi,"axG",@progbits,_ZN2at6native14lpnorm_cleanupIN3c104HalfELNS0_8NormTypeE0EfLb1EfEEvPKT3_NS0_19TensorListAddressesEi,comdat
.Lfunc_end96:
	.size	_ZN2at6native14lpnorm_cleanupIN3c104HalfELNS0_8NormTypeE0EfLb1EfEEvPKT3_NS0_19TensorListAddressesEi, .Lfunc_end96-_ZN2at6native14lpnorm_cleanupIN3c104HalfELNS0_8NormTypeE0EfLb1EfEEvPKT3_NS0_19TensorListAddressesEi
                                        ; -- End function
	.set _ZN2at6native14lpnorm_cleanupIN3c104HalfELNS0_8NormTypeE0EfLb1EfEEvPKT3_NS0_19TensorListAddressesEi.num_vgpr, 9
	.set _ZN2at6native14lpnorm_cleanupIN3c104HalfELNS0_8NormTypeE0EfLb1EfEEvPKT3_NS0_19TensorListAddressesEi.num_agpr, 0
	.set _ZN2at6native14lpnorm_cleanupIN3c104HalfELNS0_8NormTypeE0EfLb1EfEEvPKT3_NS0_19TensorListAddressesEi.numbered_sgpr, 12
	.set _ZN2at6native14lpnorm_cleanupIN3c104HalfELNS0_8NormTypeE0EfLb1EfEEvPKT3_NS0_19TensorListAddressesEi.num_named_barrier, 0
	.set _ZN2at6native14lpnorm_cleanupIN3c104HalfELNS0_8NormTypeE0EfLb1EfEEvPKT3_NS0_19TensorListAddressesEi.private_seg_size, 0
	.set _ZN2at6native14lpnorm_cleanupIN3c104HalfELNS0_8NormTypeE0EfLb1EfEEvPKT3_NS0_19TensorListAddressesEi.uses_vcc, 1
	.set _ZN2at6native14lpnorm_cleanupIN3c104HalfELNS0_8NormTypeE0EfLb1EfEEvPKT3_NS0_19TensorListAddressesEi.uses_flat_scratch, 0
	.set _ZN2at6native14lpnorm_cleanupIN3c104HalfELNS0_8NormTypeE0EfLb1EfEEvPKT3_NS0_19TensorListAddressesEi.has_dyn_sized_stack, 0
	.set _ZN2at6native14lpnorm_cleanupIN3c104HalfELNS0_8NormTypeE0EfLb1EfEEvPKT3_NS0_19TensorListAddressesEi.has_recursion, 0
	.set _ZN2at6native14lpnorm_cleanupIN3c104HalfELNS0_8NormTypeE0EfLb1EfEEvPKT3_NS0_19TensorListAddressesEi.has_indirect_call, 0
	.section	.AMDGPU.csdata,"",@progbits
; Kernel info:
; codeLenInByte = 668
; TotalNumSgprs: 14
; NumVgprs: 9
; ScratchSize: 0
; MemoryBound: 0
; FloatMode: 240
; IeeeMode: 1
; LDSByteSize: 2048 bytes/workgroup (compile time only)
; SGPRBlocks: 0
; VGPRBlocks: 0
; NumSGPRsForWavesPerEU: 14
; NumVGPRsForWavesPerEU: 9
; NamedBarCnt: 0
; Occupancy: 16
; WaveLimiterHint : 0
; COMPUTE_PGM_RSRC2:SCRATCH_EN: 0
; COMPUTE_PGM_RSRC2:USER_SGPR: 2
; COMPUTE_PGM_RSRC2:TRAP_HANDLER: 0
; COMPUTE_PGM_RSRC2:TGID_X_EN: 1
; COMPUTE_PGM_RSRC2:TGID_Y_EN: 0
; COMPUTE_PGM_RSRC2:TGID_Z_EN: 0
; COMPUTE_PGM_RSRC2:TIDIG_COMP_CNT: 0
	.section	.text._ZN2at6native14lpnorm_cleanupIN3c104HalfELNS0_8NormTypeE1EfLb1EfEEvPKT3_NS0_19TensorListAddressesEi,"axG",@progbits,_ZN2at6native14lpnorm_cleanupIN3c104HalfELNS0_8NormTypeE1EfLb1EfEEvPKT3_NS0_19TensorListAddressesEi,comdat
	.protected	_ZN2at6native14lpnorm_cleanupIN3c104HalfELNS0_8NormTypeE1EfLb1EfEEvPKT3_NS0_19TensorListAddressesEi ; -- Begin function _ZN2at6native14lpnorm_cleanupIN3c104HalfELNS0_8NormTypeE1EfLb1EfEEvPKT3_NS0_19TensorListAddressesEi
	.globl	_ZN2at6native14lpnorm_cleanupIN3c104HalfELNS0_8NormTypeE1EfLb1EfEEvPKT3_NS0_19TensorListAddressesEi
	.p2align	8
	.type	_ZN2at6native14lpnorm_cleanupIN3c104HalfELNS0_8NormTypeE1EfLb1EfEEvPKT3_NS0_19TensorListAddressesEi,@function
_ZN2at6native14lpnorm_cleanupIN3c104HalfELNS0_8NormTypeE1EfLb1EfEEvPKT3_NS0_19TensorListAddressesEi: ; @_ZN2at6native14lpnorm_cleanupIN3c104HalfELNS0_8NormTypeE1EfLb1EfEEvPKT3_NS0_19TensorListAddressesEi
; %bb.0:
	s_load_b32 s2, s[0:1], 0xc88
	s_bfe_u32 s3, ttmp6, 0x4000c
	s_and_b32 s4, ttmp6, 15
	s_add_co_i32 s3, s3, 1
	s_getreg_b32 s5, hwreg(HW_REG_IB_STS2, 6, 4)
	s_mul_i32 s3, ttmp9, s3
	v_mov_b32_e32 v1, 0
	s_add_co_i32 s4, s4, s3
	s_cmp_eq_u32 s5, 0
	s_mov_b32 s5, 0
	s_cselect_b32 s8, ttmp9, s4
	s_mov_b32 s9, exec_lo
	s_wait_kmcnt 0x0
	v_cmpx_gt_u32_e64 s2, v0
	s_cbranch_execz .LBB97_4
; %bb.1:
	s_clause 0x1
	s_load_b64 s[6:7], s[0:1], 0x0
	s_load_b32 s4, s[0:1], 0xc9c
	v_dual_mov_b32 v1, 0 :: v_dual_lshlrev_b32 v2, 2, v0
	s_mul_i32 s10, s2, s8
	s_mov_b32 s11, s5
	s_ashr_i32 s3, s2, 31
	s_delay_alu instid0(VALU_DEP_1)
	v_mov_b32_e32 v3, v1
	s_lshl_b64 s[10:11], s[10:11], 2
	v_mov_b64_e32 v[4:5], v[0:1]
	s_wait_kmcnt 0x0
	s_add_nc_u64 s[6:7], s[6:7], s[10:11]
	s_and_b32 s4, s4, 0xffff
	v_add_nc_u64_e32 v[2:3], s[6:7], v[2:3]
	s_lshl_b32 s6, s4, 2
	s_mov_b32 s7, s5
	s_mov_b32 s10, s5
.LBB97_2:                               ; =>This Inner Loop Header: Depth=1
	global_load_b32 v6, v[2:3], off
	v_add_nc_u64_e32 v[4:5], s[4:5], v[4:5]
	s_wait_xcnt 0x0
	v_add_nc_u64_e32 v[2:3], s[6:7], v[2:3]
	s_delay_alu instid0(VALU_DEP_2)
	v_cmp_le_u64_e32 vcc_lo, s[2:3], v[4:5]
	s_or_b32 s10, vcc_lo, s10
	s_wait_loadcnt 0x0
	v_add_f32_e32 v1, v1, v6
	s_and_not1_b32 exec_lo, exec_lo, s10
	s_cbranch_execnz .LBB97_2
; %bb.3:
	s_or_b32 exec_lo, exec_lo, s10
.LBB97_4:
	s_delay_alu instid0(SALU_CYCLE_1) | instskip(SKIP_4) | instid1(VALU_DEP_1)
	s_or_b32 exec_lo, exec_lo, s9
	v_mbcnt_lo_u32_b32 v5, -1, 0
	s_mov_b32 s2, exec_lo
	s_barrier_signal -1
	s_barrier_wait -1
	v_lshl_or_b32 v2, v5, 2, 64
	v_cmp_gt_u32_e32 vcc_lo, 24, v5
	ds_bpermute_b32 v4, v2, v1
	v_cndmask_b32_e64 v3, 0, 8, vcc_lo
	v_cmp_gt_u32_e32 vcc_lo, 28, v5
	s_delay_alu instid0(VALU_DEP_2)
	v_add_lshl_u32 v3, v3, v5, 2
	s_wait_dscnt 0x0
	v_add_f32_e32 v4, v1, v4
	v_cndmask_b32_e64 v1, 0, 4, vcc_lo
	v_cmp_gt_u32_e32 vcc_lo, 30, v5
	ds_bpermute_b32 v6, v3, v4
	v_add_lshl_u32 v1, v1, v5, 2
	s_wait_dscnt 0x0
	v_add_f32_e32 v6, v4, v6
	v_cndmask_b32_e64 v4, 0, 2, vcc_lo
	v_cmp_ne_u32_e32 vcc_lo, 31, v5
	s_delay_alu instid0(VALU_DEP_2) | instskip(SKIP_1) | instid1(VALU_DEP_1)
	v_add_lshl_u32 v4, v4, v5, 2
	v_add_co_ci_u32_e64 v5, null, 0, v5, vcc_lo
	v_lshlrev_b32_e32 v5, 2, v5
	ds_bpermute_b32 v7, v1, v6
	s_wait_dscnt 0x0
	v_add_f32_e32 v6, v6, v7
	ds_bpermute_b32 v7, v4, v6
	s_wait_dscnt 0x0
	v_dual_add_f32 v7, v6, v7 :: v_dual_bitop2_b32 v6, 31, v0 bitop3:0x40
	ds_bpermute_b32 v8, v5, v7
	v_cmpx_eq_u32_e32 0, v6
	s_cbranch_execz .LBB97_6
; %bb.5:
	s_wait_dscnt 0x0
	v_add_f32_e32 v7, v7, v8
	v_lshrrev_b32_e32 v8, 3, v0
	ds_store_b32 v8, v7
.LBB97_6:
	s_or_b32 exec_lo, exec_lo, s2
	s_wait_dscnt 0x0
	s_barrier_signal -1
	s_barrier_wait -1
	s_load_b32 s2, s[0:1], 0xc9c
	v_mov_b32_e32 v7, 0
	s_wait_kmcnt 0x0
	s_bfe_u32 s2, s2, 0xb0005
	s_delay_alu instid0(SALU_CYCLE_1)
	v_cmp_gt_u32_e32 vcc_lo, s2, v0
	s_and_saveexec_b32 s2, vcc_lo
; %bb.7:
	v_lshlrev_b32_e32 v6, 2, v6
	ds_load_b32 v7, v6
; %bb.8:
	s_or_b32 exec_lo, exec_lo, s2
	s_delay_alu instid0(SALU_CYCLE_1)
	s_mov_b32 s2, exec_lo
	v_cmpx_gt_u32_e32 32, v0
	s_cbranch_execz .LBB97_10
; %bb.9:
	s_wait_dscnt 0x0
	ds_bpermute_b32 v2, v2, v7
	s_wait_dscnt 0x0
	v_add_f32_e32 v2, v7, v2
	ds_bpermute_b32 v3, v3, v2
	s_wait_dscnt 0x0
	v_add_f32_e32 v2, v2, v3
	;; [unrolled: 3-line block ×5, first 2 shown]
.LBB97_10:
	s_or_b32 exec_lo, exec_lo, s2
	s_delay_alu instid0(SALU_CYCLE_1)
	s_mov_b32 s2, exec_lo
	v_cmpx_eq_u32_e32 0, v0
	s_cbranch_execz .LBB97_12
; %bb.11:
	s_load_b64 s[0:1], s[0:1], s8 offset:0x8 scale_offset
	v_mov_b32_e32 v0, 0
	s_wait_dscnt 0x0
	s_wait_kmcnt 0x0
	global_store_b32 v0, v7, s[0:1]
.LBB97_12:
	s_endpgm
	.section	.rodata,"a",@progbits
	.p2align	6, 0x0
	.amdhsa_kernel _ZN2at6native14lpnorm_cleanupIN3c104HalfELNS0_8NormTypeE1EfLb1EfEEvPKT3_NS0_19TensorListAddressesEi
		.amdhsa_group_segment_fixed_size 2048
		.amdhsa_private_segment_fixed_size 0
		.amdhsa_kernarg_size 3472
		.amdhsa_user_sgpr_count 2
		.amdhsa_user_sgpr_dispatch_ptr 0
		.amdhsa_user_sgpr_queue_ptr 0
		.amdhsa_user_sgpr_kernarg_segment_ptr 1
		.amdhsa_user_sgpr_dispatch_id 0
		.amdhsa_user_sgpr_kernarg_preload_length 0
		.amdhsa_user_sgpr_kernarg_preload_offset 0
		.amdhsa_user_sgpr_private_segment_size 0
		.amdhsa_wavefront_size32 1
		.amdhsa_uses_dynamic_stack 0
		.amdhsa_enable_private_segment 0
		.amdhsa_system_sgpr_workgroup_id_x 1
		.amdhsa_system_sgpr_workgroup_id_y 0
		.amdhsa_system_sgpr_workgroup_id_z 0
		.amdhsa_system_sgpr_workgroup_info 0
		.amdhsa_system_vgpr_workitem_id 0
		.amdhsa_next_free_vgpr 9
		.amdhsa_next_free_sgpr 12
		.amdhsa_named_barrier_count 0
		.amdhsa_reserve_vcc 1
		.amdhsa_float_round_mode_32 0
		.amdhsa_float_round_mode_16_64 0
		.amdhsa_float_denorm_mode_32 3
		.amdhsa_float_denorm_mode_16_64 3
		.amdhsa_fp16_overflow 0
		.amdhsa_memory_ordered 1
		.amdhsa_forward_progress 1
		.amdhsa_inst_pref_size 6
		.amdhsa_round_robin_scheduling 0
		.amdhsa_exception_fp_ieee_invalid_op 0
		.amdhsa_exception_fp_denorm_src 0
		.amdhsa_exception_fp_ieee_div_zero 0
		.amdhsa_exception_fp_ieee_overflow 0
		.amdhsa_exception_fp_ieee_underflow 0
		.amdhsa_exception_fp_ieee_inexact 0
		.amdhsa_exception_int_div_zero 0
	.end_amdhsa_kernel
	.section	.text._ZN2at6native14lpnorm_cleanupIN3c104HalfELNS0_8NormTypeE1EfLb1EfEEvPKT3_NS0_19TensorListAddressesEi,"axG",@progbits,_ZN2at6native14lpnorm_cleanupIN3c104HalfELNS0_8NormTypeE1EfLb1EfEEvPKT3_NS0_19TensorListAddressesEi,comdat
.Lfunc_end97:
	.size	_ZN2at6native14lpnorm_cleanupIN3c104HalfELNS0_8NormTypeE1EfLb1EfEEvPKT3_NS0_19TensorListAddressesEi, .Lfunc_end97-_ZN2at6native14lpnorm_cleanupIN3c104HalfELNS0_8NormTypeE1EfLb1EfEEvPKT3_NS0_19TensorListAddressesEi
                                        ; -- End function
	.set _ZN2at6native14lpnorm_cleanupIN3c104HalfELNS0_8NormTypeE1EfLb1EfEEvPKT3_NS0_19TensorListAddressesEi.num_vgpr, 9
	.set _ZN2at6native14lpnorm_cleanupIN3c104HalfELNS0_8NormTypeE1EfLb1EfEEvPKT3_NS0_19TensorListAddressesEi.num_agpr, 0
	.set _ZN2at6native14lpnorm_cleanupIN3c104HalfELNS0_8NormTypeE1EfLb1EfEEvPKT3_NS0_19TensorListAddressesEi.numbered_sgpr, 12
	.set _ZN2at6native14lpnorm_cleanupIN3c104HalfELNS0_8NormTypeE1EfLb1EfEEvPKT3_NS0_19TensorListAddressesEi.num_named_barrier, 0
	.set _ZN2at6native14lpnorm_cleanupIN3c104HalfELNS0_8NormTypeE1EfLb1EfEEvPKT3_NS0_19TensorListAddressesEi.private_seg_size, 0
	.set _ZN2at6native14lpnorm_cleanupIN3c104HalfELNS0_8NormTypeE1EfLb1EfEEvPKT3_NS0_19TensorListAddressesEi.uses_vcc, 1
	.set _ZN2at6native14lpnorm_cleanupIN3c104HalfELNS0_8NormTypeE1EfLb1EfEEvPKT3_NS0_19TensorListAddressesEi.uses_flat_scratch, 0
	.set _ZN2at6native14lpnorm_cleanupIN3c104HalfELNS0_8NormTypeE1EfLb1EfEEvPKT3_NS0_19TensorListAddressesEi.has_dyn_sized_stack, 0
	.set _ZN2at6native14lpnorm_cleanupIN3c104HalfELNS0_8NormTypeE1EfLb1EfEEvPKT3_NS0_19TensorListAddressesEi.has_recursion, 0
	.set _ZN2at6native14lpnorm_cleanupIN3c104HalfELNS0_8NormTypeE1EfLb1EfEEvPKT3_NS0_19TensorListAddressesEi.has_indirect_call, 0
	.section	.AMDGPU.csdata,"",@progbits
; Kernel info:
; codeLenInByte = 668
; TotalNumSgprs: 14
; NumVgprs: 9
; ScratchSize: 0
; MemoryBound: 0
; FloatMode: 240
; IeeeMode: 1
; LDSByteSize: 2048 bytes/workgroup (compile time only)
; SGPRBlocks: 0
; VGPRBlocks: 0
; NumSGPRsForWavesPerEU: 14
; NumVGPRsForWavesPerEU: 9
; NamedBarCnt: 0
; Occupancy: 16
; WaveLimiterHint : 0
; COMPUTE_PGM_RSRC2:SCRATCH_EN: 0
; COMPUTE_PGM_RSRC2:USER_SGPR: 2
; COMPUTE_PGM_RSRC2:TRAP_HANDLER: 0
; COMPUTE_PGM_RSRC2:TGID_X_EN: 1
; COMPUTE_PGM_RSRC2:TGID_Y_EN: 0
; COMPUTE_PGM_RSRC2:TGID_Z_EN: 0
; COMPUTE_PGM_RSRC2:TIDIG_COMP_CNT: 0
	.section	.text._ZN2at6native14lpnorm_cleanupIN3c104HalfELNS0_8NormTypeE2EfLb1EfEEvPKT3_NS0_19TensorListAddressesEi,"axG",@progbits,_ZN2at6native14lpnorm_cleanupIN3c104HalfELNS0_8NormTypeE2EfLb1EfEEvPKT3_NS0_19TensorListAddressesEi,comdat
	.protected	_ZN2at6native14lpnorm_cleanupIN3c104HalfELNS0_8NormTypeE2EfLb1EfEEvPKT3_NS0_19TensorListAddressesEi ; -- Begin function _ZN2at6native14lpnorm_cleanupIN3c104HalfELNS0_8NormTypeE2EfLb1EfEEvPKT3_NS0_19TensorListAddressesEi
	.globl	_ZN2at6native14lpnorm_cleanupIN3c104HalfELNS0_8NormTypeE2EfLb1EfEEvPKT3_NS0_19TensorListAddressesEi
	.p2align	8
	.type	_ZN2at6native14lpnorm_cleanupIN3c104HalfELNS0_8NormTypeE2EfLb1EfEEvPKT3_NS0_19TensorListAddressesEi,@function
_ZN2at6native14lpnorm_cleanupIN3c104HalfELNS0_8NormTypeE2EfLb1EfEEvPKT3_NS0_19TensorListAddressesEi: ; @_ZN2at6native14lpnorm_cleanupIN3c104HalfELNS0_8NormTypeE2EfLb1EfEEvPKT3_NS0_19TensorListAddressesEi
; %bb.0:
	s_load_b32 s2, s[0:1], 0xc88
	s_bfe_u32 s3, ttmp6, 0x4000c
	s_and_b32 s4, ttmp6, 15
	s_add_co_i32 s3, s3, 1
	s_getreg_b32 s5, hwreg(HW_REG_IB_STS2, 6, 4)
	s_mul_i32 s3, ttmp9, s3
	v_mov_b32_e32 v1, 0
	s_add_co_i32 s4, s4, s3
	s_cmp_eq_u32 s5, 0
	s_mov_b32 s5, 0
	s_cselect_b32 s8, ttmp9, s4
	s_mov_b32 s9, exec_lo
	s_wait_kmcnt 0x0
	v_cmpx_gt_u32_e64 s2, v0
	s_cbranch_execz .LBB98_4
; %bb.1:
	s_clause 0x1
	s_load_b64 s[6:7], s[0:1], 0x0
	s_load_b32 s4, s[0:1], 0xc9c
	v_dual_mov_b32 v1, 0 :: v_dual_lshlrev_b32 v2, 2, v0
	s_mul_i32 s10, s2, s8
	s_mov_b32 s11, s5
	s_ashr_i32 s3, s2, 31
	s_delay_alu instid0(VALU_DEP_1)
	v_mov_b32_e32 v3, v1
	s_lshl_b64 s[10:11], s[10:11], 2
	v_mov_b64_e32 v[4:5], v[0:1]
	s_wait_kmcnt 0x0
	s_add_nc_u64 s[6:7], s[6:7], s[10:11]
	s_and_b32 s4, s4, 0xffff
	v_add_nc_u64_e32 v[2:3], s[6:7], v[2:3]
	s_lshl_b32 s6, s4, 2
	s_mov_b32 s7, s5
	s_mov_b32 s10, s5
.LBB98_2:                               ; =>This Inner Loop Header: Depth=1
	global_load_b32 v6, v[2:3], off
	v_add_nc_u64_e32 v[4:5], s[4:5], v[4:5]
	s_wait_xcnt 0x0
	v_add_nc_u64_e32 v[2:3], s[6:7], v[2:3]
	s_delay_alu instid0(VALU_DEP_2)
	v_cmp_le_u64_e32 vcc_lo, s[2:3], v[4:5]
	s_or_b32 s10, vcc_lo, s10
	s_wait_loadcnt 0x0
	v_add_f32_e32 v1, v1, v6
	s_and_not1_b32 exec_lo, exec_lo, s10
	s_cbranch_execnz .LBB98_2
; %bb.3:
	s_or_b32 exec_lo, exec_lo, s10
.LBB98_4:
	s_delay_alu instid0(SALU_CYCLE_1) | instskip(SKIP_4) | instid1(VALU_DEP_1)
	s_or_b32 exec_lo, exec_lo, s9
	v_mbcnt_lo_u32_b32 v5, -1, 0
	s_mov_b32 s2, exec_lo
	s_barrier_signal -1
	s_barrier_wait -1
	v_lshl_or_b32 v2, v5, 2, 64
	v_cmp_gt_u32_e32 vcc_lo, 24, v5
	ds_bpermute_b32 v4, v2, v1
	v_cndmask_b32_e64 v3, 0, 8, vcc_lo
	v_cmp_gt_u32_e32 vcc_lo, 28, v5
	s_delay_alu instid0(VALU_DEP_2)
	v_add_lshl_u32 v3, v3, v5, 2
	s_wait_dscnt 0x0
	v_add_f32_e32 v4, v1, v4
	v_cndmask_b32_e64 v1, 0, 4, vcc_lo
	v_cmp_gt_u32_e32 vcc_lo, 30, v5
	ds_bpermute_b32 v6, v3, v4
	v_add_lshl_u32 v1, v1, v5, 2
	s_wait_dscnt 0x0
	v_add_f32_e32 v6, v4, v6
	v_cndmask_b32_e64 v4, 0, 2, vcc_lo
	v_cmp_ne_u32_e32 vcc_lo, 31, v5
	s_delay_alu instid0(VALU_DEP_2) | instskip(SKIP_1) | instid1(VALU_DEP_1)
	v_add_lshl_u32 v4, v4, v5, 2
	v_add_co_ci_u32_e64 v5, null, 0, v5, vcc_lo
	v_lshlrev_b32_e32 v5, 2, v5
	ds_bpermute_b32 v7, v1, v6
	s_wait_dscnt 0x0
	v_add_f32_e32 v6, v6, v7
	ds_bpermute_b32 v7, v4, v6
	s_wait_dscnt 0x0
	v_dual_add_f32 v7, v6, v7 :: v_dual_bitop2_b32 v6, 31, v0 bitop3:0x40
	ds_bpermute_b32 v8, v5, v7
	v_cmpx_eq_u32_e32 0, v6
	s_cbranch_execz .LBB98_6
; %bb.5:
	s_wait_dscnt 0x0
	v_add_f32_e32 v7, v7, v8
	v_lshrrev_b32_e32 v8, 3, v0
	ds_store_b32 v8, v7
.LBB98_6:
	s_or_b32 exec_lo, exec_lo, s2
	s_wait_dscnt 0x0
	s_barrier_signal -1
	s_barrier_wait -1
	s_load_b32 s2, s[0:1], 0xc9c
	v_mov_b32_e32 v7, 0
	s_wait_kmcnt 0x0
	s_bfe_u32 s2, s2, 0xb0005
	s_delay_alu instid0(SALU_CYCLE_1)
	v_cmp_gt_u32_e32 vcc_lo, s2, v0
	s_and_saveexec_b32 s2, vcc_lo
; %bb.7:
	v_lshlrev_b32_e32 v6, 2, v6
	ds_load_b32 v7, v6
; %bb.8:
	s_or_b32 exec_lo, exec_lo, s2
	s_delay_alu instid0(SALU_CYCLE_1)
	s_mov_b32 s2, exec_lo
	v_cmpx_gt_u32_e32 32, v0
	s_cbranch_execz .LBB98_10
; %bb.9:
	s_wait_dscnt 0x0
	ds_bpermute_b32 v2, v2, v7
	s_wait_dscnt 0x0
	v_add_f32_e32 v2, v7, v2
	ds_bpermute_b32 v3, v3, v2
	s_wait_dscnt 0x0
	v_add_f32_e32 v2, v2, v3
	;; [unrolled: 3-line block ×5, first 2 shown]
.LBB98_10:
	s_or_b32 exec_lo, exec_lo, s2
	s_delay_alu instid0(SALU_CYCLE_1)
	s_mov_b32 s2, exec_lo
	v_cmpx_eq_u32_e32 0, v0
	s_cbranch_execz .LBB98_12
; %bb.11:
	s_wait_dscnt 0x0
	v_mul_f32_e32 v0, 0x4f800000, v7
	v_cmp_gt_f32_e32 vcc_lo, 0xf800000, v7
	s_load_b64 s[0:1], s[0:1], s8 offset:0x8 scale_offset
	s_delay_alu instid0(VALU_DEP_2) | instskip(NEXT) | instid1(VALU_DEP_1)
	v_cndmask_b32_e32 v0, v7, v0, vcc_lo
	v_sqrt_f32_e32 v1, v0
	v_nop
	s_delay_alu instid0(TRANS32_DEP_1) | instskip(NEXT) | instid1(VALU_DEP_1)
	v_dual_add_nc_u32 v2, -1, v1 :: v_dual_add_nc_u32 v3, 1, v1
	v_dual_fma_f32 v4, -v2, v1, v0 :: v_dual_fma_f32 v5, -v3, v1, v0
	s_delay_alu instid0(VALU_DEP_1) | instskip(NEXT) | instid1(VALU_DEP_1)
	v_cmp_ge_f32_e64 s2, 0, v4
	v_cndmask_b32_e64 v1, v1, v2, s2
	s_delay_alu instid0(VALU_DEP_3) | instskip(NEXT) | instid1(VALU_DEP_1)
	v_cmp_lt_f32_e64 s2, 0, v5
	v_cndmask_b32_e64 v1, v1, v3, s2
	s_delay_alu instid0(VALU_DEP_1) | instskip(NEXT) | instid1(VALU_DEP_1)
	v_mul_f32_e32 v2, 0x37800000, v1
	v_cndmask_b32_e32 v1, v1, v2, vcc_lo
	v_cmp_class_f32_e64 vcc_lo, v0, 0x260
	s_delay_alu instid0(VALU_DEP_2)
	v_dual_cndmask_b32 v0, v1, v0 :: v_dual_mov_b32 v1, 0
	s_wait_kmcnt 0x0
	global_store_b32 v1, v0, s[0:1]
.LBB98_12:
	s_endpgm
	.section	.rodata,"a",@progbits
	.p2align	6, 0x0
	.amdhsa_kernel _ZN2at6native14lpnorm_cleanupIN3c104HalfELNS0_8NormTypeE2EfLb1EfEEvPKT3_NS0_19TensorListAddressesEi
		.amdhsa_group_segment_fixed_size 2048
		.amdhsa_private_segment_fixed_size 0
		.amdhsa_kernarg_size 3472
		.amdhsa_user_sgpr_count 2
		.amdhsa_user_sgpr_dispatch_ptr 0
		.amdhsa_user_sgpr_queue_ptr 0
		.amdhsa_user_sgpr_kernarg_segment_ptr 1
		.amdhsa_user_sgpr_dispatch_id 0
		.amdhsa_user_sgpr_kernarg_preload_length 0
		.amdhsa_user_sgpr_kernarg_preload_offset 0
		.amdhsa_user_sgpr_private_segment_size 0
		.amdhsa_wavefront_size32 1
		.amdhsa_uses_dynamic_stack 0
		.amdhsa_enable_private_segment 0
		.amdhsa_system_sgpr_workgroup_id_x 1
		.amdhsa_system_sgpr_workgroup_id_y 0
		.amdhsa_system_sgpr_workgroup_id_z 0
		.amdhsa_system_sgpr_workgroup_info 0
		.amdhsa_system_vgpr_workitem_id 0
		.amdhsa_next_free_vgpr 9
		.amdhsa_next_free_sgpr 12
		.amdhsa_named_barrier_count 0
		.amdhsa_reserve_vcc 1
		.amdhsa_float_round_mode_32 0
		.amdhsa_float_round_mode_16_64 0
		.amdhsa_float_denorm_mode_32 3
		.amdhsa_float_denorm_mode_16_64 3
		.amdhsa_fp16_overflow 0
		.amdhsa_memory_ordered 1
		.amdhsa_forward_progress 1
		.amdhsa_inst_pref_size 7
		.amdhsa_round_robin_scheduling 0
		.amdhsa_exception_fp_ieee_invalid_op 0
		.amdhsa_exception_fp_denorm_src 0
		.amdhsa_exception_fp_ieee_div_zero 0
		.amdhsa_exception_fp_ieee_overflow 0
		.amdhsa_exception_fp_ieee_underflow 0
		.amdhsa_exception_fp_ieee_inexact 0
		.amdhsa_exception_int_div_zero 0
	.end_amdhsa_kernel
	.section	.text._ZN2at6native14lpnorm_cleanupIN3c104HalfELNS0_8NormTypeE2EfLb1EfEEvPKT3_NS0_19TensorListAddressesEi,"axG",@progbits,_ZN2at6native14lpnorm_cleanupIN3c104HalfELNS0_8NormTypeE2EfLb1EfEEvPKT3_NS0_19TensorListAddressesEi,comdat
.Lfunc_end98:
	.size	_ZN2at6native14lpnorm_cleanupIN3c104HalfELNS0_8NormTypeE2EfLb1EfEEvPKT3_NS0_19TensorListAddressesEi, .Lfunc_end98-_ZN2at6native14lpnorm_cleanupIN3c104HalfELNS0_8NormTypeE2EfLb1EfEEvPKT3_NS0_19TensorListAddressesEi
                                        ; -- End function
	.set _ZN2at6native14lpnorm_cleanupIN3c104HalfELNS0_8NormTypeE2EfLb1EfEEvPKT3_NS0_19TensorListAddressesEi.num_vgpr, 9
	.set _ZN2at6native14lpnorm_cleanupIN3c104HalfELNS0_8NormTypeE2EfLb1EfEEvPKT3_NS0_19TensorListAddressesEi.num_agpr, 0
	.set _ZN2at6native14lpnorm_cleanupIN3c104HalfELNS0_8NormTypeE2EfLb1EfEEvPKT3_NS0_19TensorListAddressesEi.numbered_sgpr, 12
	.set _ZN2at6native14lpnorm_cleanupIN3c104HalfELNS0_8NormTypeE2EfLb1EfEEvPKT3_NS0_19TensorListAddressesEi.num_named_barrier, 0
	.set _ZN2at6native14lpnorm_cleanupIN3c104HalfELNS0_8NormTypeE2EfLb1EfEEvPKT3_NS0_19TensorListAddressesEi.private_seg_size, 0
	.set _ZN2at6native14lpnorm_cleanupIN3c104HalfELNS0_8NormTypeE2EfLb1EfEEvPKT3_NS0_19TensorListAddressesEi.uses_vcc, 1
	.set _ZN2at6native14lpnorm_cleanupIN3c104HalfELNS0_8NormTypeE2EfLb1EfEEvPKT3_NS0_19TensorListAddressesEi.uses_flat_scratch, 0
	.set _ZN2at6native14lpnorm_cleanupIN3c104HalfELNS0_8NormTypeE2EfLb1EfEEvPKT3_NS0_19TensorListAddressesEi.has_dyn_sized_stack, 0
	.set _ZN2at6native14lpnorm_cleanupIN3c104HalfELNS0_8NormTypeE2EfLb1EfEEvPKT3_NS0_19TensorListAddressesEi.has_recursion, 0
	.set _ZN2at6native14lpnorm_cleanupIN3c104HalfELNS0_8NormTypeE2EfLb1EfEEvPKT3_NS0_19TensorListAddressesEi.has_indirect_call, 0
	.section	.AMDGPU.csdata,"",@progbits
; Kernel info:
; codeLenInByte = 804
; TotalNumSgprs: 14
; NumVgprs: 9
; ScratchSize: 0
; MemoryBound: 0
; FloatMode: 240
; IeeeMode: 1
; LDSByteSize: 2048 bytes/workgroup (compile time only)
; SGPRBlocks: 0
; VGPRBlocks: 0
; NumSGPRsForWavesPerEU: 14
; NumVGPRsForWavesPerEU: 9
; NamedBarCnt: 0
; Occupancy: 16
; WaveLimiterHint : 0
; COMPUTE_PGM_RSRC2:SCRATCH_EN: 0
; COMPUTE_PGM_RSRC2:USER_SGPR: 2
; COMPUTE_PGM_RSRC2:TRAP_HANDLER: 0
; COMPUTE_PGM_RSRC2:TGID_X_EN: 1
; COMPUTE_PGM_RSRC2:TGID_Y_EN: 0
; COMPUTE_PGM_RSRC2:TGID_Z_EN: 0
; COMPUTE_PGM_RSRC2:TIDIG_COMP_CNT: 0
	.section	.text._ZN2at6native14lpnorm_cleanupIN3c104HalfELNS0_8NormTypeE3EfLb1EfEEvPKT3_NS0_19TensorListAddressesEi,"axG",@progbits,_ZN2at6native14lpnorm_cleanupIN3c104HalfELNS0_8NormTypeE3EfLb1EfEEvPKT3_NS0_19TensorListAddressesEi,comdat
	.protected	_ZN2at6native14lpnorm_cleanupIN3c104HalfELNS0_8NormTypeE3EfLb1EfEEvPKT3_NS0_19TensorListAddressesEi ; -- Begin function _ZN2at6native14lpnorm_cleanupIN3c104HalfELNS0_8NormTypeE3EfLb1EfEEvPKT3_NS0_19TensorListAddressesEi
	.globl	_ZN2at6native14lpnorm_cleanupIN3c104HalfELNS0_8NormTypeE3EfLb1EfEEvPKT3_NS0_19TensorListAddressesEi
	.p2align	8
	.type	_ZN2at6native14lpnorm_cleanupIN3c104HalfELNS0_8NormTypeE3EfLb1EfEEvPKT3_NS0_19TensorListAddressesEi,@function
_ZN2at6native14lpnorm_cleanupIN3c104HalfELNS0_8NormTypeE3EfLb1EfEEvPKT3_NS0_19TensorListAddressesEi: ; @_ZN2at6native14lpnorm_cleanupIN3c104HalfELNS0_8NormTypeE3EfLb1EfEEvPKT3_NS0_19TensorListAddressesEi
; %bb.0:
	s_load_b32 s4, s[0:1], 0xc88
	s_bfe_u32 s2, ttmp6, 0x4000c
	s_and_b32 s3, ttmp6, 15
	s_add_co_i32 s2, s2, 1
	s_getreg_b32 s5, hwreg(HW_REG_IB_STS2, 6, 4)
	s_mul_i32 s2, ttmp9, s2
	v_mov_b32_e32 v1, 0
	s_add_co_i32 s3, s3, s2
	s_cmp_eq_u32 s5, 0
	s_mov_b32 s7, 0
	s_cselect_b32 s10, ttmp9, s3
	s_mov_b32 s11, exec_lo
	s_wait_kmcnt 0x0
	v_cmpx_gt_u32_e64 s4, v0
	s_cbranch_execz .LBB99_4
; %bb.1:
	s_clause 0x1
	s_load_b64 s[2:3], s[0:1], 0x0
	s_load_b32 s6, s[0:1], 0xc9c
	v_dual_mov_b32 v1, 0 :: v_dual_lshlrev_b32 v2, 2, v0
	s_mul_i32 s8, s4, s10
	s_mov_b32 s9, s7
	s_ashr_i32 s5, s4, 31
	s_delay_alu instid0(VALU_DEP_1)
	v_mov_b32_e32 v3, v1
	s_lshl_b64 s[8:9], s[8:9], 2
	v_mov_b64_e32 v[4:5], v[0:1]
	s_mov_b32 s12, s7
	s_wait_kmcnt 0x0
	s_add_nc_u64 s[2:3], s[2:3], s[8:9]
	s_and_b32 s6, s6, 0xffff
	v_add_nc_u64_e32 v[2:3], s[2:3], v[2:3]
	s_lshl_b32 s8, s6, 2
	s_mov_b32 s9, s7
.LBB99_2:                               ; =>This Inner Loop Header: Depth=1
	global_load_b32 v6, v[2:3], off
	v_add_nc_u64_e32 v[4:5], s[6:7], v[4:5]
	s_wait_xcnt 0x0
	v_add_nc_u64_e32 v[2:3], s[8:9], v[2:3]
	s_delay_alu instid0(VALU_DEP_2)
	v_cmp_le_u64_e32 vcc_lo, s[4:5], v[4:5]
	s_wait_loadcnt 0x0
	v_cmp_u_f32_e64 s2, v6, v6
	v_cmp_lt_f32_e64 s3, v1, v6
	s_or_b32 s2, s2, s3
	s_or_b32 s12, vcc_lo, s12
	v_cndmask_b32_e64 v1, v1, v6, s2
	s_and_not1_b32 exec_lo, exec_lo, s12
	s_cbranch_execnz .LBB99_2
; %bb.3:
	s_or_b32 exec_lo, exec_lo, s12
.LBB99_4:
	s_delay_alu instid0(SALU_CYCLE_1) | instskip(SKIP_3) | instid1(VALU_DEP_1)
	s_or_b32 exec_lo, exec_lo, s11
	v_mbcnt_lo_u32_b32 v5, -1, 0
	s_barrier_signal -1
	s_barrier_wait -1
	v_lshl_or_b32 v2, v5, 2, 64
	v_cmp_gt_u32_e32 vcc_lo, 24, v5
	v_cmp_ne_u32_e64 s3, 31, v5
	ds_bpermute_b32 v4, v2, v1
	v_cndmask_b32_e64 v3, 0, 8, vcc_lo
	s_delay_alu instid0(VALU_DEP_1)
	v_add_lshl_u32 v3, v3, v5, 2
	s_wait_dscnt 0x0
	v_cmp_u_f32_e32 vcc_lo, v4, v4
	v_cmp_lt_f32_e64 s2, v1, v4
	s_or_b32 vcc_lo, vcc_lo, s2
	v_cndmask_b32_e32 v4, v1, v4, vcc_lo
	v_cmp_gt_u32_e32 vcc_lo, 28, v5
	ds_bpermute_b32 v6, v3, v4
	v_cndmask_b32_e64 v1, 0, 4, vcc_lo
	s_delay_alu instid0(VALU_DEP_1)
	v_add_lshl_u32 v1, v1, v5, 2
	s_wait_dscnt 0x0
	v_cmp_u_f32_e32 vcc_lo, v6, v6
	v_cmp_lt_f32_e64 s2, v4, v6
	s_or_b32 vcc_lo, vcc_lo, s2
	v_cndmask_b32_e32 v6, v4, v6, vcc_lo
	v_cmp_gt_u32_e32 vcc_lo, 30, v5
	v_cndmask_b32_e64 v4, 0, 2, vcc_lo
	s_delay_alu instid0(VALU_DEP_1)
	v_add_lshl_u32 v4, v4, v5, 2
	v_add_co_ci_u32_e64 v5, null, 0, v5, s3
	s_mov_b32 s3, exec_lo
	v_lshlrev_b32_e32 v5, 2, v5
	ds_bpermute_b32 v7, v1, v6
	s_wait_dscnt 0x0
	v_cmp_u_f32_e32 vcc_lo, v7, v7
	v_cmp_lt_f32_e64 s2, v6, v7
	s_or_b32 vcc_lo, vcc_lo, s2
	v_cndmask_b32_e32 v6, v6, v7, vcc_lo
	ds_bpermute_b32 v7, v4, v6
	s_wait_dscnt 0x0
	v_cmp_u_f32_e32 vcc_lo, v7, v7
	v_cmp_lt_f32_e64 s2, v6, v7
	s_or_b32 vcc_lo, vcc_lo, s2
	s_delay_alu instid0(SALU_CYCLE_1)
	v_dual_cndmask_b32 v7, v6, v7, vcc_lo :: v_dual_bitop2_b32 v6, 31, v0 bitop3:0x40
	ds_bpermute_b32 v8, v5, v7
	v_cmpx_eq_u32_e32 0, v6
	s_cbranch_execz .LBB99_6
; %bb.5:
	s_wait_dscnt 0x0
	v_cmp_u_f32_e32 vcc_lo, v8, v8
	v_cmp_lt_f32_e64 s2, v7, v8
	s_or_b32 vcc_lo, vcc_lo, s2
	v_cndmask_b32_e32 v7, v7, v8, vcc_lo
	v_lshrrev_b32_e32 v8, 3, v0
	ds_store_b32 v8, v7
.LBB99_6:
	s_or_b32 exec_lo, exec_lo, s3
	s_wait_dscnt 0x0
	s_barrier_signal -1
	s_barrier_wait -1
	s_load_b32 s2, s[0:1], 0xc9c
	v_mov_b32_e32 v7, 0xff7fffff
	s_wait_kmcnt 0x0
	s_bfe_u32 s2, s2, 0xb0005
	s_delay_alu instid0(SALU_CYCLE_1)
	v_cmp_gt_u32_e32 vcc_lo, s2, v0
	s_and_saveexec_b32 s2, vcc_lo
; %bb.7:
	v_lshlrev_b32_e32 v6, 2, v6
	ds_load_b32 v7, v6
; %bb.8:
	s_or_b32 exec_lo, exec_lo, s2
	s_delay_alu instid0(SALU_CYCLE_1)
	s_mov_b32 s3, exec_lo
	v_cmpx_gt_u32_e32 32, v0
	s_cbranch_execz .LBB99_10
; %bb.9:
	s_wait_dscnt 0x0
	ds_bpermute_b32 v2, v2, v7
	s_wait_dscnt 0x0
	v_cmp_u_f32_e32 vcc_lo, v2, v2
	v_cmp_lt_f32_e64 s2, v7, v2
	s_or_b32 vcc_lo, vcc_lo, s2
	v_cndmask_b32_e32 v2, v7, v2, vcc_lo
	ds_bpermute_b32 v3, v3, v2
	s_wait_dscnt 0x0
	v_cmp_u_f32_e32 vcc_lo, v3, v3
	v_cmp_lt_f32_e64 s2, v2, v3
	s_or_b32 vcc_lo, vcc_lo, s2
	v_cndmask_b32_e32 v2, v2, v3, vcc_lo
	;; [unrolled: 6-line block ×5, first 2 shown]
.LBB99_10:
	s_or_b32 exec_lo, exec_lo, s3
	s_delay_alu instid0(SALU_CYCLE_1)
	s_mov_b32 s2, exec_lo
	v_cmpx_eq_u32_e32 0, v0
	s_cbranch_execz .LBB99_12
; %bb.11:
	s_load_b64 s[0:1], s[0:1], s10 offset:0x8 scale_offset
	v_mov_b32_e32 v0, 0
	s_wait_dscnt 0x0
	s_wait_kmcnt 0x0
	global_store_b32 v0, v7, s[0:1]
.LBB99_12:
	s_endpgm
	.section	.rodata,"a",@progbits
	.p2align	6, 0x0
	.amdhsa_kernel _ZN2at6native14lpnorm_cleanupIN3c104HalfELNS0_8NormTypeE3EfLb1EfEEvPKT3_NS0_19TensorListAddressesEi
		.amdhsa_group_segment_fixed_size 2048
		.amdhsa_private_segment_fixed_size 0
		.amdhsa_kernarg_size 3472
		.amdhsa_user_sgpr_count 2
		.amdhsa_user_sgpr_dispatch_ptr 0
		.amdhsa_user_sgpr_queue_ptr 0
		.amdhsa_user_sgpr_kernarg_segment_ptr 1
		.amdhsa_user_sgpr_dispatch_id 0
		.amdhsa_user_sgpr_kernarg_preload_length 0
		.amdhsa_user_sgpr_kernarg_preload_offset 0
		.amdhsa_user_sgpr_private_segment_size 0
		.amdhsa_wavefront_size32 1
		.amdhsa_uses_dynamic_stack 0
		.amdhsa_enable_private_segment 0
		.amdhsa_system_sgpr_workgroup_id_x 1
		.amdhsa_system_sgpr_workgroup_id_y 0
		.amdhsa_system_sgpr_workgroup_id_z 0
		.amdhsa_system_sgpr_workgroup_info 0
		.amdhsa_system_vgpr_workitem_id 0
		.amdhsa_next_free_vgpr 9
		.amdhsa_next_free_sgpr 13
		.amdhsa_named_barrier_count 0
		.amdhsa_reserve_vcc 1
		.amdhsa_float_round_mode_32 0
		.amdhsa_float_round_mode_16_64 0
		.amdhsa_float_denorm_mode_32 3
		.amdhsa_float_denorm_mode_16_64 3
		.amdhsa_fp16_overflow 0
		.amdhsa_memory_ordered 1
		.amdhsa_forward_progress 1
		.amdhsa_inst_pref_size 7
		.amdhsa_round_robin_scheduling 0
		.amdhsa_exception_fp_ieee_invalid_op 0
		.amdhsa_exception_fp_denorm_src 0
		.amdhsa_exception_fp_ieee_div_zero 0
		.amdhsa_exception_fp_ieee_overflow 0
		.amdhsa_exception_fp_ieee_underflow 0
		.amdhsa_exception_fp_ieee_inexact 0
		.amdhsa_exception_int_div_zero 0
	.end_amdhsa_kernel
	.section	.text._ZN2at6native14lpnorm_cleanupIN3c104HalfELNS0_8NormTypeE3EfLb1EfEEvPKT3_NS0_19TensorListAddressesEi,"axG",@progbits,_ZN2at6native14lpnorm_cleanupIN3c104HalfELNS0_8NormTypeE3EfLb1EfEEvPKT3_NS0_19TensorListAddressesEi,comdat
.Lfunc_end99:
	.size	_ZN2at6native14lpnorm_cleanupIN3c104HalfELNS0_8NormTypeE3EfLb1EfEEvPKT3_NS0_19TensorListAddressesEi, .Lfunc_end99-_ZN2at6native14lpnorm_cleanupIN3c104HalfELNS0_8NormTypeE3EfLb1EfEEvPKT3_NS0_19TensorListAddressesEi
                                        ; -- End function
	.set _ZN2at6native14lpnorm_cleanupIN3c104HalfELNS0_8NormTypeE3EfLb1EfEEvPKT3_NS0_19TensorListAddressesEi.num_vgpr, 9
	.set _ZN2at6native14lpnorm_cleanupIN3c104HalfELNS0_8NormTypeE3EfLb1EfEEvPKT3_NS0_19TensorListAddressesEi.num_agpr, 0
	.set _ZN2at6native14lpnorm_cleanupIN3c104HalfELNS0_8NormTypeE3EfLb1EfEEvPKT3_NS0_19TensorListAddressesEi.numbered_sgpr, 13
	.set _ZN2at6native14lpnorm_cleanupIN3c104HalfELNS0_8NormTypeE3EfLb1EfEEvPKT3_NS0_19TensorListAddressesEi.num_named_barrier, 0
	.set _ZN2at6native14lpnorm_cleanupIN3c104HalfELNS0_8NormTypeE3EfLb1EfEEvPKT3_NS0_19TensorListAddressesEi.private_seg_size, 0
	.set _ZN2at6native14lpnorm_cleanupIN3c104HalfELNS0_8NormTypeE3EfLb1EfEEvPKT3_NS0_19TensorListAddressesEi.uses_vcc, 1
	.set _ZN2at6native14lpnorm_cleanupIN3c104HalfELNS0_8NormTypeE3EfLb1EfEEvPKT3_NS0_19TensorListAddressesEi.uses_flat_scratch, 0
	.set _ZN2at6native14lpnorm_cleanupIN3c104HalfELNS0_8NormTypeE3EfLb1EfEEvPKT3_NS0_19TensorListAddressesEi.has_dyn_sized_stack, 0
	.set _ZN2at6native14lpnorm_cleanupIN3c104HalfELNS0_8NormTypeE3EfLb1EfEEvPKT3_NS0_19TensorListAddressesEi.has_recursion, 0
	.set _ZN2at6native14lpnorm_cleanupIN3c104HalfELNS0_8NormTypeE3EfLb1EfEEvPKT3_NS0_19TensorListAddressesEi.has_indirect_call, 0
	.section	.AMDGPU.csdata,"",@progbits
; Kernel info:
; codeLenInByte = 868
; TotalNumSgprs: 15
; NumVgprs: 9
; ScratchSize: 0
; MemoryBound: 0
; FloatMode: 240
; IeeeMode: 1
; LDSByteSize: 2048 bytes/workgroup (compile time only)
; SGPRBlocks: 0
; VGPRBlocks: 0
; NumSGPRsForWavesPerEU: 15
; NumVGPRsForWavesPerEU: 9
; NamedBarCnt: 0
; Occupancy: 16
; WaveLimiterHint : 0
; COMPUTE_PGM_RSRC2:SCRATCH_EN: 0
; COMPUTE_PGM_RSRC2:USER_SGPR: 2
; COMPUTE_PGM_RSRC2:TRAP_HANDLER: 0
; COMPUTE_PGM_RSRC2:TGID_X_EN: 1
; COMPUTE_PGM_RSRC2:TGID_Y_EN: 0
; COMPUTE_PGM_RSRC2:TGID_Z_EN: 0
; COMPUTE_PGM_RSRC2:TIDIG_COMP_CNT: 0
	.section	.text._ZN2at6native12_GLOBAL__N_125multi_tensor_apply_kernelINS1_18TensorListMetadataILi1EEENS0_13LpNormFunctorIN3c104HalfELNS0_8NormTypeE0ES7_Li1ELi1ELi0EEEJPfiEEEvT_T0_DpT1_,"axG",@progbits,_ZN2at6native12_GLOBAL__N_125multi_tensor_apply_kernelINS1_18TensorListMetadataILi1EEENS0_13LpNormFunctorIN3c104HalfELNS0_8NormTypeE0ES7_Li1ELi1ELi0EEEJPfiEEEvT_T0_DpT1_,comdat
	.globl	_ZN2at6native12_GLOBAL__N_125multi_tensor_apply_kernelINS1_18TensorListMetadataILi1EEENS0_13LpNormFunctorIN3c104HalfELNS0_8NormTypeE0ES7_Li1ELi1ELi0EEEJPfiEEEvT_T0_DpT1_ ; -- Begin function _ZN2at6native12_GLOBAL__N_125multi_tensor_apply_kernelINS1_18TensorListMetadataILi1EEENS0_13LpNormFunctorIN3c104HalfELNS0_8NormTypeE0ES7_Li1ELi1ELi0EEEJPfiEEEvT_T0_DpT1_
	.p2align	8
	.type	_ZN2at6native12_GLOBAL__N_125multi_tensor_apply_kernelINS1_18TensorListMetadataILi1EEENS0_13LpNormFunctorIN3c104HalfELNS0_8NormTypeE0ES7_Li1ELi1ELi0EEEJPfiEEEvT_T0_DpT1_,@function
_ZN2at6native12_GLOBAL__N_125multi_tensor_apply_kernelINS1_18TensorListMetadataILi1EEENS0_13LpNormFunctorIN3c104HalfELNS0_8NormTypeE0ES7_Li1ELi1ELi0EEEJPfiEEEvT_T0_DpT1_: ; @_ZN2at6native12_GLOBAL__N_125multi_tensor_apply_kernelINS1_18TensorListMetadataILi1EEENS0_13LpNormFunctorIN3c104HalfELNS0_8NormTypeE0ES7_Li1ELi1ELi0EEEJPfiEEEvT_T0_DpT1_
; %bb.0:
	s_bfe_u32 s2, ttmp6, 0x4000c
	s_and_b32 s3, ttmp6, 15
	s_add_co_i32 s2, s2, 1
	s_getreg_b32 s4, hwreg(HW_REG_IB_STS2, 6, 4)
	s_mul_i32 s2, ttmp9, s2
	s_delay_alu instid0(SALU_CYCLE_1)
	s_add_co_i32 s3, s3, s2
	s_cmp_eq_u32 s4, 0
	s_cselect_b32 s2, ttmp9, s3
	s_mov_b32 s3, 0
	v_mov_b32_e32 v1, s2
	s_add_nc_u64 s[4:5], s[0:1], s[2:3]
	s_mul_u64 s[6:7], s[2:3], 3
	s_delay_alu instid0(SALU_CYCLE_1) | instskip(SKIP_4) | instid1(SALU_CYCLE_1)
	s_add_nc_u64 s[4:5], s[4:5], s[6:7]
	global_load_u8 v13, v1, s[0:1] offset:1760
	s_load_b32 s4, s[4:5], 0x820
	s_wait_kmcnt 0x0
	s_ashr_i32 s5, s4, 31
	s_lshl_b64 s[10:11], s[4:5], 17
	s_lshl_b64 s[12:13], s[4:5], 16
	s_wait_loadcnt 0x0
	v_readfirstlane_b32 s2, v13
	s_and_b32 s2, s2, 0xff
	s_clause 0x1
	s_load_b64 s[6:7], s[0:1], s2 offset:0x0 scale_offset
	s_load_b64 s[8:9], s[0:1], s2 offset:0x370 scale_offset
	s_wait_kmcnt 0x0
	s_add_nc_u64 s[6:7], s[6:7], s[10:11]
	s_and_b32 s2, s8, 3
	s_and_b64 s[10:11], s[6:7], 7
	s_sub_nc_u64 s[8:9], s[8:9], s[12:13]
	s_or_b64 s[10:11], s[2:3], s[10:11]
	s_delay_alu instid0(SALU_CYCLE_1)
	s_cmp_eq_u64 s[10:11], 0
	s_cbranch_scc1 .LBB100_12
; %bb.1:
	v_cmp_lt_i64_e64 s2, s[8:9], 1
	s_and_b32 vcc_lo, exec_lo, s2
	s_cbranch_vccnz .LBB100_28
; %bb.2:
	s_load_b32 s2, s[0:1], 0xd4c
	v_min_i64 v[10:11], 0x10000, s[8:9]
	s_mov_b32 s11, 0
	s_mov_b64 s[12:13], 0
	s_wait_kmcnt 0x0
	s_and_b32 s2, s2, 0xffff
	s_delay_alu instid0(SALU_CYCLE_1) | instskip(SKIP_3) | instid1(VALU_DEP_3)
	v_dual_mov_b32 v7, 0 :: v_dual_add_nc_u32 v16, s2, v0
	v_mad_u32 v12, s2, 3, v0
	v_lshl_add_u32 v14, s2, 1, v0
	s_lshl_b32 s10, s2, 2
	v_dual_mov_b32 v6, v7 :: v_dual_mov_b32 v8, v7
	v_mov_b32_e32 v9, v7
	s_delay_alu instid0(VALU_DEP_2) | instskip(NEXT) | instid1(VALU_DEP_2)
	v_mov_b64_e32 v[2:3], v[6:7]
	v_mov_b64_e32 v[4:5], v[8:9]
	s_branch .LBB100_4
.LBB100_3:                              ;   in Loop: Header=BB100_4 Depth=1
	s_or_b32 exec_lo, exec_lo, s2
	s_add_nc_u64 s[12:13], s[12:13], s[10:11]
	s_delay_alu instid0(SALU_CYCLE_1)
	v_cmp_ge_i64_e32 vcc_lo, s[12:13], v[10:11]
	s_cbranch_vccnz .LBB100_13
.LBB100_4:                              ; =>This Inner Loop Header: Depth=1
	v_add_nc_u32_e32 v6, s12, v0
	s_delay_alu instid0(VALU_DEP_1) | instskip(SKIP_2) | instid1(SALU_CYCLE_1)
	v_cmp_gt_i64_e32 vcc_lo, s[8:9], v[6:7]
	v_cmp_gt_u32_e64 s2, 0x10000, v6
	s_and_b32 s5, s2, vcc_lo
	s_and_saveexec_b32 s2, s5
	s_cbranch_execz .LBB100_6
; %bb.5:                                ;   in Loop: Header=BB100_4 Depth=1
	v_lshl_add_u64 v[8:9], v[6:7], 1, s[6:7]
	global_load_u16 v1, v[8:9], off
	s_wait_loadcnt 0x0
	v_cmp_neq_f16_e32 vcc_lo, 0, v1
	v_cndmask_b32_e64 v1, 0, 1.0, vcc_lo
	s_delay_alu instid0(VALU_DEP_1)
	v_add_f32_e32 v2, v2, v1
.LBB100_6:                              ;   in Loop: Header=BB100_4 Depth=1
	s_or_b32 exec_lo, exec_lo, s2
	v_add_nc_u32_e32 v6, s12, v16
	s_delay_alu instid0(VALU_DEP_1) | instskip(SKIP_2) | instid1(SALU_CYCLE_1)
	v_cmp_gt_i64_e32 vcc_lo, s[8:9], v[6:7]
	v_cmp_gt_u32_e64 s2, 0x10000, v6
	s_and_b32 s5, s2, vcc_lo
	s_and_saveexec_b32 s2, s5
	s_cbranch_execz .LBB100_8
; %bb.7:                                ;   in Loop: Header=BB100_4 Depth=1
	v_lshl_add_u64 v[8:9], v[6:7], 1, s[6:7]
	global_load_u16 v1, v[8:9], off
	s_wait_loadcnt 0x0
	v_cmp_neq_f16_e32 vcc_lo, 0, v1
	v_cndmask_b32_e64 v1, 0, 1.0, vcc_lo
	s_delay_alu instid0(VALU_DEP_1)
	v_add_f32_e32 v3, v3, v1
.LBB100_8:                              ;   in Loop: Header=BB100_4 Depth=1
	s_or_b32 exec_lo, exec_lo, s2
	v_add_nc_u32_e32 v6, s12, v14
	s_delay_alu instid0(VALU_DEP_1) | instskip(SKIP_2) | instid1(SALU_CYCLE_1)
	v_cmp_gt_i64_e32 vcc_lo, s[8:9], v[6:7]
	v_cmp_gt_u32_e64 s2, 0x10000, v6
	s_and_b32 s5, s2, vcc_lo
	s_and_saveexec_b32 s2, s5
	s_cbranch_execz .LBB100_10
; %bb.9:                                ;   in Loop: Header=BB100_4 Depth=1
	v_lshl_add_u64 v[8:9], v[6:7], 1, s[6:7]
	global_load_u16 v1, v[8:9], off
	s_wait_loadcnt 0x0
	v_cmp_neq_f16_e32 vcc_lo, 0, v1
	v_cndmask_b32_e64 v1, 0, 1.0, vcc_lo
	s_delay_alu instid0(VALU_DEP_1)
	v_add_f32_e32 v4, v4, v1
.LBB100_10:                             ;   in Loop: Header=BB100_4 Depth=1
	s_or_b32 exec_lo, exec_lo, s2
	v_add_nc_u32_e32 v6, s12, v12
	s_delay_alu instid0(VALU_DEP_1) | instskip(SKIP_2) | instid1(SALU_CYCLE_1)
	v_cmp_gt_i64_e32 vcc_lo, s[8:9], v[6:7]
	v_cmp_gt_u32_e64 s2, 0x10000, v6
	s_and_b32 s5, s2, vcc_lo
	s_and_saveexec_b32 s2, s5
	s_cbranch_execz .LBB100_3
; %bb.11:                               ;   in Loop: Header=BB100_4 Depth=1
	v_lshl_add_u64 v[8:9], v[6:7], 1, s[6:7]
	global_load_u16 v1, v[8:9], off
	s_wait_loadcnt 0x0
	v_cmp_neq_f16_e32 vcc_lo, 0, v1
	v_cndmask_b32_e64 v1, 0, 1.0, vcc_lo
	s_delay_alu instid0(VALU_DEP_1)
	v_add_f32_e32 v5, v5, v1
	s_branch .LBB100_3
.LBB100_12:
	s_mov_b32 s3, -1
                                        ; implicit-def: $vgpr2_vgpr3_vgpr4_vgpr5
.LBB100_13:
	s_delay_alu instid0(SALU_CYCLE_1)
	s_and_not1_b32 vcc_lo, exec_lo, s3
	s_cbranch_vccnz .LBB100_19
.LBB100_14:
	v_min_i64 v[6:7], 0x10000, s[8:9]
	v_dual_mov_b32 v2, 0 :: v_dual_lshlrev_b32 v4, 2, v0
	s_mov_b32 s9, 0
	s_delay_alu instid0(VALU_DEP_1) | instskip(NEXT) | instid1(VALU_DEP_1)
	v_dual_mov_b32 v5, v2 :: v_dual_mov_b32 v3, v2
	v_cmp_lt_i64_e32 vcc_lo, v[4:5], v[6:7]
	v_mov_b32_e32 v4, v2
	s_and_saveexec_b32 s3, vcc_lo
	s_cbranch_execz .LBB100_18
; %bb.15:
	s_load_b32 s2, s[0:1], 0xd4c
	v_dual_mov_b32 v5, v2 :: v_dual_lshlrev_b32 v4, 3, v0
	v_dual_mov_b32 v1, v2 :: v_dual_mov_b32 v3, v2
	s_mov_b32 s5, s9
	s_delay_alu instid0(VALU_DEP_2) | instskip(NEXT) | instid1(VALU_DEP_2)
	v_add_nc_u64_e32 v[8:9], s[6:7], v[4:5]
	v_mov_b64_e32 v[10:11], v[0:1]
	v_mov_b32_e32 v4, v2
	s_mov_b32 s7, s9
	s_delay_alu instid0(VALU_DEP_3) | instskip(SKIP_2) | instid1(SALU_CYCLE_1)
	v_add_nc_u64_e32 v[8:9], 4, v[8:9]
	s_wait_kmcnt 0x0
	s_and_b32 s8, s2, 0xffff
	s_lshl_b32 s6, s8, 3
.LBB100_16:                             ; =>This Inner Loop Header: Depth=1
	global_load_b64 v[14:15], v[8:9], off offset:-4
	v_add_nc_u64_e32 v[10:11], s[8:9], v[10:11]
	s_wait_xcnt 0x0
	v_add_nc_u64_e32 v[8:9], s[6:7], v[8:9]
	s_delay_alu instid0(VALU_DEP_2) | instskip(NEXT) | instid1(VALU_DEP_1)
	v_lshlrev_b64_e32 v[16:17], 2, v[10:11]
	v_cmp_ge_i64_e32 vcc_lo, v[16:17], v[6:7]
	s_or_b32 s5, vcc_lo, s5
	s_wait_loadcnt 0x0
	v_cmp_neq_f16_e64 s2, 0, v14
	v_dual_lshrrev_b32 v1, 16, v14 :: v_dual_lshrrev_b32 v12, 16, v15
	s_delay_alu instid0(VALU_DEP_2) | instskip(SKIP_1) | instid1(VALU_DEP_1)
	v_cndmask_b32_e64 v14, 0, 1.0, s2
	v_cmp_neq_f16_e64 s2, 0, v15
	v_cndmask_b32_e64 v16, 0, 1.0, s2
	s_delay_alu instid0(VALU_DEP_4) | instskip(NEXT) | instid1(VALU_DEP_1)
	v_cmp_neq_f16_e64 s2, 0, v1
	v_cndmask_b32_e64 v15, 0, 1.0, s2
	v_cmp_neq_f16_e64 s2, 0, v12
	s_delay_alu instid0(VALU_DEP_2) | instskip(NEXT) | instid1(VALU_DEP_2)
	v_pk_add_f32 v[2:3], v[2:3], v[14:15]
	v_cndmask_b32_e64 v17, 0, 1.0, s2
	s_delay_alu instid0(VALU_DEP_1)
	v_pk_add_f32 v[4:5], v[4:5], v[16:17]
	s_and_not1_b32 exec_lo, exec_lo, s5
	s_cbranch_execnz .LBB100_16
; %bb.17:
	s_or_b32 exec_lo, exec_lo, s5
.LBB100_18:
	s_delay_alu instid0(SALU_CYCLE_1)
	s_or_b32 exec_lo, exec_lo, s3
.LBB100_19:
	v_add_f32_e32 v1, 0, v2
	v_mbcnt_lo_u32_b32 v6, -1, 0
	s_mov_b32 s2, exec_lo
	s_barrier_signal -1
	s_delay_alu instid0(VALU_DEP_2) | instskip(NEXT) | instid1(VALU_DEP_2)
	v_add_f32_e32 v1, v3, v1
	v_cmp_gt_u32_e32 vcc_lo, 24, v6
	s_barrier_wait -1
	s_delay_alu instid0(VALU_DEP_2) | instskip(SKIP_1) | instid1(VALU_DEP_2)
	v_add_f32_e32 v2, v4, v1
	v_lshl_or_b32 v1, v6, 2, 64
	v_add_f32_e32 v3, v5, v2
	v_cndmask_b32_e64 v2, 0, 8, vcc_lo
	v_cmp_gt_u32_e32 vcc_lo, 28, v6
	ds_bpermute_b32 v4, v1, v3
	v_add_lshl_u32 v2, v2, v6, 2
	s_wait_dscnt 0x0
	v_add_f32_e32 v4, v3, v4
	v_cndmask_b32_e64 v3, 0, 4, vcc_lo
	v_cmp_gt_u32_e32 vcc_lo, 30, v6
	ds_bpermute_b32 v5, v2, v4
	v_add_lshl_u32 v3, v3, v6, 2
	s_wait_dscnt 0x0
	v_add_f32_e32 v5, v4, v5
	v_cndmask_b32_e64 v4, 0, 2, vcc_lo
	v_cmp_ne_u32_e32 vcc_lo, 31, v6
	ds_bpermute_b32 v7, v3, v5
	v_add_lshl_u32 v4, v4, v6, 2
	v_add_co_ci_u32_e64 v8, null, 0, v6, vcc_lo
	s_wait_dscnt 0x0
	v_add_f32_e32 v5, v5, v7
	ds_bpermute_b32 v7, v4, v5
	s_wait_dscnt 0x0
	v_dual_add_f32 v6, v5, v7 :: v_dual_lshlrev_b32 v5, 2, v8
	v_and_b32_e32 v7, 31, v0
	ds_bpermute_b32 v8, v5, v6
	v_cmpx_eq_u32_e32 0, v7
	s_cbranch_execz .LBB100_21
; %bb.20:
	v_lshrrev_b32_e32 v9, 3, v0
	s_wait_dscnt 0x0
	v_add_f32_e32 v6, v6, v8
	ds_store_b32 v9, v6
.LBB100_21:
	s_or_b32 exec_lo, exec_lo, s2
	s_wait_dscnt 0x0
	s_barrier_signal -1
	s_barrier_wait -1
	s_load_b32 s2, s[0:1], 0xd4c
	v_mov_b32_e32 v6, 0
	s_wait_kmcnt 0x0
	s_bfe_u32 s2, s2, 0xb0005
	s_delay_alu instid0(SALU_CYCLE_1)
	v_cmp_gt_u32_e32 vcc_lo, s2, v0
	s_and_saveexec_b32 s2, vcc_lo
; %bb.22:
	v_lshlrev_b32_e32 v6, 2, v7
	ds_load_b32 v6, v6
; %bb.23:
	s_or_b32 exec_lo, exec_lo, s2
	s_delay_alu instid0(SALU_CYCLE_1)
	s_mov_b32 s2, exec_lo
	v_cmpx_gt_u32_e32 32, v0
	s_cbranch_execz .LBB100_25
; %bb.24:
	s_wait_dscnt 0x0
	ds_bpermute_b32 v1, v1, v6
	s_wait_dscnt 0x0
	v_add_f32_e32 v1, v6, v1
	ds_bpermute_b32 v2, v2, v1
	s_wait_dscnt 0x0
	v_add_f32_e32 v1, v1, v2
	;; [unrolled: 3-line block ×5, first 2 shown]
.LBB100_25:
	s_or_b32 exec_lo, exec_lo, s2
	s_delay_alu instid0(SALU_CYCLE_1)
	s_mov_b32 s2, exec_lo
	v_cmpx_eq_u32_e32 0, v0
	s_cbranch_execz .LBB100_27
; %bb.26:
	s_clause 0x1
	s_load_b32 s2, s[0:1], 0xd20
	s_load_b96 s[8:10], s[0:1], 0xd30
	v_and_b32_e32 v0, 0xff, v13
	s_wait_kmcnt 0x0
	s_delay_alu instid0(VALU_DEP_1) | instskip(NEXT) | instid1(VALU_DEP_1)
	v_add_nc_u32_e32 v0, s2, v0
	v_mul_lo_u32 v0, v0, s10
	s_delay_alu instid0(VALU_DEP_1)
	v_add_nc_u32_e32 v0, s4, v0
	s_wait_dscnt 0x0
	global_store_b32 v0, v6, s[8:9] scale_offset
.LBB100_27:
	s_endpgm
.LBB100_28:
	v_mov_b32_e32 v2, 0
	s_delay_alu instid0(VALU_DEP_1)
	v_dual_mov_b32 v3, v2 :: v_dual_mov_b32 v4, v2
	v_mov_b32_e32 v5, v2
	s_and_not1_b32 vcc_lo, exec_lo, s3
	s_cbranch_vccz .LBB100_14
	s_branch .LBB100_19
	.section	.rodata,"a",@progbits
	.p2align	6, 0x0
	.amdhsa_kernel _ZN2at6native12_GLOBAL__N_125multi_tensor_apply_kernelINS1_18TensorListMetadataILi1EEENS0_13LpNormFunctorIN3c104HalfELNS0_8NormTypeE0ES7_Li1ELi1ELi0EEEJPfiEEEvT_T0_DpT1_
		.amdhsa_group_segment_fixed_size 2048
		.amdhsa_private_segment_fixed_size 0
		.amdhsa_kernarg_size 3648
		.amdhsa_user_sgpr_count 2
		.amdhsa_user_sgpr_dispatch_ptr 0
		.amdhsa_user_sgpr_queue_ptr 0
		.amdhsa_user_sgpr_kernarg_segment_ptr 1
		.amdhsa_user_sgpr_dispatch_id 0
		.amdhsa_user_sgpr_kernarg_preload_length 0
		.amdhsa_user_sgpr_kernarg_preload_offset 0
		.amdhsa_user_sgpr_private_segment_size 0
		.amdhsa_wavefront_size32 1
		.amdhsa_uses_dynamic_stack 0
		.amdhsa_enable_private_segment 0
		.amdhsa_system_sgpr_workgroup_id_x 1
		.amdhsa_system_sgpr_workgroup_id_y 0
		.amdhsa_system_sgpr_workgroup_id_z 0
		.amdhsa_system_sgpr_workgroup_info 0
		.amdhsa_system_vgpr_workitem_id 0
		.amdhsa_next_free_vgpr 18
		.amdhsa_next_free_sgpr 14
		.amdhsa_named_barrier_count 0
		.amdhsa_reserve_vcc 1
		.amdhsa_float_round_mode_32 0
		.amdhsa_float_round_mode_16_64 0
		.amdhsa_float_denorm_mode_32 3
		.amdhsa_float_denorm_mode_16_64 3
		.amdhsa_fp16_overflow 0
		.amdhsa_memory_ordered 1
		.amdhsa_forward_progress 1
		.amdhsa_inst_pref_size 12
		.amdhsa_round_robin_scheduling 0
		.amdhsa_exception_fp_ieee_invalid_op 0
		.amdhsa_exception_fp_denorm_src 0
		.amdhsa_exception_fp_ieee_div_zero 0
		.amdhsa_exception_fp_ieee_overflow 0
		.amdhsa_exception_fp_ieee_underflow 0
		.amdhsa_exception_fp_ieee_inexact 0
		.amdhsa_exception_int_div_zero 0
	.end_amdhsa_kernel
	.section	.text._ZN2at6native12_GLOBAL__N_125multi_tensor_apply_kernelINS1_18TensorListMetadataILi1EEENS0_13LpNormFunctorIN3c104HalfELNS0_8NormTypeE0ES7_Li1ELi1ELi0EEEJPfiEEEvT_T0_DpT1_,"axG",@progbits,_ZN2at6native12_GLOBAL__N_125multi_tensor_apply_kernelINS1_18TensorListMetadataILi1EEENS0_13LpNormFunctorIN3c104HalfELNS0_8NormTypeE0ES7_Li1ELi1ELi0EEEJPfiEEEvT_T0_DpT1_,comdat
.Lfunc_end100:
	.size	_ZN2at6native12_GLOBAL__N_125multi_tensor_apply_kernelINS1_18TensorListMetadataILi1EEENS0_13LpNormFunctorIN3c104HalfELNS0_8NormTypeE0ES7_Li1ELi1ELi0EEEJPfiEEEvT_T0_DpT1_, .Lfunc_end100-_ZN2at6native12_GLOBAL__N_125multi_tensor_apply_kernelINS1_18TensorListMetadataILi1EEENS0_13LpNormFunctorIN3c104HalfELNS0_8NormTypeE0ES7_Li1ELi1ELi0EEEJPfiEEEvT_T0_DpT1_
                                        ; -- End function
	.set _ZN2at6native12_GLOBAL__N_125multi_tensor_apply_kernelINS1_18TensorListMetadataILi1EEENS0_13LpNormFunctorIN3c104HalfELNS0_8NormTypeE0ES7_Li1ELi1ELi0EEEJPfiEEEvT_T0_DpT1_.num_vgpr, 18
	.set _ZN2at6native12_GLOBAL__N_125multi_tensor_apply_kernelINS1_18TensorListMetadataILi1EEENS0_13LpNormFunctorIN3c104HalfELNS0_8NormTypeE0ES7_Li1ELi1ELi0EEEJPfiEEEvT_T0_DpT1_.num_agpr, 0
	.set _ZN2at6native12_GLOBAL__N_125multi_tensor_apply_kernelINS1_18TensorListMetadataILi1EEENS0_13LpNormFunctorIN3c104HalfELNS0_8NormTypeE0ES7_Li1ELi1ELi0EEEJPfiEEEvT_T0_DpT1_.numbered_sgpr, 14
	.set _ZN2at6native12_GLOBAL__N_125multi_tensor_apply_kernelINS1_18TensorListMetadataILi1EEENS0_13LpNormFunctorIN3c104HalfELNS0_8NormTypeE0ES7_Li1ELi1ELi0EEEJPfiEEEvT_T0_DpT1_.num_named_barrier, 0
	.set _ZN2at6native12_GLOBAL__N_125multi_tensor_apply_kernelINS1_18TensorListMetadataILi1EEENS0_13LpNormFunctorIN3c104HalfELNS0_8NormTypeE0ES7_Li1ELi1ELi0EEEJPfiEEEvT_T0_DpT1_.private_seg_size, 0
	.set _ZN2at6native12_GLOBAL__N_125multi_tensor_apply_kernelINS1_18TensorListMetadataILi1EEENS0_13LpNormFunctorIN3c104HalfELNS0_8NormTypeE0ES7_Li1ELi1ELi0EEEJPfiEEEvT_T0_DpT1_.uses_vcc, 1
	.set _ZN2at6native12_GLOBAL__N_125multi_tensor_apply_kernelINS1_18TensorListMetadataILi1EEENS0_13LpNormFunctorIN3c104HalfELNS0_8NormTypeE0ES7_Li1ELi1ELi0EEEJPfiEEEvT_T0_DpT1_.uses_flat_scratch, 0
	.set _ZN2at6native12_GLOBAL__N_125multi_tensor_apply_kernelINS1_18TensorListMetadataILi1EEENS0_13LpNormFunctorIN3c104HalfELNS0_8NormTypeE0ES7_Li1ELi1ELi0EEEJPfiEEEvT_T0_DpT1_.has_dyn_sized_stack, 0
	.set _ZN2at6native12_GLOBAL__N_125multi_tensor_apply_kernelINS1_18TensorListMetadataILi1EEENS0_13LpNormFunctorIN3c104HalfELNS0_8NormTypeE0ES7_Li1ELi1ELi0EEEJPfiEEEvT_T0_DpT1_.has_recursion, 0
	.set _ZN2at6native12_GLOBAL__N_125multi_tensor_apply_kernelINS1_18TensorListMetadataILi1EEENS0_13LpNormFunctorIN3c104HalfELNS0_8NormTypeE0ES7_Li1ELi1ELi0EEEJPfiEEEvT_T0_DpT1_.has_indirect_call, 0
	.section	.AMDGPU.csdata,"",@progbits
; Kernel info:
; codeLenInByte = 1500
; TotalNumSgprs: 16
; NumVgprs: 18
; ScratchSize: 0
; MemoryBound: 0
; FloatMode: 240
; IeeeMode: 1
; LDSByteSize: 2048 bytes/workgroup (compile time only)
; SGPRBlocks: 0
; VGPRBlocks: 1
; NumSGPRsForWavesPerEU: 16
; NumVGPRsForWavesPerEU: 18
; NamedBarCnt: 0
; Occupancy: 16
; WaveLimiterHint : 0
; COMPUTE_PGM_RSRC2:SCRATCH_EN: 0
; COMPUTE_PGM_RSRC2:USER_SGPR: 2
; COMPUTE_PGM_RSRC2:TRAP_HANDLER: 0
; COMPUTE_PGM_RSRC2:TGID_X_EN: 1
; COMPUTE_PGM_RSRC2:TGID_Y_EN: 0
; COMPUTE_PGM_RSRC2:TGID_Z_EN: 0
; COMPUTE_PGM_RSRC2:TIDIG_COMP_CNT: 0
	.section	.text._ZN2at6native12_GLOBAL__N_125multi_tensor_apply_kernelINS1_18TensorListMetadataILi1EEENS0_13LpNormFunctorIN3c104HalfELNS0_8NormTypeE1ES7_Li1ELi1ELi0EEEJPfiEEEvT_T0_DpT1_,"axG",@progbits,_ZN2at6native12_GLOBAL__N_125multi_tensor_apply_kernelINS1_18TensorListMetadataILi1EEENS0_13LpNormFunctorIN3c104HalfELNS0_8NormTypeE1ES7_Li1ELi1ELi0EEEJPfiEEEvT_T0_DpT1_,comdat
	.globl	_ZN2at6native12_GLOBAL__N_125multi_tensor_apply_kernelINS1_18TensorListMetadataILi1EEENS0_13LpNormFunctorIN3c104HalfELNS0_8NormTypeE1ES7_Li1ELi1ELi0EEEJPfiEEEvT_T0_DpT1_ ; -- Begin function _ZN2at6native12_GLOBAL__N_125multi_tensor_apply_kernelINS1_18TensorListMetadataILi1EEENS0_13LpNormFunctorIN3c104HalfELNS0_8NormTypeE1ES7_Li1ELi1ELi0EEEJPfiEEEvT_T0_DpT1_
	.p2align	8
	.type	_ZN2at6native12_GLOBAL__N_125multi_tensor_apply_kernelINS1_18TensorListMetadataILi1EEENS0_13LpNormFunctorIN3c104HalfELNS0_8NormTypeE1ES7_Li1ELi1ELi0EEEJPfiEEEvT_T0_DpT1_,@function
_ZN2at6native12_GLOBAL__N_125multi_tensor_apply_kernelINS1_18TensorListMetadataILi1EEENS0_13LpNormFunctorIN3c104HalfELNS0_8NormTypeE1ES7_Li1ELi1ELi0EEEJPfiEEEvT_T0_DpT1_: ; @_ZN2at6native12_GLOBAL__N_125multi_tensor_apply_kernelINS1_18TensorListMetadataILi1EEENS0_13LpNormFunctorIN3c104HalfELNS0_8NormTypeE1ES7_Li1ELi1ELi0EEEJPfiEEEvT_T0_DpT1_
; %bb.0:
	s_bfe_u32 s2, ttmp6, 0x4000c
	s_and_b32 s3, ttmp6, 15
	s_add_co_i32 s2, s2, 1
	s_getreg_b32 s4, hwreg(HW_REG_IB_STS2, 6, 4)
	s_mul_i32 s2, ttmp9, s2
	s_delay_alu instid0(SALU_CYCLE_1)
	s_add_co_i32 s3, s3, s2
	s_cmp_eq_u32 s4, 0
	s_cselect_b32 s2, ttmp9, s3
	s_mov_b32 s3, 0
	v_mov_b32_e32 v1, s2
	s_add_nc_u64 s[4:5], s[0:1], s[2:3]
	s_mul_u64 s[6:7], s[2:3], 3
	s_delay_alu instid0(SALU_CYCLE_1) | instskip(SKIP_4) | instid1(SALU_CYCLE_1)
	s_add_nc_u64 s[4:5], s[4:5], s[6:7]
	global_load_u8 v13, v1, s[0:1] offset:1760
	s_load_b32 s4, s[4:5], 0x820
	s_wait_kmcnt 0x0
	s_ashr_i32 s5, s4, 31
	s_lshl_b64 s[10:11], s[4:5], 17
	s_lshl_b64 s[12:13], s[4:5], 16
	s_wait_loadcnt 0x0
	v_readfirstlane_b32 s2, v13
	s_and_b32 s2, s2, 0xff
	s_clause 0x1
	s_load_b64 s[6:7], s[0:1], s2 offset:0x0 scale_offset
	s_load_b64 s[8:9], s[0:1], s2 offset:0x370 scale_offset
	s_wait_kmcnt 0x0
	s_add_nc_u64 s[6:7], s[6:7], s[10:11]
	s_and_b32 s2, s8, 3
	s_and_b64 s[10:11], s[6:7], 7
	s_sub_nc_u64 s[8:9], s[8:9], s[12:13]
	s_or_b64 s[10:11], s[2:3], s[10:11]
	s_delay_alu instid0(SALU_CYCLE_1)
	s_cmp_eq_u64 s[10:11], 0
	s_cbranch_scc1 .LBB101_12
; %bb.1:
	v_cmp_lt_i64_e64 s2, s[8:9], 1
	s_and_b32 vcc_lo, exec_lo, s2
	s_cbranch_vccnz .LBB101_28
; %bb.2:
	s_load_b32 s2, s[0:1], 0xd4c
	v_min_i64 v[10:11], 0x10000, s[8:9]
	s_mov_b32 s11, 0
	s_mov_b64 s[12:13], 0
	s_wait_kmcnt 0x0
	s_and_b32 s2, s2, 0xffff
	s_delay_alu instid0(SALU_CYCLE_1) | instskip(SKIP_3) | instid1(VALU_DEP_3)
	v_dual_mov_b32 v7, 0 :: v_dual_add_nc_u32 v16, s2, v0
	v_mad_u32 v12, s2, 3, v0
	v_lshl_add_u32 v14, s2, 1, v0
	s_lshl_b32 s10, s2, 2
	v_dual_mov_b32 v6, v7 :: v_dual_mov_b32 v8, v7
	v_mov_b32_e32 v9, v7
	s_delay_alu instid0(VALU_DEP_2) | instskip(NEXT) | instid1(VALU_DEP_2)
	v_mov_b64_e32 v[2:3], v[6:7]
	v_mov_b64_e32 v[4:5], v[8:9]
	s_branch .LBB101_4
.LBB101_3:                              ;   in Loop: Header=BB101_4 Depth=1
	s_or_b32 exec_lo, exec_lo, s2
	s_add_nc_u64 s[12:13], s[12:13], s[10:11]
	s_delay_alu instid0(SALU_CYCLE_1)
	v_cmp_lt_i64_e32 vcc_lo, s[12:13], v[10:11]
	s_cbranch_vccz .LBB101_13
.LBB101_4:                              ; =>This Inner Loop Header: Depth=1
	v_add_nc_u32_e32 v6, s12, v0
	s_delay_alu instid0(VALU_DEP_1) | instskip(SKIP_2) | instid1(SALU_CYCLE_1)
	v_cmp_gt_i64_e32 vcc_lo, s[8:9], v[6:7]
	v_cmp_gt_u32_e64 s2, 0x10000, v6
	s_and_b32 s5, s2, vcc_lo
	s_and_saveexec_b32 s2, s5
	s_cbranch_execz .LBB101_6
; %bb.5:                                ;   in Loop: Header=BB101_4 Depth=1
	v_lshl_add_u64 v[8:9], v[6:7], 1, s[6:7]
	global_load_u16 v1, v[8:9], off
	s_wait_loadcnt 0x0
	v_cvt_f32_f16_e64 v1, |v1|
	s_delay_alu instid0(VALU_DEP_1)
	v_add_f32_e32 v2, v2, v1
.LBB101_6:                              ;   in Loop: Header=BB101_4 Depth=1
	s_or_b32 exec_lo, exec_lo, s2
	v_add_nc_u32_e32 v6, s12, v16
	s_delay_alu instid0(VALU_DEP_1) | instskip(SKIP_2) | instid1(SALU_CYCLE_1)
	v_cmp_gt_i64_e32 vcc_lo, s[8:9], v[6:7]
	v_cmp_gt_u32_e64 s2, 0x10000, v6
	s_and_b32 s5, s2, vcc_lo
	s_and_saveexec_b32 s2, s5
	s_cbranch_execz .LBB101_8
; %bb.7:                                ;   in Loop: Header=BB101_4 Depth=1
	v_lshl_add_u64 v[8:9], v[6:7], 1, s[6:7]
	global_load_u16 v1, v[8:9], off
	s_wait_loadcnt 0x0
	v_cvt_f32_f16_e64 v1, |v1|
	s_delay_alu instid0(VALU_DEP_1)
	v_add_f32_e32 v3, v3, v1
.LBB101_8:                              ;   in Loop: Header=BB101_4 Depth=1
	s_or_b32 exec_lo, exec_lo, s2
	v_add_nc_u32_e32 v6, s12, v14
	s_delay_alu instid0(VALU_DEP_1) | instskip(SKIP_2) | instid1(SALU_CYCLE_1)
	v_cmp_gt_i64_e32 vcc_lo, s[8:9], v[6:7]
	v_cmp_gt_u32_e64 s2, 0x10000, v6
	s_and_b32 s5, s2, vcc_lo
	s_and_saveexec_b32 s2, s5
	s_cbranch_execz .LBB101_10
; %bb.9:                                ;   in Loop: Header=BB101_4 Depth=1
	v_lshl_add_u64 v[8:9], v[6:7], 1, s[6:7]
	global_load_u16 v1, v[8:9], off
	s_wait_loadcnt 0x0
	v_cvt_f32_f16_e64 v1, |v1|
	s_delay_alu instid0(VALU_DEP_1)
	v_add_f32_e32 v4, v4, v1
.LBB101_10:                             ;   in Loop: Header=BB101_4 Depth=1
	s_or_b32 exec_lo, exec_lo, s2
	v_add_nc_u32_e32 v6, s12, v12
	s_delay_alu instid0(VALU_DEP_1) | instskip(SKIP_2) | instid1(SALU_CYCLE_1)
	v_cmp_gt_i64_e32 vcc_lo, s[8:9], v[6:7]
	v_cmp_gt_u32_e64 s2, 0x10000, v6
	s_and_b32 s5, s2, vcc_lo
	s_and_saveexec_b32 s2, s5
	s_cbranch_execz .LBB101_3
; %bb.11:                               ;   in Loop: Header=BB101_4 Depth=1
	v_lshl_add_u64 v[8:9], v[6:7], 1, s[6:7]
	global_load_u16 v1, v[8:9], off
	s_wait_loadcnt 0x0
	v_cvt_f32_f16_e64 v1, |v1|
	s_delay_alu instid0(VALU_DEP_1)
	v_add_f32_e32 v5, v5, v1
	s_branch .LBB101_3
.LBB101_12:
	s_mov_b32 s3, -1
                                        ; implicit-def: $vgpr2_vgpr3_vgpr4_vgpr5
.LBB101_13:
	s_delay_alu instid0(SALU_CYCLE_1)
	s_and_not1_b32 vcc_lo, exec_lo, s3
	s_cbranch_vccnz .LBB101_19
.LBB101_14:
	v_min_i64 v[6:7], 0x10000, s[8:9]
	v_dual_mov_b32 v2, 0 :: v_dual_lshlrev_b32 v4, 2, v0
	s_mov_b32 s3, 0
	s_delay_alu instid0(VALU_DEP_1) | instskip(NEXT) | instid1(VALU_DEP_1)
	v_dual_mov_b32 v5, v2 :: v_dual_mov_b32 v3, v2
	v_cmp_lt_i64_e32 vcc_lo, v[4:5], v[6:7]
	v_mov_b32_e32 v4, v2
	s_and_saveexec_b32 s5, vcc_lo
	s_cbranch_execz .LBB101_18
; %bb.15:
	s_load_b32 s2, s[0:1], 0xd4c
	v_dual_mov_b32 v5, v2 :: v_dual_lshlrev_b32 v4, 3, v0
	v_dual_mov_b32 v1, v2 :: v_dual_mov_b32 v3, v2
	s_mov_b32 s8, s3
	s_delay_alu instid0(VALU_DEP_2) | instskip(NEXT) | instid1(VALU_DEP_2)
	v_add_nc_u64_e32 v[8:9], s[6:7], v[4:5]
	v_mov_b64_e32 v[10:11], v[0:1]
	v_mov_b32_e32 v4, v2
	s_mov_b32 s7, s3
	s_delay_alu instid0(VALU_DEP_3) | instskip(SKIP_2) | instid1(SALU_CYCLE_1)
	v_add_nc_u64_e32 v[8:9], 4, v[8:9]
	s_wait_kmcnt 0x0
	s_and_b32 s2, s2, 0xffff
	s_lshl_b32 s6, s2, 3
.LBB101_16:                             ; =>This Inner Loop Header: Depth=1
	global_load_b64 v[14:15], v[8:9], off offset:-4
	v_add_nc_u64_e32 v[10:11], s[2:3], v[10:11]
	s_wait_xcnt 0x0
	v_add_nc_u64_e32 v[8:9], s[6:7], v[8:9]
	s_delay_alu instid0(VALU_DEP_2) | instskip(NEXT) | instid1(VALU_DEP_1)
	v_lshlrev_b64_e32 v[16:17], 2, v[10:11]
	v_cmp_ge_i64_e32 vcc_lo, v[16:17], v[6:7]
	s_or_b32 s8, vcc_lo, s8
	s_wait_loadcnt 0x0
	v_dual_lshrrev_b32 v1, 16, v15 :: v_dual_lshrrev_b32 v12, 16, v14
	v_cvt_f32_f16_e64 v14, |v14|
	v_cvt_f32_f16_e64 v16, |v15|
	s_delay_alu instid0(VALU_DEP_3) | instskip(NEXT) | instid1(VALU_DEP_4)
	v_cvt_f32_f16_e64 v17, |v1|
	v_cvt_f32_f16_e64 v15, |v12|
	s_delay_alu instid0(VALU_DEP_2) | instskip(NEXT) | instid1(VALU_DEP_2)
	v_pk_add_f32 v[4:5], v[4:5], v[16:17]
	v_pk_add_f32 v[2:3], v[2:3], v[14:15]
	s_and_not1_b32 exec_lo, exec_lo, s8
	s_cbranch_execnz .LBB101_16
; %bb.17:
	s_or_b32 exec_lo, exec_lo, s8
.LBB101_18:
	s_delay_alu instid0(SALU_CYCLE_1)
	s_or_b32 exec_lo, exec_lo, s5
.LBB101_19:
	v_add_f32_e32 v1, 0, v2
	v_mbcnt_lo_u32_b32 v6, -1, 0
	s_mov_b32 s2, exec_lo
	s_barrier_signal -1
	s_delay_alu instid0(VALU_DEP_2) | instskip(NEXT) | instid1(VALU_DEP_2)
	v_add_f32_e32 v1, v3, v1
	v_cmp_gt_u32_e32 vcc_lo, 24, v6
	s_barrier_wait -1
	s_delay_alu instid0(VALU_DEP_2) | instskip(SKIP_1) | instid1(VALU_DEP_2)
	v_add_f32_e32 v2, v4, v1
	v_lshl_or_b32 v1, v6, 2, 64
	v_add_f32_e32 v3, v5, v2
	v_cndmask_b32_e64 v2, 0, 8, vcc_lo
	v_cmp_gt_u32_e32 vcc_lo, 28, v6
	ds_bpermute_b32 v4, v1, v3
	v_add_lshl_u32 v2, v2, v6, 2
	s_wait_dscnt 0x0
	v_add_f32_e32 v4, v3, v4
	v_cndmask_b32_e64 v3, 0, 4, vcc_lo
	v_cmp_gt_u32_e32 vcc_lo, 30, v6
	ds_bpermute_b32 v5, v2, v4
	v_add_lshl_u32 v3, v3, v6, 2
	s_wait_dscnt 0x0
	v_add_f32_e32 v5, v4, v5
	v_cndmask_b32_e64 v4, 0, 2, vcc_lo
	v_cmp_ne_u32_e32 vcc_lo, 31, v6
	ds_bpermute_b32 v7, v3, v5
	v_add_lshl_u32 v4, v4, v6, 2
	v_add_co_ci_u32_e64 v8, null, 0, v6, vcc_lo
	s_wait_dscnt 0x0
	v_add_f32_e32 v5, v5, v7
	ds_bpermute_b32 v7, v4, v5
	s_wait_dscnt 0x0
	v_dual_add_f32 v6, v5, v7 :: v_dual_lshlrev_b32 v5, 2, v8
	v_and_b32_e32 v7, 31, v0
	ds_bpermute_b32 v8, v5, v6
	v_cmpx_eq_u32_e32 0, v7
	s_cbranch_execz .LBB101_21
; %bb.20:
	v_lshrrev_b32_e32 v9, 3, v0
	s_wait_dscnt 0x0
	v_add_f32_e32 v6, v6, v8
	ds_store_b32 v9, v6
.LBB101_21:
	s_or_b32 exec_lo, exec_lo, s2
	s_wait_dscnt 0x0
	s_barrier_signal -1
	s_barrier_wait -1
	s_load_b32 s2, s[0:1], 0xd4c
	v_mov_b32_e32 v6, 0
	s_wait_kmcnt 0x0
	s_bfe_u32 s2, s2, 0xb0005
	s_delay_alu instid0(SALU_CYCLE_1)
	v_cmp_gt_u32_e32 vcc_lo, s2, v0
	s_and_saveexec_b32 s2, vcc_lo
; %bb.22:
	v_lshlrev_b32_e32 v6, 2, v7
	ds_load_b32 v6, v6
; %bb.23:
	s_or_b32 exec_lo, exec_lo, s2
	s_delay_alu instid0(SALU_CYCLE_1)
	s_mov_b32 s2, exec_lo
	v_cmpx_gt_u32_e32 32, v0
	s_cbranch_execz .LBB101_25
; %bb.24:
	s_wait_dscnt 0x0
	ds_bpermute_b32 v1, v1, v6
	s_wait_dscnt 0x0
	v_add_f32_e32 v1, v6, v1
	ds_bpermute_b32 v2, v2, v1
	s_wait_dscnt 0x0
	v_add_f32_e32 v1, v1, v2
	;; [unrolled: 3-line block ×5, first 2 shown]
.LBB101_25:
	s_or_b32 exec_lo, exec_lo, s2
	s_delay_alu instid0(SALU_CYCLE_1)
	s_mov_b32 s2, exec_lo
	v_cmpx_eq_u32_e32 0, v0
	s_cbranch_execz .LBB101_27
; %bb.26:
	s_clause 0x1
	s_load_b32 s2, s[0:1], 0xd20
	s_load_b96 s[8:10], s[0:1], 0xd30
	v_and_b32_e32 v0, 0xff, v13
	s_wait_kmcnt 0x0
	s_delay_alu instid0(VALU_DEP_1) | instskip(NEXT) | instid1(VALU_DEP_1)
	v_add_nc_u32_e32 v0, s2, v0
	v_mul_lo_u32 v0, v0, s10
	s_delay_alu instid0(VALU_DEP_1)
	v_add_nc_u32_e32 v0, s4, v0
	s_wait_dscnt 0x0
	global_store_b32 v0, v6, s[8:9] scale_offset
.LBB101_27:
	s_endpgm
.LBB101_28:
	v_mov_b32_e32 v2, 0
	s_delay_alu instid0(VALU_DEP_1)
	v_dual_mov_b32 v3, v2 :: v_dual_mov_b32 v4, v2
	v_mov_b32_e32 v5, v2
	s_and_not1_b32 vcc_lo, exec_lo, s3
	s_cbranch_vccz .LBB101_14
	s_branch .LBB101_19
	.section	.rodata,"a",@progbits
	.p2align	6, 0x0
	.amdhsa_kernel _ZN2at6native12_GLOBAL__N_125multi_tensor_apply_kernelINS1_18TensorListMetadataILi1EEENS0_13LpNormFunctorIN3c104HalfELNS0_8NormTypeE1ES7_Li1ELi1ELi0EEEJPfiEEEvT_T0_DpT1_
		.amdhsa_group_segment_fixed_size 2048
		.amdhsa_private_segment_fixed_size 0
		.amdhsa_kernarg_size 3648
		.amdhsa_user_sgpr_count 2
		.amdhsa_user_sgpr_dispatch_ptr 0
		.amdhsa_user_sgpr_queue_ptr 0
		.amdhsa_user_sgpr_kernarg_segment_ptr 1
		.amdhsa_user_sgpr_dispatch_id 0
		.amdhsa_user_sgpr_kernarg_preload_length 0
		.amdhsa_user_sgpr_kernarg_preload_offset 0
		.amdhsa_user_sgpr_private_segment_size 0
		.amdhsa_wavefront_size32 1
		.amdhsa_uses_dynamic_stack 0
		.amdhsa_enable_private_segment 0
		.amdhsa_system_sgpr_workgroup_id_x 1
		.amdhsa_system_sgpr_workgroup_id_y 0
		.amdhsa_system_sgpr_workgroup_id_z 0
		.amdhsa_system_sgpr_workgroup_info 0
		.amdhsa_system_vgpr_workitem_id 0
		.amdhsa_next_free_vgpr 18
		.amdhsa_next_free_sgpr 14
		.amdhsa_named_barrier_count 0
		.amdhsa_reserve_vcc 1
		.amdhsa_float_round_mode_32 0
		.amdhsa_float_round_mode_16_64 0
		.amdhsa_float_denorm_mode_32 3
		.amdhsa_float_denorm_mode_16_64 3
		.amdhsa_fp16_overflow 0
		.amdhsa_memory_ordered 1
		.amdhsa_forward_progress 1
		.amdhsa_inst_pref_size 12
		.amdhsa_round_robin_scheduling 0
		.amdhsa_exception_fp_ieee_invalid_op 0
		.amdhsa_exception_fp_denorm_src 0
		.amdhsa_exception_fp_ieee_div_zero 0
		.amdhsa_exception_fp_ieee_overflow 0
		.amdhsa_exception_fp_ieee_underflow 0
		.amdhsa_exception_fp_ieee_inexact 0
		.amdhsa_exception_int_div_zero 0
	.end_amdhsa_kernel
	.section	.text._ZN2at6native12_GLOBAL__N_125multi_tensor_apply_kernelINS1_18TensorListMetadataILi1EEENS0_13LpNormFunctorIN3c104HalfELNS0_8NormTypeE1ES7_Li1ELi1ELi0EEEJPfiEEEvT_T0_DpT1_,"axG",@progbits,_ZN2at6native12_GLOBAL__N_125multi_tensor_apply_kernelINS1_18TensorListMetadataILi1EEENS0_13LpNormFunctorIN3c104HalfELNS0_8NormTypeE1ES7_Li1ELi1ELi0EEEJPfiEEEvT_T0_DpT1_,comdat
.Lfunc_end101:
	.size	_ZN2at6native12_GLOBAL__N_125multi_tensor_apply_kernelINS1_18TensorListMetadataILi1EEENS0_13LpNormFunctorIN3c104HalfELNS0_8NormTypeE1ES7_Li1ELi1ELi0EEEJPfiEEEvT_T0_DpT1_, .Lfunc_end101-_ZN2at6native12_GLOBAL__N_125multi_tensor_apply_kernelINS1_18TensorListMetadataILi1EEENS0_13LpNormFunctorIN3c104HalfELNS0_8NormTypeE1ES7_Li1ELi1ELi0EEEJPfiEEEvT_T0_DpT1_
                                        ; -- End function
	.set _ZN2at6native12_GLOBAL__N_125multi_tensor_apply_kernelINS1_18TensorListMetadataILi1EEENS0_13LpNormFunctorIN3c104HalfELNS0_8NormTypeE1ES7_Li1ELi1ELi0EEEJPfiEEEvT_T0_DpT1_.num_vgpr, 18
	.set _ZN2at6native12_GLOBAL__N_125multi_tensor_apply_kernelINS1_18TensorListMetadataILi1EEENS0_13LpNormFunctorIN3c104HalfELNS0_8NormTypeE1ES7_Li1ELi1ELi0EEEJPfiEEEvT_T0_DpT1_.num_agpr, 0
	.set _ZN2at6native12_GLOBAL__N_125multi_tensor_apply_kernelINS1_18TensorListMetadataILi1EEENS0_13LpNormFunctorIN3c104HalfELNS0_8NormTypeE1ES7_Li1ELi1ELi0EEEJPfiEEEvT_T0_DpT1_.numbered_sgpr, 14
	.set _ZN2at6native12_GLOBAL__N_125multi_tensor_apply_kernelINS1_18TensorListMetadataILi1EEENS0_13LpNormFunctorIN3c104HalfELNS0_8NormTypeE1ES7_Li1ELi1ELi0EEEJPfiEEEvT_T0_DpT1_.num_named_barrier, 0
	.set _ZN2at6native12_GLOBAL__N_125multi_tensor_apply_kernelINS1_18TensorListMetadataILi1EEENS0_13LpNormFunctorIN3c104HalfELNS0_8NormTypeE1ES7_Li1ELi1ELi0EEEJPfiEEEvT_T0_DpT1_.private_seg_size, 0
	.set _ZN2at6native12_GLOBAL__N_125multi_tensor_apply_kernelINS1_18TensorListMetadataILi1EEENS0_13LpNormFunctorIN3c104HalfELNS0_8NormTypeE1ES7_Li1ELi1ELi0EEEJPfiEEEvT_T0_DpT1_.uses_vcc, 1
	.set _ZN2at6native12_GLOBAL__N_125multi_tensor_apply_kernelINS1_18TensorListMetadataILi1EEENS0_13LpNormFunctorIN3c104HalfELNS0_8NormTypeE1ES7_Li1ELi1ELi0EEEJPfiEEEvT_T0_DpT1_.uses_flat_scratch, 0
	.set _ZN2at6native12_GLOBAL__N_125multi_tensor_apply_kernelINS1_18TensorListMetadataILi1EEENS0_13LpNormFunctorIN3c104HalfELNS0_8NormTypeE1ES7_Li1ELi1ELi0EEEJPfiEEEvT_T0_DpT1_.has_dyn_sized_stack, 0
	.set _ZN2at6native12_GLOBAL__N_125multi_tensor_apply_kernelINS1_18TensorListMetadataILi1EEENS0_13LpNormFunctorIN3c104HalfELNS0_8NormTypeE1ES7_Li1ELi1ELi0EEEJPfiEEEvT_T0_DpT1_.has_recursion, 0
	.set _ZN2at6native12_GLOBAL__N_125multi_tensor_apply_kernelINS1_18TensorListMetadataILi1EEENS0_13LpNormFunctorIN3c104HalfELNS0_8NormTypeE1ES7_Li1ELi1ELi0EEEJPfiEEEvT_T0_DpT1_.has_indirect_call, 0
	.section	.AMDGPU.csdata,"",@progbits
; Kernel info:
; codeLenInByte = 1444
; TotalNumSgprs: 16
; NumVgprs: 18
; ScratchSize: 0
; MemoryBound: 0
; FloatMode: 240
; IeeeMode: 1
; LDSByteSize: 2048 bytes/workgroup (compile time only)
; SGPRBlocks: 0
; VGPRBlocks: 1
; NumSGPRsForWavesPerEU: 16
; NumVGPRsForWavesPerEU: 18
; NamedBarCnt: 0
; Occupancy: 16
; WaveLimiterHint : 0
; COMPUTE_PGM_RSRC2:SCRATCH_EN: 0
; COMPUTE_PGM_RSRC2:USER_SGPR: 2
; COMPUTE_PGM_RSRC2:TRAP_HANDLER: 0
; COMPUTE_PGM_RSRC2:TGID_X_EN: 1
; COMPUTE_PGM_RSRC2:TGID_Y_EN: 0
; COMPUTE_PGM_RSRC2:TGID_Z_EN: 0
; COMPUTE_PGM_RSRC2:TIDIG_COMP_CNT: 0
	.section	.text._ZN2at6native12_GLOBAL__N_125multi_tensor_apply_kernelINS1_18TensorListMetadataILi1EEENS0_13LpNormFunctorIN3c104HalfELNS0_8NormTypeE2ES7_Li1ELi1ELi0EEEJPfiEEEvT_T0_DpT1_,"axG",@progbits,_ZN2at6native12_GLOBAL__N_125multi_tensor_apply_kernelINS1_18TensorListMetadataILi1EEENS0_13LpNormFunctorIN3c104HalfELNS0_8NormTypeE2ES7_Li1ELi1ELi0EEEJPfiEEEvT_T0_DpT1_,comdat
	.globl	_ZN2at6native12_GLOBAL__N_125multi_tensor_apply_kernelINS1_18TensorListMetadataILi1EEENS0_13LpNormFunctorIN3c104HalfELNS0_8NormTypeE2ES7_Li1ELi1ELi0EEEJPfiEEEvT_T0_DpT1_ ; -- Begin function _ZN2at6native12_GLOBAL__N_125multi_tensor_apply_kernelINS1_18TensorListMetadataILi1EEENS0_13LpNormFunctorIN3c104HalfELNS0_8NormTypeE2ES7_Li1ELi1ELi0EEEJPfiEEEvT_T0_DpT1_
	.p2align	8
	.type	_ZN2at6native12_GLOBAL__N_125multi_tensor_apply_kernelINS1_18TensorListMetadataILi1EEENS0_13LpNormFunctorIN3c104HalfELNS0_8NormTypeE2ES7_Li1ELi1ELi0EEEJPfiEEEvT_T0_DpT1_,@function
_ZN2at6native12_GLOBAL__N_125multi_tensor_apply_kernelINS1_18TensorListMetadataILi1EEENS0_13LpNormFunctorIN3c104HalfELNS0_8NormTypeE2ES7_Li1ELi1ELi0EEEJPfiEEEvT_T0_DpT1_: ; @_ZN2at6native12_GLOBAL__N_125multi_tensor_apply_kernelINS1_18TensorListMetadataILi1EEENS0_13LpNormFunctorIN3c104HalfELNS0_8NormTypeE2ES7_Li1ELi1ELi0EEEJPfiEEEvT_T0_DpT1_
; %bb.0:
	s_bfe_u32 s2, ttmp6, 0x4000c
	s_and_b32 s3, ttmp6, 15
	s_add_co_i32 s2, s2, 1
	s_getreg_b32 s4, hwreg(HW_REG_IB_STS2, 6, 4)
	s_mul_i32 s2, ttmp9, s2
	s_delay_alu instid0(SALU_CYCLE_1)
	s_add_co_i32 s3, s3, s2
	s_cmp_eq_u32 s4, 0
	s_cselect_b32 s2, ttmp9, s3
	s_mov_b32 s3, 0
	v_mov_b32_e32 v1, s2
	s_add_nc_u64 s[4:5], s[0:1], s[2:3]
	s_mul_u64 s[6:7], s[2:3], 3
	s_delay_alu instid0(SALU_CYCLE_1) | instskip(SKIP_4) | instid1(SALU_CYCLE_1)
	s_add_nc_u64 s[4:5], s[4:5], s[6:7]
	global_load_u8 v13, v1, s[0:1] offset:1760
	s_load_b32 s4, s[4:5], 0x820
	s_wait_kmcnt 0x0
	s_ashr_i32 s5, s4, 31
	s_lshl_b64 s[10:11], s[4:5], 17
	s_lshl_b64 s[12:13], s[4:5], 16
	s_wait_loadcnt 0x0
	v_readfirstlane_b32 s2, v13
	s_and_b32 s2, s2, 0xff
	s_clause 0x1
	s_load_b64 s[6:7], s[0:1], s2 offset:0x0 scale_offset
	s_load_b64 s[8:9], s[0:1], s2 offset:0x370 scale_offset
	s_wait_kmcnt 0x0
	s_add_nc_u64 s[6:7], s[6:7], s[10:11]
	s_and_b32 s2, s8, 3
	s_and_b64 s[10:11], s[6:7], 7
	s_sub_nc_u64 s[8:9], s[8:9], s[12:13]
	s_or_b64 s[10:11], s[2:3], s[10:11]
	s_delay_alu instid0(SALU_CYCLE_1)
	s_cmp_eq_u64 s[10:11], 0
	s_cbranch_scc1 .LBB102_12
; %bb.1:
	v_cmp_lt_i64_e64 s2, s[8:9], 1
	s_and_b32 vcc_lo, exec_lo, s2
	s_cbranch_vccnz .LBB102_28
; %bb.2:
	s_load_b32 s2, s[0:1], 0xd4c
	v_min_i64 v[10:11], 0x10000, s[8:9]
	s_mov_b32 s11, 0
	s_mov_b64 s[12:13], 0
	s_wait_kmcnt 0x0
	s_and_b32 s2, s2, 0xffff
	s_delay_alu instid0(SALU_CYCLE_1) | instskip(SKIP_3) | instid1(VALU_DEP_3)
	v_dual_mov_b32 v7, 0 :: v_dual_add_nc_u32 v16, s2, v0
	v_mad_u32 v12, s2, 3, v0
	v_lshl_add_u32 v14, s2, 1, v0
	s_lshl_b32 s10, s2, 2
	v_dual_mov_b32 v6, v7 :: v_dual_mov_b32 v8, v7
	v_mov_b32_e32 v9, v7
	s_delay_alu instid0(VALU_DEP_2) | instskip(NEXT) | instid1(VALU_DEP_2)
	v_mov_b64_e32 v[2:3], v[6:7]
	v_mov_b64_e32 v[4:5], v[8:9]
	s_branch .LBB102_4
.LBB102_3:                              ;   in Loop: Header=BB102_4 Depth=1
	s_or_b32 exec_lo, exec_lo, s2
	s_add_nc_u64 s[12:13], s[12:13], s[10:11]
	s_delay_alu instid0(SALU_CYCLE_1)
	v_cmp_lt_i64_e32 vcc_lo, s[12:13], v[10:11]
	s_cbranch_vccz .LBB102_13
.LBB102_4:                              ; =>This Inner Loop Header: Depth=1
	v_add_nc_u32_e32 v6, s12, v0
	s_delay_alu instid0(VALU_DEP_1) | instskip(SKIP_2) | instid1(SALU_CYCLE_1)
	v_cmp_gt_i64_e32 vcc_lo, s[8:9], v[6:7]
	v_cmp_gt_u32_e64 s2, 0x10000, v6
	s_and_b32 s5, s2, vcc_lo
	s_and_saveexec_b32 s2, s5
	s_cbranch_execz .LBB102_6
; %bb.5:                                ;   in Loop: Header=BB102_4 Depth=1
	v_lshl_add_u64 v[8:9], v[6:7], 1, s[6:7]
	global_load_u16 v1, v[8:9], off
	s_wait_loadcnt 0x0
	v_fma_mix_f32 v2, v1, v1, v2 op_sel_hi:[1,1,0]
.LBB102_6:                              ;   in Loop: Header=BB102_4 Depth=1
	s_or_b32 exec_lo, exec_lo, s2
	v_add_nc_u32_e32 v6, s12, v16
	s_delay_alu instid0(VALU_DEP_1) | instskip(SKIP_2) | instid1(SALU_CYCLE_1)
	v_cmp_gt_i64_e32 vcc_lo, s[8:9], v[6:7]
	v_cmp_gt_u32_e64 s2, 0x10000, v6
	s_and_b32 s5, s2, vcc_lo
	s_and_saveexec_b32 s2, s5
	s_cbranch_execz .LBB102_8
; %bb.7:                                ;   in Loop: Header=BB102_4 Depth=1
	v_lshl_add_u64 v[8:9], v[6:7], 1, s[6:7]
	global_load_u16 v1, v[8:9], off
	s_wait_loadcnt 0x0
	v_fma_mix_f32 v3, v1, v1, v3 op_sel_hi:[1,1,0]
.LBB102_8:                              ;   in Loop: Header=BB102_4 Depth=1
	s_or_b32 exec_lo, exec_lo, s2
	v_add_nc_u32_e32 v6, s12, v14
	s_delay_alu instid0(VALU_DEP_1) | instskip(SKIP_2) | instid1(SALU_CYCLE_1)
	v_cmp_gt_i64_e32 vcc_lo, s[8:9], v[6:7]
	v_cmp_gt_u32_e64 s2, 0x10000, v6
	s_and_b32 s5, s2, vcc_lo
	s_and_saveexec_b32 s2, s5
	s_cbranch_execz .LBB102_10
; %bb.9:                                ;   in Loop: Header=BB102_4 Depth=1
	v_lshl_add_u64 v[8:9], v[6:7], 1, s[6:7]
	global_load_u16 v1, v[8:9], off
	s_wait_loadcnt 0x0
	v_fma_mix_f32 v4, v1, v1, v4 op_sel_hi:[1,1,0]
.LBB102_10:                             ;   in Loop: Header=BB102_4 Depth=1
	s_or_b32 exec_lo, exec_lo, s2
	v_add_nc_u32_e32 v6, s12, v12
	s_delay_alu instid0(VALU_DEP_1) | instskip(SKIP_2) | instid1(SALU_CYCLE_1)
	v_cmp_gt_i64_e32 vcc_lo, s[8:9], v[6:7]
	v_cmp_gt_u32_e64 s2, 0x10000, v6
	s_and_b32 s5, s2, vcc_lo
	s_and_saveexec_b32 s2, s5
	s_cbranch_execz .LBB102_3
; %bb.11:                               ;   in Loop: Header=BB102_4 Depth=1
	v_lshl_add_u64 v[8:9], v[6:7], 1, s[6:7]
	global_load_u16 v1, v[8:9], off
	s_wait_loadcnt 0x0
	v_fma_mix_f32 v5, v1, v1, v5 op_sel_hi:[1,1,0]
	s_branch .LBB102_3
.LBB102_12:
	s_mov_b32 s3, -1
                                        ; implicit-def: $vgpr2_vgpr3_vgpr4_vgpr5
.LBB102_13:
	s_delay_alu instid0(SALU_CYCLE_1)
	s_and_not1_b32 vcc_lo, exec_lo, s3
	s_cbranch_vccnz .LBB102_19
.LBB102_14:
	v_min_i64 v[6:7], 0x10000, s[8:9]
	v_dual_mov_b32 v2, 0 :: v_dual_lshlrev_b32 v4, 2, v0
	s_mov_b32 s3, 0
	s_delay_alu instid0(VALU_DEP_1) | instskip(NEXT) | instid1(VALU_DEP_1)
	v_dual_mov_b32 v5, v2 :: v_dual_mov_b32 v3, v2
	v_cmp_lt_i64_e32 vcc_lo, v[4:5], v[6:7]
	v_mov_b32_e32 v4, v2
	s_and_saveexec_b32 s5, vcc_lo
	s_cbranch_execz .LBB102_18
; %bb.15:
	s_load_b32 s2, s[0:1], 0xd4c
	v_dual_mov_b32 v5, v2 :: v_dual_lshlrev_b32 v4, 3, v0
	v_dual_mov_b32 v1, v2 :: v_dual_mov_b32 v3, v2
	s_mov_b32 s8, s3
	s_delay_alu instid0(VALU_DEP_2) | instskip(NEXT) | instid1(VALU_DEP_2)
	v_add_nc_u64_e32 v[8:9], s[6:7], v[4:5]
	v_mov_b64_e32 v[10:11], v[0:1]
	v_mov_b32_e32 v4, v2
	s_mov_b32 s7, s3
	s_delay_alu instid0(VALU_DEP_3) | instskip(SKIP_2) | instid1(SALU_CYCLE_1)
	v_add_nc_u64_e32 v[8:9], 4, v[8:9]
	s_wait_kmcnt 0x0
	s_and_b32 s2, s2, 0xffff
	s_lshl_b32 s6, s2, 3
.LBB102_16:                             ; =>This Inner Loop Header: Depth=1
	global_load_b64 v[14:15], v[8:9], off offset:-4
	v_add_nc_u64_e32 v[10:11], s[2:3], v[10:11]
	s_wait_xcnt 0x0
	v_add_nc_u64_e32 v[8:9], s[6:7], v[8:9]
	s_delay_alu instid0(VALU_DEP_2) | instskip(NEXT) | instid1(VALU_DEP_1)
	v_lshlrev_b64_e32 v[16:17], 2, v[10:11]
	v_cmp_ge_i64_e32 vcc_lo, v[16:17], v[6:7]
	s_or_b32 s8, vcc_lo, s8
	s_wait_loadcnt 0x0
	v_dual_lshrrev_b32 v1, 16, v15 :: v_dual_lshrrev_b32 v12, 16, v14
	v_cvt_f32_f16_e32 v14, v14
	v_cvt_f32_f16_e32 v16, v15
	s_delay_alu instid0(VALU_DEP_3) | instskip(NEXT) | instid1(VALU_DEP_4)
	v_cvt_f32_f16_e32 v17, v1
	v_cvt_f32_f16_e32 v15, v12
	s_delay_alu instid0(VALU_DEP_2) | instskip(NEXT) | instid1(VALU_DEP_2)
	v_pk_fma_f32 v[4:5], v[16:17], v[16:17], v[4:5]
	v_pk_fma_f32 v[2:3], v[14:15], v[14:15], v[2:3]
	s_and_not1_b32 exec_lo, exec_lo, s8
	s_cbranch_execnz .LBB102_16
; %bb.17:
	s_or_b32 exec_lo, exec_lo, s8
.LBB102_18:
	s_delay_alu instid0(SALU_CYCLE_1)
	s_or_b32 exec_lo, exec_lo, s5
.LBB102_19:
	v_add_f32_e32 v1, 0, v2
	v_mbcnt_lo_u32_b32 v6, -1, 0
	s_mov_b32 s2, exec_lo
	s_barrier_signal -1
	s_delay_alu instid0(VALU_DEP_2) | instskip(NEXT) | instid1(VALU_DEP_2)
	v_add_f32_e32 v1, v3, v1
	v_cmp_gt_u32_e32 vcc_lo, 24, v6
	s_barrier_wait -1
	s_delay_alu instid0(VALU_DEP_2) | instskip(SKIP_1) | instid1(VALU_DEP_2)
	v_add_f32_e32 v2, v4, v1
	v_lshl_or_b32 v1, v6, 2, 64
	v_add_f32_e32 v3, v5, v2
	v_cndmask_b32_e64 v2, 0, 8, vcc_lo
	v_cmp_gt_u32_e32 vcc_lo, 28, v6
	ds_bpermute_b32 v4, v1, v3
	v_add_lshl_u32 v2, v2, v6, 2
	s_wait_dscnt 0x0
	v_add_f32_e32 v4, v3, v4
	v_cndmask_b32_e64 v3, 0, 4, vcc_lo
	v_cmp_gt_u32_e32 vcc_lo, 30, v6
	ds_bpermute_b32 v5, v2, v4
	v_add_lshl_u32 v3, v3, v6, 2
	s_wait_dscnt 0x0
	v_add_f32_e32 v5, v4, v5
	v_cndmask_b32_e64 v4, 0, 2, vcc_lo
	v_cmp_ne_u32_e32 vcc_lo, 31, v6
	ds_bpermute_b32 v7, v3, v5
	v_add_lshl_u32 v4, v4, v6, 2
	v_add_co_ci_u32_e64 v8, null, 0, v6, vcc_lo
	s_wait_dscnt 0x0
	v_add_f32_e32 v5, v5, v7
	ds_bpermute_b32 v7, v4, v5
	s_wait_dscnt 0x0
	v_dual_add_f32 v6, v5, v7 :: v_dual_lshlrev_b32 v5, 2, v8
	v_and_b32_e32 v7, 31, v0
	ds_bpermute_b32 v8, v5, v6
	v_cmpx_eq_u32_e32 0, v7
	s_cbranch_execz .LBB102_21
; %bb.20:
	v_lshrrev_b32_e32 v9, 3, v0
	s_wait_dscnt 0x0
	v_add_f32_e32 v6, v6, v8
	ds_store_b32 v9, v6
.LBB102_21:
	s_or_b32 exec_lo, exec_lo, s2
	s_wait_dscnt 0x0
	s_barrier_signal -1
	s_barrier_wait -1
	s_load_b32 s2, s[0:1], 0xd4c
	v_mov_b32_e32 v6, 0
	s_wait_kmcnt 0x0
	s_bfe_u32 s2, s2, 0xb0005
	s_delay_alu instid0(SALU_CYCLE_1)
	v_cmp_gt_u32_e32 vcc_lo, s2, v0
	s_and_saveexec_b32 s2, vcc_lo
; %bb.22:
	v_lshlrev_b32_e32 v6, 2, v7
	ds_load_b32 v6, v6
; %bb.23:
	s_or_b32 exec_lo, exec_lo, s2
	s_delay_alu instid0(SALU_CYCLE_1)
	s_mov_b32 s2, exec_lo
	v_cmpx_gt_u32_e32 32, v0
	s_cbranch_execz .LBB102_25
; %bb.24:
	s_wait_dscnt 0x0
	ds_bpermute_b32 v1, v1, v6
	s_wait_dscnt 0x0
	v_add_f32_e32 v1, v6, v1
	ds_bpermute_b32 v2, v2, v1
	s_wait_dscnt 0x0
	v_add_f32_e32 v1, v1, v2
	ds_bpermute_b32 v2, v3, v1
	s_wait_dscnt 0x0
	v_add_f32_e32 v1, v1, v2
	ds_bpermute_b32 v2, v4, v1
	s_wait_dscnt 0x0
	v_add_f32_e32 v1, v1, v2
	ds_bpermute_b32 v2, v5, v1
	s_wait_dscnt 0x0
	v_add_f32_e32 v6, v1, v2
.LBB102_25:
	s_or_b32 exec_lo, exec_lo, s2
	s_delay_alu instid0(SALU_CYCLE_1)
	s_mov_b32 s2, exec_lo
	v_cmpx_eq_u32_e32 0, v0
	s_cbranch_execz .LBB102_27
; %bb.26:
	s_clause 0x1
	s_load_b32 s2, s[0:1], 0xd20
	s_load_b96 s[8:10], s[0:1], 0xd30
	v_and_b32_e32 v0, 0xff, v13
	s_wait_kmcnt 0x0
	s_delay_alu instid0(VALU_DEP_1) | instskip(NEXT) | instid1(VALU_DEP_1)
	v_add_nc_u32_e32 v0, s2, v0
	v_mul_lo_u32 v0, v0, s10
	s_delay_alu instid0(VALU_DEP_1)
	v_add_nc_u32_e32 v0, s4, v0
	s_wait_dscnt 0x0
	global_store_b32 v0, v6, s[8:9] scale_offset
.LBB102_27:
	s_endpgm
.LBB102_28:
	v_mov_b32_e32 v2, 0
	s_delay_alu instid0(VALU_DEP_1)
	v_dual_mov_b32 v3, v2 :: v_dual_mov_b32 v4, v2
	v_mov_b32_e32 v5, v2
	s_and_not1_b32 vcc_lo, exec_lo, s3
	s_cbranch_vccz .LBB102_14
	s_branch .LBB102_19
	.section	.rodata,"a",@progbits
	.p2align	6, 0x0
	.amdhsa_kernel _ZN2at6native12_GLOBAL__N_125multi_tensor_apply_kernelINS1_18TensorListMetadataILi1EEENS0_13LpNormFunctorIN3c104HalfELNS0_8NormTypeE2ES7_Li1ELi1ELi0EEEJPfiEEEvT_T0_DpT1_
		.amdhsa_group_segment_fixed_size 2048
		.amdhsa_private_segment_fixed_size 0
		.amdhsa_kernarg_size 3648
		.amdhsa_user_sgpr_count 2
		.amdhsa_user_sgpr_dispatch_ptr 0
		.amdhsa_user_sgpr_queue_ptr 0
		.amdhsa_user_sgpr_kernarg_segment_ptr 1
		.amdhsa_user_sgpr_dispatch_id 0
		.amdhsa_user_sgpr_kernarg_preload_length 0
		.amdhsa_user_sgpr_kernarg_preload_offset 0
		.amdhsa_user_sgpr_private_segment_size 0
		.amdhsa_wavefront_size32 1
		.amdhsa_uses_dynamic_stack 0
		.amdhsa_enable_private_segment 0
		.amdhsa_system_sgpr_workgroup_id_x 1
		.amdhsa_system_sgpr_workgroup_id_y 0
		.amdhsa_system_sgpr_workgroup_id_z 0
		.amdhsa_system_sgpr_workgroup_info 0
		.amdhsa_system_vgpr_workitem_id 0
		.amdhsa_next_free_vgpr 18
		.amdhsa_next_free_sgpr 14
		.amdhsa_named_barrier_count 0
		.amdhsa_reserve_vcc 1
		.amdhsa_float_round_mode_32 0
		.amdhsa_float_round_mode_16_64 0
		.amdhsa_float_denorm_mode_32 3
		.amdhsa_float_denorm_mode_16_64 3
		.amdhsa_fp16_overflow 0
		.amdhsa_memory_ordered 1
		.amdhsa_forward_progress 1
		.amdhsa_inst_pref_size 11
		.amdhsa_round_robin_scheduling 0
		.amdhsa_exception_fp_ieee_invalid_op 0
		.amdhsa_exception_fp_denorm_src 0
		.amdhsa_exception_fp_ieee_div_zero 0
		.amdhsa_exception_fp_ieee_overflow 0
		.amdhsa_exception_fp_ieee_underflow 0
		.amdhsa_exception_fp_ieee_inexact 0
		.amdhsa_exception_int_div_zero 0
	.end_amdhsa_kernel
	.section	.text._ZN2at6native12_GLOBAL__N_125multi_tensor_apply_kernelINS1_18TensorListMetadataILi1EEENS0_13LpNormFunctorIN3c104HalfELNS0_8NormTypeE2ES7_Li1ELi1ELi0EEEJPfiEEEvT_T0_DpT1_,"axG",@progbits,_ZN2at6native12_GLOBAL__N_125multi_tensor_apply_kernelINS1_18TensorListMetadataILi1EEENS0_13LpNormFunctorIN3c104HalfELNS0_8NormTypeE2ES7_Li1ELi1ELi0EEEJPfiEEEvT_T0_DpT1_,comdat
.Lfunc_end102:
	.size	_ZN2at6native12_GLOBAL__N_125multi_tensor_apply_kernelINS1_18TensorListMetadataILi1EEENS0_13LpNormFunctorIN3c104HalfELNS0_8NormTypeE2ES7_Li1ELi1ELi0EEEJPfiEEEvT_T0_DpT1_, .Lfunc_end102-_ZN2at6native12_GLOBAL__N_125multi_tensor_apply_kernelINS1_18TensorListMetadataILi1EEENS0_13LpNormFunctorIN3c104HalfELNS0_8NormTypeE2ES7_Li1ELi1ELi0EEEJPfiEEEvT_T0_DpT1_
                                        ; -- End function
	.set _ZN2at6native12_GLOBAL__N_125multi_tensor_apply_kernelINS1_18TensorListMetadataILi1EEENS0_13LpNormFunctorIN3c104HalfELNS0_8NormTypeE2ES7_Li1ELi1ELi0EEEJPfiEEEvT_T0_DpT1_.num_vgpr, 18
	.set _ZN2at6native12_GLOBAL__N_125multi_tensor_apply_kernelINS1_18TensorListMetadataILi1EEENS0_13LpNormFunctorIN3c104HalfELNS0_8NormTypeE2ES7_Li1ELi1ELi0EEEJPfiEEEvT_T0_DpT1_.num_agpr, 0
	.set _ZN2at6native12_GLOBAL__N_125multi_tensor_apply_kernelINS1_18TensorListMetadataILi1EEENS0_13LpNormFunctorIN3c104HalfELNS0_8NormTypeE2ES7_Li1ELi1ELi0EEEJPfiEEEvT_T0_DpT1_.numbered_sgpr, 14
	.set _ZN2at6native12_GLOBAL__N_125multi_tensor_apply_kernelINS1_18TensorListMetadataILi1EEENS0_13LpNormFunctorIN3c104HalfELNS0_8NormTypeE2ES7_Li1ELi1ELi0EEEJPfiEEEvT_T0_DpT1_.num_named_barrier, 0
	.set _ZN2at6native12_GLOBAL__N_125multi_tensor_apply_kernelINS1_18TensorListMetadataILi1EEENS0_13LpNormFunctorIN3c104HalfELNS0_8NormTypeE2ES7_Li1ELi1ELi0EEEJPfiEEEvT_T0_DpT1_.private_seg_size, 0
	.set _ZN2at6native12_GLOBAL__N_125multi_tensor_apply_kernelINS1_18TensorListMetadataILi1EEENS0_13LpNormFunctorIN3c104HalfELNS0_8NormTypeE2ES7_Li1ELi1ELi0EEEJPfiEEEvT_T0_DpT1_.uses_vcc, 1
	.set _ZN2at6native12_GLOBAL__N_125multi_tensor_apply_kernelINS1_18TensorListMetadataILi1EEENS0_13LpNormFunctorIN3c104HalfELNS0_8NormTypeE2ES7_Li1ELi1ELi0EEEJPfiEEEvT_T0_DpT1_.uses_flat_scratch, 0
	.set _ZN2at6native12_GLOBAL__N_125multi_tensor_apply_kernelINS1_18TensorListMetadataILi1EEENS0_13LpNormFunctorIN3c104HalfELNS0_8NormTypeE2ES7_Li1ELi1ELi0EEEJPfiEEEvT_T0_DpT1_.has_dyn_sized_stack, 0
	.set _ZN2at6native12_GLOBAL__N_125multi_tensor_apply_kernelINS1_18TensorListMetadataILi1EEENS0_13LpNormFunctorIN3c104HalfELNS0_8NormTypeE2ES7_Li1ELi1ELi0EEEJPfiEEEvT_T0_DpT1_.has_recursion, 0
	.set _ZN2at6native12_GLOBAL__N_125multi_tensor_apply_kernelINS1_18TensorListMetadataILi1EEENS0_13LpNormFunctorIN3c104HalfELNS0_8NormTypeE2ES7_Li1ELi1ELi0EEEJPfiEEEvT_T0_DpT1_.has_indirect_call, 0
	.section	.AMDGPU.csdata,"",@progbits
; Kernel info:
; codeLenInByte = 1396
; TotalNumSgprs: 16
; NumVgprs: 18
; ScratchSize: 0
; MemoryBound: 0
; FloatMode: 240
; IeeeMode: 1
; LDSByteSize: 2048 bytes/workgroup (compile time only)
; SGPRBlocks: 0
; VGPRBlocks: 1
; NumSGPRsForWavesPerEU: 16
; NumVGPRsForWavesPerEU: 18
; NamedBarCnt: 0
; Occupancy: 16
; WaveLimiterHint : 0
; COMPUTE_PGM_RSRC2:SCRATCH_EN: 0
; COMPUTE_PGM_RSRC2:USER_SGPR: 2
; COMPUTE_PGM_RSRC2:TRAP_HANDLER: 0
; COMPUTE_PGM_RSRC2:TGID_X_EN: 1
; COMPUTE_PGM_RSRC2:TGID_Y_EN: 0
; COMPUTE_PGM_RSRC2:TGID_Z_EN: 0
; COMPUTE_PGM_RSRC2:TIDIG_COMP_CNT: 0
	.section	.text._ZN2at6native12_GLOBAL__N_125multi_tensor_apply_kernelINS1_18TensorListMetadataILi1EEENS0_13LpNormFunctorIN3c104HalfELNS0_8NormTypeE3ES7_Li1ELi1ELi0EEEJPfiEEEvT_T0_DpT1_,"axG",@progbits,_ZN2at6native12_GLOBAL__N_125multi_tensor_apply_kernelINS1_18TensorListMetadataILi1EEENS0_13LpNormFunctorIN3c104HalfELNS0_8NormTypeE3ES7_Li1ELi1ELi0EEEJPfiEEEvT_T0_DpT1_,comdat
	.globl	_ZN2at6native12_GLOBAL__N_125multi_tensor_apply_kernelINS1_18TensorListMetadataILi1EEENS0_13LpNormFunctorIN3c104HalfELNS0_8NormTypeE3ES7_Li1ELi1ELi0EEEJPfiEEEvT_T0_DpT1_ ; -- Begin function _ZN2at6native12_GLOBAL__N_125multi_tensor_apply_kernelINS1_18TensorListMetadataILi1EEENS0_13LpNormFunctorIN3c104HalfELNS0_8NormTypeE3ES7_Li1ELi1ELi0EEEJPfiEEEvT_T0_DpT1_
	.p2align	8
	.type	_ZN2at6native12_GLOBAL__N_125multi_tensor_apply_kernelINS1_18TensorListMetadataILi1EEENS0_13LpNormFunctorIN3c104HalfELNS0_8NormTypeE3ES7_Li1ELi1ELi0EEEJPfiEEEvT_T0_DpT1_,@function
_ZN2at6native12_GLOBAL__N_125multi_tensor_apply_kernelINS1_18TensorListMetadataILi1EEENS0_13LpNormFunctorIN3c104HalfELNS0_8NormTypeE3ES7_Li1ELi1ELi0EEEJPfiEEEvT_T0_DpT1_: ; @_ZN2at6native12_GLOBAL__N_125multi_tensor_apply_kernelINS1_18TensorListMetadataILi1EEENS0_13LpNormFunctorIN3c104HalfELNS0_8NormTypeE3ES7_Li1ELi1ELi0EEEJPfiEEEvT_T0_DpT1_
; %bb.0:
	s_bfe_u32 s2, ttmp6, 0x4000c
	s_and_b32 s3, ttmp6, 15
	s_add_co_i32 s2, s2, 1
	s_getreg_b32 s4, hwreg(HW_REG_IB_STS2, 6, 4)
	s_mul_i32 s2, ttmp9, s2
	s_delay_alu instid0(SALU_CYCLE_1)
	s_add_co_i32 s3, s3, s2
	s_cmp_eq_u32 s4, 0
	s_cselect_b32 s2, ttmp9, s3
	s_mov_b32 s3, 0
	v_mov_b32_e32 v1, s2
	s_add_nc_u64 s[4:5], s[0:1], s[2:3]
	s_mul_u64 s[6:7], s[2:3], 3
	s_delay_alu instid0(SALU_CYCLE_1) | instskip(SKIP_4) | instid1(SALU_CYCLE_1)
	s_add_nc_u64 s[4:5], s[4:5], s[6:7]
	global_load_u8 v15, v1, s[0:1] offset:1760
	s_load_b32 s10, s[4:5], 0x820
	s_wait_kmcnt 0x0
	s_ashr_i32 s11, s10, 31
	s_lshl_b64 s[8:9], s[10:11], 17
	s_lshl_b64 s[12:13], s[10:11], 16
	s_wait_loadcnt 0x0
	v_readfirstlane_b32 s2, v15
	s_and_b32 s2, s2, 0xff
	s_clause 0x1
	s_load_b64 s[4:5], s[0:1], s2 offset:0x0 scale_offset
	s_load_b64 s[6:7], s[0:1], s2 offset:0x370 scale_offset
	s_wait_kmcnt 0x0
	s_add_nc_u64 s[4:5], s[4:5], s[8:9]
	s_and_b32 s2, s6, 3
	s_and_b64 s[8:9], s[4:5], 7
	s_sub_nc_u64 s[6:7], s[6:7], s[12:13]
	s_or_b64 s[8:9], s[2:3], s[8:9]
	s_delay_alu instid0(SALU_CYCLE_1)
	s_cmp_eq_u64 s[8:9], 0
	s_cbranch_scc1 .LBB103_12
; %bb.1:
	v_cmp_lt_i64_e64 s2, s[6:7], 1
	s_and_b32 vcc_lo, exec_lo, s2
	s_cbranch_vccnz .LBB103_28
; %bb.2:
	s_load_b32 s2, s[0:1], 0xd4c
	v_min_i64 v[10:11], 0x10000, s[6:7]
	s_mov_b32 s9, 0
	s_mov_b64 s[12:13], 0
	s_wait_kmcnt 0x0
	s_and_b32 s2, s2, 0xffff
	s_delay_alu instid0(SALU_CYCLE_1) | instskip(SKIP_3) | instid1(VALU_DEP_3)
	v_dual_mov_b32 v7, 0 :: v_dual_add_nc_u32 v16, s2, v0
	v_mad_u32 v12, s2, 3, v0
	v_lshl_add_u32 v14, s2, 1, v0
	s_lshl_b32 s8, s2, 2
	v_dual_mov_b32 v6, v7 :: v_dual_mov_b32 v8, v7
	v_mov_b32_e32 v9, v7
	s_delay_alu instid0(VALU_DEP_2) | instskip(NEXT) | instid1(VALU_DEP_2)
	v_mov_b64_e32 v[2:3], v[6:7]
	v_mov_b64_e32 v[4:5], v[8:9]
	s_branch .LBB103_4
.LBB103_3:                              ;   in Loop: Header=BB103_4 Depth=1
	s_or_b32 exec_lo, exec_lo, s11
	s_add_nc_u64 s[12:13], s[12:13], s[8:9]
	s_delay_alu instid0(SALU_CYCLE_1)
	v_cmp_lt_i64_e32 vcc_lo, s[12:13], v[10:11]
	s_cbranch_vccz .LBB103_13
.LBB103_4:                              ; =>This Inner Loop Header: Depth=1
	v_add_nc_u32_e32 v6, s12, v0
	s_delay_alu instid0(VALU_DEP_1) | instskip(SKIP_2) | instid1(SALU_CYCLE_1)
	v_cmp_gt_i64_e32 vcc_lo, s[6:7], v[6:7]
	v_cmp_gt_u32_e64 s2, 0x10000, v6
	s_and_b32 s2, s2, vcc_lo
	s_and_saveexec_b32 s11, s2
	s_cbranch_execz .LBB103_6
; %bb.5:                                ;   in Loop: Header=BB103_4 Depth=1
	v_lshl_add_u64 v[8:9], v[6:7], 1, s[4:5]
	global_load_u16 v1, v[8:9], off
	s_wait_loadcnt 0x0
	v_cvt_f32_f16_e64 v6, |v1|
	v_cmp_u_f16_e32 vcc_lo, v1, v1
	s_delay_alu instid0(VALU_DEP_2)
	v_cmp_lt_f32_e64 s2, v2, v6
	s_or_b32 vcc_lo, vcc_lo, s2
	v_cndmask_b32_e32 v2, v2, v6, vcc_lo
.LBB103_6:                              ;   in Loop: Header=BB103_4 Depth=1
	s_or_b32 exec_lo, exec_lo, s11
	v_add_nc_u32_e32 v6, s12, v16
	s_delay_alu instid0(VALU_DEP_1) | instskip(SKIP_2) | instid1(SALU_CYCLE_1)
	v_cmp_gt_i64_e32 vcc_lo, s[6:7], v[6:7]
	v_cmp_gt_u32_e64 s2, 0x10000, v6
	s_and_b32 s2, s2, vcc_lo
	s_and_saveexec_b32 s11, s2
	s_cbranch_execz .LBB103_8
; %bb.7:                                ;   in Loop: Header=BB103_4 Depth=1
	v_lshl_add_u64 v[8:9], v[6:7], 1, s[4:5]
	global_load_u16 v1, v[8:9], off
	s_wait_loadcnt 0x0
	v_cvt_f32_f16_e64 v6, |v1|
	v_cmp_u_f16_e32 vcc_lo, v1, v1
	s_delay_alu instid0(VALU_DEP_2)
	v_cmp_lt_f32_e64 s2, v3, v6
	s_or_b32 vcc_lo, vcc_lo, s2
	v_cndmask_b32_e32 v3, v3, v6, vcc_lo
.LBB103_8:                              ;   in Loop: Header=BB103_4 Depth=1
	s_or_b32 exec_lo, exec_lo, s11
	v_add_nc_u32_e32 v6, s12, v14
	s_delay_alu instid0(VALU_DEP_1) | instskip(SKIP_2) | instid1(SALU_CYCLE_1)
	v_cmp_gt_i64_e32 vcc_lo, s[6:7], v[6:7]
	v_cmp_gt_u32_e64 s2, 0x10000, v6
	s_and_b32 s2, s2, vcc_lo
	s_and_saveexec_b32 s11, s2
	s_cbranch_execz .LBB103_10
; %bb.9:                                ;   in Loop: Header=BB103_4 Depth=1
	v_lshl_add_u64 v[8:9], v[6:7], 1, s[4:5]
	global_load_u16 v1, v[8:9], off
	s_wait_loadcnt 0x0
	v_cvt_f32_f16_e64 v6, |v1|
	v_cmp_u_f16_e32 vcc_lo, v1, v1
	s_delay_alu instid0(VALU_DEP_2)
	v_cmp_lt_f32_e64 s2, v4, v6
	s_or_b32 vcc_lo, vcc_lo, s2
	v_cndmask_b32_e32 v4, v4, v6, vcc_lo
.LBB103_10:                             ;   in Loop: Header=BB103_4 Depth=1
	s_or_b32 exec_lo, exec_lo, s11
	v_add_nc_u32_e32 v6, s12, v12
	s_delay_alu instid0(VALU_DEP_1) | instskip(SKIP_2) | instid1(SALU_CYCLE_1)
	v_cmp_gt_i64_e32 vcc_lo, s[6:7], v[6:7]
	v_cmp_gt_u32_e64 s2, 0x10000, v6
	s_and_b32 s2, s2, vcc_lo
	s_and_saveexec_b32 s11, s2
	s_cbranch_execz .LBB103_3
; %bb.11:                               ;   in Loop: Header=BB103_4 Depth=1
	v_lshl_add_u64 v[8:9], v[6:7], 1, s[4:5]
	global_load_u16 v1, v[8:9], off
	s_wait_loadcnt 0x0
	v_cvt_f32_f16_e64 v6, |v1|
	v_cmp_u_f16_e32 vcc_lo, v1, v1
	s_delay_alu instid0(VALU_DEP_2)
	v_cmp_lt_f32_e64 s2, v5, v6
	s_or_b32 vcc_lo, vcc_lo, s2
	v_cndmask_b32_e32 v5, v5, v6, vcc_lo
	s_branch .LBB103_3
.LBB103_12:
	s_mov_b32 s3, -1
                                        ; implicit-def: $vgpr2_vgpr3_vgpr4_vgpr5
.LBB103_13:
	s_delay_alu instid0(SALU_CYCLE_1)
	s_and_not1_b32 vcc_lo, exec_lo, s3
	s_cbranch_vccnz .LBB103_19
.LBB103_14:
	v_min_i64 v[8:9], 0x10000, s[6:7]
	v_dual_mov_b32 v3, 0 :: v_dual_lshlrev_b32 v2, 2, v0
	s_mov_b32 s13, 0
	s_delay_alu instid0(VALU_DEP_1) | instskip(NEXT) | instid1(VALU_DEP_2)
	v_dual_mov_b32 v5, v3 :: v_dual_mov_b32 v4, v3
	v_cmp_lt_i64_e32 vcc_lo, v[2:3], v[8:9]
	v_mov_b32_e32 v2, v3
	s_and_saveexec_b32 s9, vcc_lo
	s_cbranch_execz .LBB103_18
; %bb.15:
	s_load_b32 s2, s[0:1], 0xd4c
	v_dual_mov_b32 v1, v3 :: v_dual_lshlrev_b32 v2, 3, v0
	v_dual_mov_b32 v5, 0 :: v_dual_mov_b32 v6, 0
	v_mov_b32_e32 v7, 0
	s_delay_alu instid0(VALU_DEP_3) | instskip(NEXT) | instid1(VALU_DEP_4)
	v_add_nc_u64_e32 v[10:11], s[4:5], v[2:3]
	v_mov_b64_e32 v[12:13], v[0:1]
	s_mov_b32 s15, s13
	s_mov_b32 s11, s13
	s_delay_alu instid0(VALU_DEP_2) | instskip(SKIP_2) | instid1(SALU_CYCLE_1)
	v_add_nc_u64_e32 v[10:11], 4, v[10:11]
	s_wait_kmcnt 0x0
	s_and_b32 s12, s2, 0xffff
	s_lshl_b32 s14, s12, 3
.LBB103_16:                             ; =>This Inner Loop Header: Depth=1
	global_load_b64 v[16:17], v[10:11], off offset:-4
	v_add_nc_u64_e32 v[12:13], s[12:13], v[12:13]
	s_wait_xcnt 0x0
	v_add_nc_u64_e32 v[10:11], s[14:15], v[10:11]
	s_delay_alu instid0(VALU_DEP_2) | instskip(NEXT) | instid1(VALU_DEP_1)
	v_lshlrev_b64_e32 v[18:19], 2, v[12:13]
	v_cmp_ge_i64_e32 vcc_lo, v[18:19], v[8:9]
	s_wait_loadcnt 0x0
	v_dual_lshrrev_b32 v1, 16, v16 :: v_dual_lshrrev_b32 v4, 16, v17
	v_cvt_f32_f16_e64 v2, |v16|
	v_cvt_f32_f16_e64 v14, |v17|
	v_cmp_u_f16_e64 s2, v16, v16
	s_delay_alu instid0(VALU_DEP_4)
	v_cvt_f32_f16_e64 v16, |v1|
	v_cmp_u_f16_e64 s3, v17, v17
	v_cmp_lt_f32_e64 s4, v3, v2
	v_cmp_lt_f32_e64 s6, v6, v14
	v_cmp_u_f16_e64 s5, v1, v1
	v_cvt_f32_f16_e64 v1, |v4|
	v_cmp_lt_f32_e64 s8, v5, v16
	s_or_b32 s2, s2, s4
	s_or_b32 s3, s3, s6
	v_cmp_u_f16_e64 s7, v4, v4
	v_cndmask_b32_e64 v6, v6, v14, s3
	s_or_b32 s3, s5, s8
	s_delay_alu instid0(SALU_CYCLE_1)
	v_dual_cndmask_b32 v3, v3, v2, s2 :: v_dual_cndmask_b32 v5, v5, v16, s3
	v_cmp_lt_f32_e64 s2, v7, v1
	s_or_b32 s2, s7, s2
	s_or_b32 s11, vcc_lo, s11
	v_cndmask_b32_e64 v7, v7, v1, s2
	s_and_not1_b32 exec_lo, exec_lo, s11
	s_cbranch_execnz .LBB103_16
; %bb.17:
	s_or_b32 exec_lo, exec_lo, s11
	v_mov_b32_e32 v4, v3
	s_delay_alu instid0(VALU_DEP_1)
	v_mov_b64_e32 v[2:3], v[4:5]
	v_mov_b64_e32 v[4:5], v[6:7]
.LBB103_18:
	s_or_b32 exec_lo, exec_lo, s9
.LBB103_19:
	s_delay_alu instid0(VALU_DEP_1)
	v_cmp_nge_f32_e32 vcc_lo, 0, v2
	v_mbcnt_lo_u32_b32 v6, -1, 0
	s_barrier_signal -1
	s_barrier_wait -1
	v_cndmask_b32_e32 v1, 0, v2, vcc_lo
	v_cmp_u_f32_e32 vcc_lo, v3, v3
	v_cmp_ne_u32_e64 s3, 31, v6
	s_delay_alu instid0(VALU_DEP_3) | instskip(NEXT) | instid1(VALU_DEP_2)
	v_cmp_lt_f32_e64 s2, v1, v3
	v_add_co_ci_u32_e64 v8, null, 0, v6, s3
	s_mov_b32 s3, exec_lo
	s_or_b32 vcc_lo, vcc_lo, s2
	v_cndmask_b32_e32 v1, v1, v3, vcc_lo
	v_cmp_u_f32_e32 vcc_lo, v4, v4
	s_delay_alu instid0(VALU_DEP_2) | instskip(SKIP_4) | instid1(VALU_DEP_3)
	v_cmp_lt_f32_e64 s2, v1, v4
	s_or_b32 vcc_lo, vcc_lo, s2
	v_cndmask_b32_e32 v2, v1, v4, vcc_lo
	v_cmp_u_f32_e32 vcc_lo, v5, v5
	v_lshl_or_b32 v1, v6, 2, 64
	v_cmp_lt_f32_e64 s2, v2, v5
	s_or_b32 vcc_lo, vcc_lo, s2
	v_cndmask_b32_e32 v3, v2, v5, vcc_lo
	v_cmp_gt_u32_e32 vcc_lo, 24, v6
	ds_bpermute_b32 v4, v1, v3
	v_cndmask_b32_e64 v2, 0, 8, vcc_lo
	s_delay_alu instid0(VALU_DEP_1)
	v_add_lshl_u32 v2, v2, v6, 2
	s_wait_dscnt 0x0
	v_cmp_u_f32_e32 vcc_lo, v4, v4
	v_cmp_lt_f32_e64 s2, v3, v4
	s_or_b32 vcc_lo, vcc_lo, s2
	v_cndmask_b32_e32 v4, v3, v4, vcc_lo
	v_cmp_gt_u32_e32 vcc_lo, 28, v6
	ds_bpermute_b32 v5, v2, v4
	v_cndmask_b32_e64 v3, 0, 4, vcc_lo
	s_delay_alu instid0(VALU_DEP_1)
	v_add_lshl_u32 v3, v3, v6, 2
	s_wait_dscnt 0x0
	v_cmp_u_f32_e32 vcc_lo, v5, v5
	v_cmp_lt_f32_e64 s2, v4, v5
	s_or_b32 vcc_lo, vcc_lo, s2
	v_cndmask_b32_e32 v5, v4, v5, vcc_lo
	v_cmp_gt_u32_e32 vcc_lo, 30, v6
	ds_bpermute_b32 v7, v3, v5
	v_cndmask_b32_e64 v4, 0, 2, vcc_lo
	s_delay_alu instid0(VALU_DEP_1)
	v_add_lshl_u32 v4, v4, v6, 2
	s_wait_dscnt 0x0
	v_cmp_u_f32_e32 vcc_lo, v7, v7
	v_cmp_lt_f32_e64 s2, v5, v7
	s_or_b32 vcc_lo, vcc_lo, s2
	v_cndmask_b32_e32 v5, v5, v7, vcc_lo
	ds_bpermute_b32 v7, v4, v5
	s_wait_dscnt 0x0
	v_cmp_u_f32_e32 vcc_lo, v7, v7
	v_cmp_lt_f32_e64 s2, v5, v7
	s_or_b32 vcc_lo, vcc_lo, s2
	v_dual_cndmask_b32 v6, v5, v7 :: v_dual_lshlrev_b32 v5, 2, v8
	v_and_b32_e32 v7, 31, v0
	ds_bpermute_b32 v8, v5, v6
	v_cmpx_eq_u32_e32 0, v7
	s_cbranch_execz .LBB103_21
; %bb.20:
	s_wait_dscnt 0x0
	v_cmp_u_f32_e32 vcc_lo, v8, v8
	v_cmp_lt_f32_e64 s2, v6, v8
	v_lshrrev_b32_e32 v9, 3, v0
	s_or_b32 vcc_lo, vcc_lo, s2
	v_cndmask_b32_e32 v6, v6, v8, vcc_lo
	ds_store_b32 v9, v6
.LBB103_21:
	s_or_b32 exec_lo, exec_lo, s3
	s_wait_dscnt 0x0
	s_barrier_signal -1
	s_barrier_wait -1
	s_load_b32 s2, s[0:1], 0xd4c
	v_mov_b32_e32 v6, 0xff7fffff
	s_wait_kmcnt 0x0
	s_bfe_u32 s2, s2, 0xb0005
	s_delay_alu instid0(SALU_CYCLE_1)
	v_cmp_gt_u32_e32 vcc_lo, s2, v0
	s_and_saveexec_b32 s2, vcc_lo
; %bb.22:
	v_lshlrev_b32_e32 v6, 2, v7
	ds_load_b32 v6, v6
; %bb.23:
	s_or_b32 exec_lo, exec_lo, s2
	s_delay_alu instid0(SALU_CYCLE_1)
	s_mov_b32 s3, exec_lo
	v_cmpx_gt_u32_e32 32, v0
	s_cbranch_execz .LBB103_25
; %bb.24:
	s_wait_dscnt 0x0
	ds_bpermute_b32 v1, v1, v6
	s_wait_dscnt 0x0
	v_cmp_u_f32_e32 vcc_lo, v1, v1
	v_cmp_lt_f32_e64 s2, v6, v1
	s_or_b32 vcc_lo, vcc_lo, s2
	v_cndmask_b32_e32 v1, v6, v1, vcc_lo
	ds_bpermute_b32 v2, v2, v1
	s_wait_dscnt 0x0
	v_cmp_u_f32_e32 vcc_lo, v2, v2
	v_cmp_lt_f32_e64 s2, v1, v2
	s_or_b32 vcc_lo, vcc_lo, s2
	v_cndmask_b32_e32 v1, v1, v2, vcc_lo
	;; [unrolled: 6-line block ×5, first 2 shown]
.LBB103_25:
	s_or_b32 exec_lo, exec_lo, s3
	s_delay_alu instid0(SALU_CYCLE_1)
	s_mov_b32 s2, exec_lo
	v_cmpx_eq_u32_e32 0, v0
	s_cbranch_execz .LBB103_27
; %bb.26:
	s_clause 0x1
	s_load_b32 s2, s[0:1], 0xd20
	s_load_b96 s[4:6], s[0:1], 0xd30
	v_and_b32_e32 v0, 0xff, v15
	s_wait_kmcnt 0x0
	s_delay_alu instid0(VALU_DEP_1) | instskip(NEXT) | instid1(VALU_DEP_1)
	v_add_nc_u32_e32 v0, s2, v0
	v_mul_lo_u32 v0, v0, s6
	s_delay_alu instid0(VALU_DEP_1)
	v_add_nc_u32_e32 v0, s10, v0
	s_wait_dscnt 0x0
	global_store_b32 v0, v6, s[4:5] scale_offset
.LBB103_27:
	s_endpgm
.LBB103_28:
	v_mov_b32_e32 v2, 0
	s_delay_alu instid0(VALU_DEP_1)
	v_dual_mov_b32 v3, v2 :: v_dual_mov_b32 v4, v2
	v_mov_b32_e32 v5, v2
	s_and_not1_b32 vcc_lo, exec_lo, s3
	s_cbranch_vccz .LBB103_14
	s_branch .LBB103_19
	.section	.rodata,"a",@progbits
	.p2align	6, 0x0
	.amdhsa_kernel _ZN2at6native12_GLOBAL__N_125multi_tensor_apply_kernelINS1_18TensorListMetadataILi1EEENS0_13LpNormFunctorIN3c104HalfELNS0_8NormTypeE3ES7_Li1ELi1ELi0EEEJPfiEEEvT_T0_DpT1_
		.amdhsa_group_segment_fixed_size 2048
		.amdhsa_private_segment_fixed_size 0
		.amdhsa_kernarg_size 3648
		.amdhsa_user_sgpr_count 2
		.amdhsa_user_sgpr_dispatch_ptr 0
		.amdhsa_user_sgpr_queue_ptr 0
		.amdhsa_user_sgpr_kernarg_segment_ptr 1
		.amdhsa_user_sgpr_dispatch_id 0
		.amdhsa_user_sgpr_kernarg_preload_length 0
		.amdhsa_user_sgpr_kernarg_preload_offset 0
		.amdhsa_user_sgpr_private_segment_size 0
		.amdhsa_wavefront_size32 1
		.amdhsa_uses_dynamic_stack 0
		.amdhsa_enable_private_segment 0
		.amdhsa_system_sgpr_workgroup_id_x 1
		.amdhsa_system_sgpr_workgroup_id_y 0
		.amdhsa_system_sgpr_workgroup_id_z 0
		.amdhsa_system_sgpr_workgroup_info 0
		.amdhsa_system_vgpr_workitem_id 0
		.amdhsa_next_free_vgpr 20
		.amdhsa_next_free_sgpr 16
		.amdhsa_named_barrier_count 0
		.amdhsa_reserve_vcc 1
		.amdhsa_float_round_mode_32 0
		.amdhsa_float_round_mode_16_64 0
		.amdhsa_float_denorm_mode_32 3
		.amdhsa_float_denorm_mode_16_64 3
		.amdhsa_fp16_overflow 0
		.amdhsa_memory_ordered 1
		.amdhsa_forward_progress 1
		.amdhsa_inst_pref_size 15
		.amdhsa_round_robin_scheduling 0
		.amdhsa_exception_fp_ieee_invalid_op 0
		.amdhsa_exception_fp_denorm_src 0
		.amdhsa_exception_fp_ieee_div_zero 0
		.amdhsa_exception_fp_ieee_overflow 0
		.amdhsa_exception_fp_ieee_underflow 0
		.amdhsa_exception_fp_ieee_inexact 0
		.amdhsa_exception_int_div_zero 0
	.end_amdhsa_kernel
	.section	.text._ZN2at6native12_GLOBAL__N_125multi_tensor_apply_kernelINS1_18TensorListMetadataILi1EEENS0_13LpNormFunctorIN3c104HalfELNS0_8NormTypeE3ES7_Li1ELi1ELi0EEEJPfiEEEvT_T0_DpT1_,"axG",@progbits,_ZN2at6native12_GLOBAL__N_125multi_tensor_apply_kernelINS1_18TensorListMetadataILi1EEENS0_13LpNormFunctorIN3c104HalfELNS0_8NormTypeE3ES7_Li1ELi1ELi0EEEJPfiEEEvT_T0_DpT1_,comdat
.Lfunc_end103:
	.size	_ZN2at6native12_GLOBAL__N_125multi_tensor_apply_kernelINS1_18TensorListMetadataILi1EEENS0_13LpNormFunctorIN3c104HalfELNS0_8NormTypeE3ES7_Li1ELi1ELi0EEEJPfiEEEvT_T0_DpT1_, .Lfunc_end103-_ZN2at6native12_GLOBAL__N_125multi_tensor_apply_kernelINS1_18TensorListMetadataILi1EEENS0_13LpNormFunctorIN3c104HalfELNS0_8NormTypeE3ES7_Li1ELi1ELi0EEEJPfiEEEvT_T0_DpT1_
                                        ; -- End function
	.set _ZN2at6native12_GLOBAL__N_125multi_tensor_apply_kernelINS1_18TensorListMetadataILi1EEENS0_13LpNormFunctorIN3c104HalfELNS0_8NormTypeE3ES7_Li1ELi1ELi0EEEJPfiEEEvT_T0_DpT1_.num_vgpr, 20
	.set _ZN2at6native12_GLOBAL__N_125multi_tensor_apply_kernelINS1_18TensorListMetadataILi1EEENS0_13LpNormFunctorIN3c104HalfELNS0_8NormTypeE3ES7_Li1ELi1ELi0EEEJPfiEEEvT_T0_DpT1_.num_agpr, 0
	.set _ZN2at6native12_GLOBAL__N_125multi_tensor_apply_kernelINS1_18TensorListMetadataILi1EEENS0_13LpNormFunctorIN3c104HalfELNS0_8NormTypeE3ES7_Li1ELi1ELi0EEEJPfiEEEvT_T0_DpT1_.numbered_sgpr, 16
	.set _ZN2at6native12_GLOBAL__N_125multi_tensor_apply_kernelINS1_18TensorListMetadataILi1EEENS0_13LpNormFunctorIN3c104HalfELNS0_8NormTypeE3ES7_Li1ELi1ELi0EEEJPfiEEEvT_T0_DpT1_.num_named_barrier, 0
	.set _ZN2at6native12_GLOBAL__N_125multi_tensor_apply_kernelINS1_18TensorListMetadataILi1EEENS0_13LpNormFunctorIN3c104HalfELNS0_8NormTypeE3ES7_Li1ELi1ELi0EEEJPfiEEEvT_T0_DpT1_.private_seg_size, 0
	.set _ZN2at6native12_GLOBAL__N_125multi_tensor_apply_kernelINS1_18TensorListMetadataILi1EEENS0_13LpNormFunctorIN3c104HalfELNS0_8NormTypeE3ES7_Li1ELi1ELi0EEEJPfiEEEvT_T0_DpT1_.uses_vcc, 1
	.set _ZN2at6native12_GLOBAL__N_125multi_tensor_apply_kernelINS1_18TensorListMetadataILi1EEENS0_13LpNormFunctorIN3c104HalfELNS0_8NormTypeE3ES7_Li1ELi1ELi0EEEJPfiEEEvT_T0_DpT1_.uses_flat_scratch, 0
	.set _ZN2at6native12_GLOBAL__N_125multi_tensor_apply_kernelINS1_18TensorListMetadataILi1EEENS0_13LpNormFunctorIN3c104HalfELNS0_8NormTypeE3ES7_Li1ELi1ELi0EEEJPfiEEEvT_T0_DpT1_.has_dyn_sized_stack, 0
	.set _ZN2at6native12_GLOBAL__N_125multi_tensor_apply_kernelINS1_18TensorListMetadataILi1EEENS0_13LpNormFunctorIN3c104HalfELNS0_8NormTypeE3ES7_Li1ELi1ELi0EEEJPfiEEEvT_T0_DpT1_.has_recursion, 0
	.set _ZN2at6native12_GLOBAL__N_125multi_tensor_apply_kernelINS1_18TensorListMetadataILi1EEENS0_13LpNormFunctorIN3c104HalfELNS0_8NormTypeE3ES7_Li1ELi1ELi0EEEJPfiEEEvT_T0_DpT1_.has_indirect_call, 0
	.section	.AMDGPU.csdata,"",@progbits
; Kernel info:
; codeLenInByte = 1836
; TotalNumSgprs: 18
; NumVgprs: 20
; ScratchSize: 0
; MemoryBound: 0
; FloatMode: 240
; IeeeMode: 1
; LDSByteSize: 2048 bytes/workgroup (compile time only)
; SGPRBlocks: 0
; VGPRBlocks: 1
; NumSGPRsForWavesPerEU: 18
; NumVGPRsForWavesPerEU: 20
; NamedBarCnt: 0
; Occupancy: 16
; WaveLimiterHint : 0
; COMPUTE_PGM_RSRC2:SCRATCH_EN: 0
; COMPUTE_PGM_RSRC2:USER_SGPR: 2
; COMPUTE_PGM_RSRC2:TRAP_HANDLER: 0
; COMPUTE_PGM_RSRC2:TGID_X_EN: 1
; COMPUTE_PGM_RSRC2:TGID_Y_EN: 0
; COMPUTE_PGM_RSRC2:TGID_Z_EN: 0
; COMPUTE_PGM_RSRC2:TIDIG_COMP_CNT: 0
	.section	.text._ZN2at6native14lpnorm_cleanupIN3c104HalfELNS0_8NormTypeE0ES3_Lb1EfEEvPKT3_NS0_19TensorListAddressesEi,"axG",@progbits,_ZN2at6native14lpnorm_cleanupIN3c104HalfELNS0_8NormTypeE0ES3_Lb1EfEEvPKT3_NS0_19TensorListAddressesEi,comdat
	.protected	_ZN2at6native14lpnorm_cleanupIN3c104HalfELNS0_8NormTypeE0ES3_Lb1EfEEvPKT3_NS0_19TensorListAddressesEi ; -- Begin function _ZN2at6native14lpnorm_cleanupIN3c104HalfELNS0_8NormTypeE0ES3_Lb1EfEEvPKT3_NS0_19TensorListAddressesEi
	.globl	_ZN2at6native14lpnorm_cleanupIN3c104HalfELNS0_8NormTypeE0ES3_Lb1EfEEvPKT3_NS0_19TensorListAddressesEi
	.p2align	8
	.type	_ZN2at6native14lpnorm_cleanupIN3c104HalfELNS0_8NormTypeE0ES3_Lb1EfEEvPKT3_NS0_19TensorListAddressesEi,@function
_ZN2at6native14lpnorm_cleanupIN3c104HalfELNS0_8NormTypeE0ES3_Lb1EfEEvPKT3_NS0_19TensorListAddressesEi: ; @_ZN2at6native14lpnorm_cleanupIN3c104HalfELNS0_8NormTypeE0ES3_Lb1EfEEvPKT3_NS0_19TensorListAddressesEi
; %bb.0:
	s_load_b32 s2, s[0:1], 0xc88
	s_bfe_u32 s3, ttmp6, 0x4000c
	s_and_b32 s4, ttmp6, 15
	s_add_co_i32 s3, s3, 1
	s_getreg_b32 s5, hwreg(HW_REG_IB_STS2, 6, 4)
	s_mul_i32 s3, ttmp9, s3
	v_mov_b32_e32 v1, 0
	s_add_co_i32 s4, s4, s3
	s_cmp_eq_u32 s5, 0
	s_mov_b32 s5, 0
	s_cselect_b32 s8, ttmp9, s4
	s_mov_b32 s9, exec_lo
	s_wait_kmcnt 0x0
	v_cmpx_gt_u32_e64 s2, v0
	s_cbranch_execz .LBB104_4
; %bb.1:
	s_clause 0x1
	s_load_b64 s[6:7], s[0:1], 0x0
	s_load_b32 s4, s[0:1], 0xc9c
	v_dual_mov_b32 v1, 0 :: v_dual_lshlrev_b32 v2, 2, v0
	s_mul_i32 s10, s2, s8
	s_mov_b32 s11, s5
	s_ashr_i32 s3, s2, 31
	s_delay_alu instid0(VALU_DEP_1)
	v_mov_b32_e32 v3, v1
	s_lshl_b64 s[10:11], s[10:11], 2
	v_mov_b64_e32 v[4:5], v[0:1]
	s_wait_kmcnt 0x0
	s_add_nc_u64 s[6:7], s[6:7], s[10:11]
	s_and_b32 s4, s4, 0xffff
	v_add_nc_u64_e32 v[2:3], s[6:7], v[2:3]
	s_lshl_b32 s6, s4, 2
	s_mov_b32 s7, s5
	s_mov_b32 s10, s5
.LBB104_2:                              ; =>This Inner Loop Header: Depth=1
	global_load_b32 v6, v[2:3], off
	v_add_nc_u64_e32 v[4:5], s[4:5], v[4:5]
	s_wait_xcnt 0x0
	v_add_nc_u64_e32 v[2:3], s[6:7], v[2:3]
	s_delay_alu instid0(VALU_DEP_2)
	v_cmp_le_u64_e32 vcc_lo, s[2:3], v[4:5]
	s_or_b32 s10, vcc_lo, s10
	s_wait_loadcnt 0x0
	v_add_f32_e32 v1, v1, v6
	s_and_not1_b32 exec_lo, exec_lo, s10
	s_cbranch_execnz .LBB104_2
; %bb.3:
	s_or_b32 exec_lo, exec_lo, s10
.LBB104_4:
	s_delay_alu instid0(SALU_CYCLE_1) | instskip(SKIP_4) | instid1(VALU_DEP_1)
	s_or_b32 exec_lo, exec_lo, s9
	v_mbcnt_lo_u32_b32 v5, -1, 0
	s_mov_b32 s2, exec_lo
	s_barrier_signal -1
	s_barrier_wait -1
	v_lshl_or_b32 v2, v5, 2, 64
	v_cmp_gt_u32_e32 vcc_lo, 24, v5
	ds_bpermute_b32 v4, v2, v1
	v_cndmask_b32_e64 v3, 0, 8, vcc_lo
	v_cmp_gt_u32_e32 vcc_lo, 28, v5
	s_delay_alu instid0(VALU_DEP_2)
	v_add_lshl_u32 v3, v3, v5, 2
	s_wait_dscnt 0x0
	v_add_f32_e32 v4, v1, v4
	v_cndmask_b32_e64 v1, 0, 4, vcc_lo
	v_cmp_gt_u32_e32 vcc_lo, 30, v5
	ds_bpermute_b32 v6, v3, v4
	v_add_lshl_u32 v1, v1, v5, 2
	s_wait_dscnt 0x0
	v_add_f32_e32 v6, v4, v6
	v_cndmask_b32_e64 v4, 0, 2, vcc_lo
	v_cmp_ne_u32_e32 vcc_lo, 31, v5
	s_delay_alu instid0(VALU_DEP_2) | instskip(SKIP_1) | instid1(VALU_DEP_1)
	v_add_lshl_u32 v4, v4, v5, 2
	v_add_co_ci_u32_e64 v5, null, 0, v5, vcc_lo
	v_lshlrev_b32_e32 v5, 2, v5
	ds_bpermute_b32 v7, v1, v6
	s_wait_dscnt 0x0
	v_add_f32_e32 v6, v6, v7
	ds_bpermute_b32 v7, v4, v6
	s_wait_dscnt 0x0
	v_dual_add_f32 v7, v6, v7 :: v_dual_bitop2_b32 v6, 31, v0 bitop3:0x40
	ds_bpermute_b32 v8, v5, v7
	v_cmpx_eq_u32_e32 0, v6
	s_cbranch_execz .LBB104_6
; %bb.5:
	s_wait_dscnt 0x0
	v_add_f32_e32 v7, v7, v8
	v_lshrrev_b32_e32 v8, 3, v0
	ds_store_b32 v8, v7
.LBB104_6:
	s_or_b32 exec_lo, exec_lo, s2
	s_wait_dscnt 0x0
	s_barrier_signal -1
	s_barrier_wait -1
	s_load_b32 s2, s[0:1], 0xc9c
	v_mov_b32_e32 v7, 0
	s_wait_kmcnt 0x0
	s_bfe_u32 s2, s2, 0xb0005
	s_delay_alu instid0(SALU_CYCLE_1)
	v_cmp_gt_u32_e32 vcc_lo, s2, v0
	s_and_saveexec_b32 s2, vcc_lo
; %bb.7:
	v_lshlrev_b32_e32 v6, 2, v6
	ds_load_b32 v7, v6
; %bb.8:
	s_or_b32 exec_lo, exec_lo, s2
	s_delay_alu instid0(SALU_CYCLE_1)
	s_mov_b32 s2, exec_lo
	v_cmpx_gt_u32_e32 32, v0
	s_cbranch_execz .LBB104_10
; %bb.9:
	s_wait_dscnt 0x0
	ds_bpermute_b32 v2, v2, v7
	s_wait_dscnt 0x0
	v_add_f32_e32 v2, v7, v2
	ds_bpermute_b32 v3, v3, v2
	s_wait_dscnt 0x0
	v_add_f32_e32 v2, v2, v3
	;; [unrolled: 3-line block ×5, first 2 shown]
.LBB104_10:
	s_or_b32 exec_lo, exec_lo, s2
	s_delay_alu instid0(SALU_CYCLE_1)
	s_mov_b32 s2, exec_lo
	v_cmpx_eq_u32_e32 0, v0
	s_cbranch_execz .LBB104_12
; %bb.11:
	s_load_b64 s[0:1], s[0:1], s8 offset:0x8 scale_offset
	s_wait_dscnt 0x0
	v_cvt_f16_f32_e32 v0, v7
	v_mov_b32_e32 v1, 0
	s_wait_kmcnt 0x0
	global_store_b16 v1, v0, s[0:1]
.LBB104_12:
	s_endpgm
	.section	.rodata,"a",@progbits
	.p2align	6, 0x0
	.amdhsa_kernel _ZN2at6native14lpnorm_cleanupIN3c104HalfELNS0_8NormTypeE0ES3_Lb1EfEEvPKT3_NS0_19TensorListAddressesEi
		.amdhsa_group_segment_fixed_size 2048
		.amdhsa_private_segment_fixed_size 0
		.amdhsa_kernarg_size 3472
		.amdhsa_user_sgpr_count 2
		.amdhsa_user_sgpr_dispatch_ptr 0
		.amdhsa_user_sgpr_queue_ptr 0
		.amdhsa_user_sgpr_kernarg_segment_ptr 1
		.amdhsa_user_sgpr_dispatch_id 0
		.amdhsa_user_sgpr_kernarg_preload_length 0
		.amdhsa_user_sgpr_kernarg_preload_offset 0
		.amdhsa_user_sgpr_private_segment_size 0
		.amdhsa_wavefront_size32 1
		.amdhsa_uses_dynamic_stack 0
		.amdhsa_enable_private_segment 0
		.amdhsa_system_sgpr_workgroup_id_x 1
		.amdhsa_system_sgpr_workgroup_id_y 0
		.amdhsa_system_sgpr_workgroup_id_z 0
		.amdhsa_system_sgpr_workgroup_info 0
		.amdhsa_system_vgpr_workitem_id 0
		.amdhsa_next_free_vgpr 9
		.amdhsa_next_free_sgpr 12
		.amdhsa_named_barrier_count 0
		.amdhsa_reserve_vcc 1
		.amdhsa_float_round_mode_32 0
		.amdhsa_float_round_mode_16_64 0
		.amdhsa_float_denorm_mode_32 3
		.amdhsa_float_denorm_mode_16_64 3
		.amdhsa_fp16_overflow 0
		.amdhsa_memory_ordered 1
		.amdhsa_forward_progress 1
		.amdhsa_inst_pref_size 6
		.amdhsa_round_robin_scheduling 0
		.amdhsa_exception_fp_ieee_invalid_op 0
		.amdhsa_exception_fp_denorm_src 0
		.amdhsa_exception_fp_ieee_div_zero 0
		.amdhsa_exception_fp_ieee_overflow 0
		.amdhsa_exception_fp_ieee_underflow 0
		.amdhsa_exception_fp_ieee_inexact 0
		.amdhsa_exception_int_div_zero 0
	.end_amdhsa_kernel
	.section	.text._ZN2at6native14lpnorm_cleanupIN3c104HalfELNS0_8NormTypeE0ES3_Lb1EfEEvPKT3_NS0_19TensorListAddressesEi,"axG",@progbits,_ZN2at6native14lpnorm_cleanupIN3c104HalfELNS0_8NormTypeE0ES3_Lb1EfEEvPKT3_NS0_19TensorListAddressesEi,comdat
.Lfunc_end104:
	.size	_ZN2at6native14lpnorm_cleanupIN3c104HalfELNS0_8NormTypeE0ES3_Lb1EfEEvPKT3_NS0_19TensorListAddressesEi, .Lfunc_end104-_ZN2at6native14lpnorm_cleanupIN3c104HalfELNS0_8NormTypeE0ES3_Lb1EfEEvPKT3_NS0_19TensorListAddressesEi
                                        ; -- End function
	.set _ZN2at6native14lpnorm_cleanupIN3c104HalfELNS0_8NormTypeE0ES3_Lb1EfEEvPKT3_NS0_19TensorListAddressesEi.num_vgpr, 9
	.set _ZN2at6native14lpnorm_cleanupIN3c104HalfELNS0_8NormTypeE0ES3_Lb1EfEEvPKT3_NS0_19TensorListAddressesEi.num_agpr, 0
	.set _ZN2at6native14lpnorm_cleanupIN3c104HalfELNS0_8NormTypeE0ES3_Lb1EfEEvPKT3_NS0_19TensorListAddressesEi.numbered_sgpr, 12
	.set _ZN2at6native14lpnorm_cleanupIN3c104HalfELNS0_8NormTypeE0ES3_Lb1EfEEvPKT3_NS0_19TensorListAddressesEi.num_named_barrier, 0
	.set _ZN2at6native14lpnorm_cleanupIN3c104HalfELNS0_8NormTypeE0ES3_Lb1EfEEvPKT3_NS0_19TensorListAddressesEi.private_seg_size, 0
	.set _ZN2at6native14lpnorm_cleanupIN3c104HalfELNS0_8NormTypeE0ES3_Lb1EfEEvPKT3_NS0_19TensorListAddressesEi.uses_vcc, 1
	.set _ZN2at6native14lpnorm_cleanupIN3c104HalfELNS0_8NormTypeE0ES3_Lb1EfEEvPKT3_NS0_19TensorListAddressesEi.uses_flat_scratch, 0
	.set _ZN2at6native14lpnorm_cleanupIN3c104HalfELNS0_8NormTypeE0ES3_Lb1EfEEvPKT3_NS0_19TensorListAddressesEi.has_dyn_sized_stack, 0
	.set _ZN2at6native14lpnorm_cleanupIN3c104HalfELNS0_8NormTypeE0ES3_Lb1EfEEvPKT3_NS0_19TensorListAddressesEi.has_recursion, 0
	.set _ZN2at6native14lpnorm_cleanupIN3c104HalfELNS0_8NormTypeE0ES3_Lb1EfEEvPKT3_NS0_19TensorListAddressesEi.has_indirect_call, 0
	.section	.AMDGPU.csdata,"",@progbits
; Kernel info:
; codeLenInByte = 672
; TotalNumSgprs: 14
; NumVgprs: 9
; ScratchSize: 0
; MemoryBound: 0
; FloatMode: 240
; IeeeMode: 1
; LDSByteSize: 2048 bytes/workgroup (compile time only)
; SGPRBlocks: 0
; VGPRBlocks: 0
; NumSGPRsForWavesPerEU: 14
; NumVGPRsForWavesPerEU: 9
; NamedBarCnt: 0
; Occupancy: 16
; WaveLimiterHint : 0
; COMPUTE_PGM_RSRC2:SCRATCH_EN: 0
; COMPUTE_PGM_RSRC2:USER_SGPR: 2
; COMPUTE_PGM_RSRC2:TRAP_HANDLER: 0
; COMPUTE_PGM_RSRC2:TGID_X_EN: 1
; COMPUTE_PGM_RSRC2:TGID_Y_EN: 0
; COMPUTE_PGM_RSRC2:TGID_Z_EN: 0
; COMPUTE_PGM_RSRC2:TIDIG_COMP_CNT: 0
	.section	.text._ZN2at6native14lpnorm_cleanupIN3c104HalfELNS0_8NormTypeE1ES3_Lb1EfEEvPKT3_NS0_19TensorListAddressesEi,"axG",@progbits,_ZN2at6native14lpnorm_cleanupIN3c104HalfELNS0_8NormTypeE1ES3_Lb1EfEEvPKT3_NS0_19TensorListAddressesEi,comdat
	.protected	_ZN2at6native14lpnorm_cleanupIN3c104HalfELNS0_8NormTypeE1ES3_Lb1EfEEvPKT3_NS0_19TensorListAddressesEi ; -- Begin function _ZN2at6native14lpnorm_cleanupIN3c104HalfELNS0_8NormTypeE1ES3_Lb1EfEEvPKT3_NS0_19TensorListAddressesEi
	.globl	_ZN2at6native14lpnorm_cleanupIN3c104HalfELNS0_8NormTypeE1ES3_Lb1EfEEvPKT3_NS0_19TensorListAddressesEi
	.p2align	8
	.type	_ZN2at6native14lpnorm_cleanupIN3c104HalfELNS0_8NormTypeE1ES3_Lb1EfEEvPKT3_NS0_19TensorListAddressesEi,@function
_ZN2at6native14lpnorm_cleanupIN3c104HalfELNS0_8NormTypeE1ES3_Lb1EfEEvPKT3_NS0_19TensorListAddressesEi: ; @_ZN2at6native14lpnorm_cleanupIN3c104HalfELNS0_8NormTypeE1ES3_Lb1EfEEvPKT3_NS0_19TensorListAddressesEi
; %bb.0:
	s_load_b32 s2, s[0:1], 0xc88
	s_bfe_u32 s3, ttmp6, 0x4000c
	s_and_b32 s4, ttmp6, 15
	s_add_co_i32 s3, s3, 1
	s_getreg_b32 s5, hwreg(HW_REG_IB_STS2, 6, 4)
	s_mul_i32 s3, ttmp9, s3
	v_mov_b32_e32 v1, 0
	s_add_co_i32 s4, s4, s3
	s_cmp_eq_u32 s5, 0
	s_mov_b32 s5, 0
	s_cselect_b32 s8, ttmp9, s4
	s_mov_b32 s9, exec_lo
	s_wait_kmcnt 0x0
	v_cmpx_gt_u32_e64 s2, v0
	s_cbranch_execz .LBB105_4
; %bb.1:
	s_clause 0x1
	s_load_b64 s[6:7], s[0:1], 0x0
	s_load_b32 s4, s[0:1], 0xc9c
	v_dual_mov_b32 v1, 0 :: v_dual_lshlrev_b32 v2, 2, v0
	s_mul_i32 s10, s2, s8
	s_mov_b32 s11, s5
	s_ashr_i32 s3, s2, 31
	s_delay_alu instid0(VALU_DEP_1)
	v_mov_b32_e32 v3, v1
	s_lshl_b64 s[10:11], s[10:11], 2
	v_mov_b64_e32 v[4:5], v[0:1]
	s_wait_kmcnt 0x0
	s_add_nc_u64 s[6:7], s[6:7], s[10:11]
	s_and_b32 s4, s4, 0xffff
	v_add_nc_u64_e32 v[2:3], s[6:7], v[2:3]
	s_lshl_b32 s6, s4, 2
	s_mov_b32 s7, s5
	s_mov_b32 s10, s5
.LBB105_2:                              ; =>This Inner Loop Header: Depth=1
	global_load_b32 v6, v[2:3], off
	v_add_nc_u64_e32 v[4:5], s[4:5], v[4:5]
	s_wait_xcnt 0x0
	v_add_nc_u64_e32 v[2:3], s[6:7], v[2:3]
	s_delay_alu instid0(VALU_DEP_2)
	v_cmp_le_u64_e32 vcc_lo, s[2:3], v[4:5]
	s_or_b32 s10, vcc_lo, s10
	s_wait_loadcnt 0x0
	v_add_f32_e32 v1, v1, v6
	s_and_not1_b32 exec_lo, exec_lo, s10
	s_cbranch_execnz .LBB105_2
; %bb.3:
	s_or_b32 exec_lo, exec_lo, s10
.LBB105_4:
	s_delay_alu instid0(SALU_CYCLE_1) | instskip(SKIP_4) | instid1(VALU_DEP_1)
	s_or_b32 exec_lo, exec_lo, s9
	v_mbcnt_lo_u32_b32 v5, -1, 0
	s_mov_b32 s2, exec_lo
	s_barrier_signal -1
	s_barrier_wait -1
	v_lshl_or_b32 v2, v5, 2, 64
	v_cmp_gt_u32_e32 vcc_lo, 24, v5
	ds_bpermute_b32 v4, v2, v1
	v_cndmask_b32_e64 v3, 0, 8, vcc_lo
	v_cmp_gt_u32_e32 vcc_lo, 28, v5
	s_delay_alu instid0(VALU_DEP_2)
	v_add_lshl_u32 v3, v3, v5, 2
	s_wait_dscnt 0x0
	v_add_f32_e32 v4, v1, v4
	v_cndmask_b32_e64 v1, 0, 4, vcc_lo
	v_cmp_gt_u32_e32 vcc_lo, 30, v5
	ds_bpermute_b32 v6, v3, v4
	v_add_lshl_u32 v1, v1, v5, 2
	s_wait_dscnt 0x0
	v_add_f32_e32 v6, v4, v6
	v_cndmask_b32_e64 v4, 0, 2, vcc_lo
	v_cmp_ne_u32_e32 vcc_lo, 31, v5
	s_delay_alu instid0(VALU_DEP_2) | instskip(SKIP_1) | instid1(VALU_DEP_1)
	v_add_lshl_u32 v4, v4, v5, 2
	v_add_co_ci_u32_e64 v5, null, 0, v5, vcc_lo
	v_lshlrev_b32_e32 v5, 2, v5
	ds_bpermute_b32 v7, v1, v6
	s_wait_dscnt 0x0
	v_add_f32_e32 v6, v6, v7
	ds_bpermute_b32 v7, v4, v6
	s_wait_dscnt 0x0
	v_dual_add_f32 v7, v6, v7 :: v_dual_bitop2_b32 v6, 31, v0 bitop3:0x40
	ds_bpermute_b32 v8, v5, v7
	v_cmpx_eq_u32_e32 0, v6
	s_cbranch_execz .LBB105_6
; %bb.5:
	s_wait_dscnt 0x0
	v_add_f32_e32 v7, v7, v8
	v_lshrrev_b32_e32 v8, 3, v0
	ds_store_b32 v8, v7
.LBB105_6:
	s_or_b32 exec_lo, exec_lo, s2
	s_wait_dscnt 0x0
	s_barrier_signal -1
	s_barrier_wait -1
	s_load_b32 s2, s[0:1], 0xc9c
	v_mov_b32_e32 v7, 0
	s_wait_kmcnt 0x0
	s_bfe_u32 s2, s2, 0xb0005
	s_delay_alu instid0(SALU_CYCLE_1)
	v_cmp_gt_u32_e32 vcc_lo, s2, v0
	s_and_saveexec_b32 s2, vcc_lo
; %bb.7:
	v_lshlrev_b32_e32 v6, 2, v6
	ds_load_b32 v7, v6
; %bb.8:
	s_or_b32 exec_lo, exec_lo, s2
	s_delay_alu instid0(SALU_CYCLE_1)
	s_mov_b32 s2, exec_lo
	v_cmpx_gt_u32_e32 32, v0
	s_cbranch_execz .LBB105_10
; %bb.9:
	s_wait_dscnt 0x0
	ds_bpermute_b32 v2, v2, v7
	s_wait_dscnt 0x0
	v_add_f32_e32 v2, v7, v2
	ds_bpermute_b32 v3, v3, v2
	s_wait_dscnt 0x0
	v_add_f32_e32 v2, v2, v3
	;; [unrolled: 3-line block ×5, first 2 shown]
.LBB105_10:
	s_or_b32 exec_lo, exec_lo, s2
	s_delay_alu instid0(SALU_CYCLE_1)
	s_mov_b32 s2, exec_lo
	v_cmpx_eq_u32_e32 0, v0
	s_cbranch_execz .LBB105_12
; %bb.11:
	s_load_b64 s[0:1], s[0:1], s8 offset:0x8 scale_offset
	s_wait_dscnt 0x0
	v_cvt_f16_f32_e32 v0, v7
	v_mov_b32_e32 v1, 0
	s_wait_kmcnt 0x0
	global_store_b16 v1, v0, s[0:1]
.LBB105_12:
	s_endpgm
	.section	.rodata,"a",@progbits
	.p2align	6, 0x0
	.amdhsa_kernel _ZN2at6native14lpnorm_cleanupIN3c104HalfELNS0_8NormTypeE1ES3_Lb1EfEEvPKT3_NS0_19TensorListAddressesEi
		.amdhsa_group_segment_fixed_size 2048
		.amdhsa_private_segment_fixed_size 0
		.amdhsa_kernarg_size 3472
		.amdhsa_user_sgpr_count 2
		.amdhsa_user_sgpr_dispatch_ptr 0
		.amdhsa_user_sgpr_queue_ptr 0
		.amdhsa_user_sgpr_kernarg_segment_ptr 1
		.amdhsa_user_sgpr_dispatch_id 0
		.amdhsa_user_sgpr_kernarg_preload_length 0
		.amdhsa_user_sgpr_kernarg_preload_offset 0
		.amdhsa_user_sgpr_private_segment_size 0
		.amdhsa_wavefront_size32 1
		.amdhsa_uses_dynamic_stack 0
		.amdhsa_enable_private_segment 0
		.amdhsa_system_sgpr_workgroup_id_x 1
		.amdhsa_system_sgpr_workgroup_id_y 0
		.amdhsa_system_sgpr_workgroup_id_z 0
		.amdhsa_system_sgpr_workgroup_info 0
		.amdhsa_system_vgpr_workitem_id 0
		.amdhsa_next_free_vgpr 9
		.amdhsa_next_free_sgpr 12
		.amdhsa_named_barrier_count 0
		.amdhsa_reserve_vcc 1
		.amdhsa_float_round_mode_32 0
		.amdhsa_float_round_mode_16_64 0
		.amdhsa_float_denorm_mode_32 3
		.amdhsa_float_denorm_mode_16_64 3
		.amdhsa_fp16_overflow 0
		.amdhsa_memory_ordered 1
		.amdhsa_forward_progress 1
		.amdhsa_inst_pref_size 6
		.amdhsa_round_robin_scheduling 0
		.amdhsa_exception_fp_ieee_invalid_op 0
		.amdhsa_exception_fp_denorm_src 0
		.amdhsa_exception_fp_ieee_div_zero 0
		.amdhsa_exception_fp_ieee_overflow 0
		.amdhsa_exception_fp_ieee_underflow 0
		.amdhsa_exception_fp_ieee_inexact 0
		.amdhsa_exception_int_div_zero 0
	.end_amdhsa_kernel
	.section	.text._ZN2at6native14lpnorm_cleanupIN3c104HalfELNS0_8NormTypeE1ES3_Lb1EfEEvPKT3_NS0_19TensorListAddressesEi,"axG",@progbits,_ZN2at6native14lpnorm_cleanupIN3c104HalfELNS0_8NormTypeE1ES3_Lb1EfEEvPKT3_NS0_19TensorListAddressesEi,comdat
.Lfunc_end105:
	.size	_ZN2at6native14lpnorm_cleanupIN3c104HalfELNS0_8NormTypeE1ES3_Lb1EfEEvPKT3_NS0_19TensorListAddressesEi, .Lfunc_end105-_ZN2at6native14lpnorm_cleanupIN3c104HalfELNS0_8NormTypeE1ES3_Lb1EfEEvPKT3_NS0_19TensorListAddressesEi
                                        ; -- End function
	.set _ZN2at6native14lpnorm_cleanupIN3c104HalfELNS0_8NormTypeE1ES3_Lb1EfEEvPKT3_NS0_19TensorListAddressesEi.num_vgpr, 9
	.set _ZN2at6native14lpnorm_cleanupIN3c104HalfELNS0_8NormTypeE1ES3_Lb1EfEEvPKT3_NS0_19TensorListAddressesEi.num_agpr, 0
	.set _ZN2at6native14lpnorm_cleanupIN3c104HalfELNS0_8NormTypeE1ES3_Lb1EfEEvPKT3_NS0_19TensorListAddressesEi.numbered_sgpr, 12
	.set _ZN2at6native14lpnorm_cleanupIN3c104HalfELNS0_8NormTypeE1ES3_Lb1EfEEvPKT3_NS0_19TensorListAddressesEi.num_named_barrier, 0
	.set _ZN2at6native14lpnorm_cleanupIN3c104HalfELNS0_8NormTypeE1ES3_Lb1EfEEvPKT3_NS0_19TensorListAddressesEi.private_seg_size, 0
	.set _ZN2at6native14lpnorm_cleanupIN3c104HalfELNS0_8NormTypeE1ES3_Lb1EfEEvPKT3_NS0_19TensorListAddressesEi.uses_vcc, 1
	.set _ZN2at6native14lpnorm_cleanupIN3c104HalfELNS0_8NormTypeE1ES3_Lb1EfEEvPKT3_NS0_19TensorListAddressesEi.uses_flat_scratch, 0
	.set _ZN2at6native14lpnorm_cleanupIN3c104HalfELNS0_8NormTypeE1ES3_Lb1EfEEvPKT3_NS0_19TensorListAddressesEi.has_dyn_sized_stack, 0
	.set _ZN2at6native14lpnorm_cleanupIN3c104HalfELNS0_8NormTypeE1ES3_Lb1EfEEvPKT3_NS0_19TensorListAddressesEi.has_recursion, 0
	.set _ZN2at6native14lpnorm_cleanupIN3c104HalfELNS0_8NormTypeE1ES3_Lb1EfEEvPKT3_NS0_19TensorListAddressesEi.has_indirect_call, 0
	.section	.AMDGPU.csdata,"",@progbits
; Kernel info:
; codeLenInByte = 672
; TotalNumSgprs: 14
; NumVgprs: 9
; ScratchSize: 0
; MemoryBound: 0
; FloatMode: 240
; IeeeMode: 1
; LDSByteSize: 2048 bytes/workgroup (compile time only)
; SGPRBlocks: 0
; VGPRBlocks: 0
; NumSGPRsForWavesPerEU: 14
; NumVGPRsForWavesPerEU: 9
; NamedBarCnt: 0
; Occupancy: 16
; WaveLimiterHint : 0
; COMPUTE_PGM_RSRC2:SCRATCH_EN: 0
; COMPUTE_PGM_RSRC2:USER_SGPR: 2
; COMPUTE_PGM_RSRC2:TRAP_HANDLER: 0
; COMPUTE_PGM_RSRC2:TGID_X_EN: 1
; COMPUTE_PGM_RSRC2:TGID_Y_EN: 0
; COMPUTE_PGM_RSRC2:TGID_Z_EN: 0
; COMPUTE_PGM_RSRC2:TIDIG_COMP_CNT: 0
	.section	.text._ZN2at6native14lpnorm_cleanupIN3c104HalfELNS0_8NormTypeE2ES3_Lb1EfEEvPKT3_NS0_19TensorListAddressesEi,"axG",@progbits,_ZN2at6native14lpnorm_cleanupIN3c104HalfELNS0_8NormTypeE2ES3_Lb1EfEEvPKT3_NS0_19TensorListAddressesEi,comdat
	.protected	_ZN2at6native14lpnorm_cleanupIN3c104HalfELNS0_8NormTypeE2ES3_Lb1EfEEvPKT3_NS0_19TensorListAddressesEi ; -- Begin function _ZN2at6native14lpnorm_cleanupIN3c104HalfELNS0_8NormTypeE2ES3_Lb1EfEEvPKT3_NS0_19TensorListAddressesEi
	.globl	_ZN2at6native14lpnorm_cleanupIN3c104HalfELNS0_8NormTypeE2ES3_Lb1EfEEvPKT3_NS0_19TensorListAddressesEi
	.p2align	8
	.type	_ZN2at6native14lpnorm_cleanupIN3c104HalfELNS0_8NormTypeE2ES3_Lb1EfEEvPKT3_NS0_19TensorListAddressesEi,@function
_ZN2at6native14lpnorm_cleanupIN3c104HalfELNS0_8NormTypeE2ES3_Lb1EfEEvPKT3_NS0_19TensorListAddressesEi: ; @_ZN2at6native14lpnorm_cleanupIN3c104HalfELNS0_8NormTypeE2ES3_Lb1EfEEvPKT3_NS0_19TensorListAddressesEi
; %bb.0:
	s_load_b32 s2, s[0:1], 0xc88
	s_bfe_u32 s3, ttmp6, 0x4000c
	s_and_b32 s4, ttmp6, 15
	s_add_co_i32 s3, s3, 1
	s_getreg_b32 s5, hwreg(HW_REG_IB_STS2, 6, 4)
	s_mul_i32 s3, ttmp9, s3
	v_mov_b32_e32 v1, 0
	s_add_co_i32 s4, s4, s3
	s_cmp_eq_u32 s5, 0
	s_mov_b32 s5, 0
	s_cselect_b32 s8, ttmp9, s4
	s_mov_b32 s9, exec_lo
	s_wait_kmcnt 0x0
	v_cmpx_gt_u32_e64 s2, v0
	s_cbranch_execz .LBB106_4
; %bb.1:
	s_clause 0x1
	s_load_b64 s[6:7], s[0:1], 0x0
	s_load_b32 s4, s[0:1], 0xc9c
	v_dual_mov_b32 v1, 0 :: v_dual_lshlrev_b32 v2, 2, v0
	s_mul_i32 s10, s2, s8
	s_mov_b32 s11, s5
	s_ashr_i32 s3, s2, 31
	s_delay_alu instid0(VALU_DEP_1)
	v_mov_b32_e32 v3, v1
	s_lshl_b64 s[10:11], s[10:11], 2
	v_mov_b64_e32 v[4:5], v[0:1]
	s_wait_kmcnt 0x0
	s_add_nc_u64 s[6:7], s[6:7], s[10:11]
	s_and_b32 s4, s4, 0xffff
	v_add_nc_u64_e32 v[2:3], s[6:7], v[2:3]
	s_lshl_b32 s6, s4, 2
	s_mov_b32 s7, s5
	s_mov_b32 s10, s5
.LBB106_2:                              ; =>This Inner Loop Header: Depth=1
	global_load_b32 v6, v[2:3], off
	v_add_nc_u64_e32 v[4:5], s[4:5], v[4:5]
	s_wait_xcnt 0x0
	v_add_nc_u64_e32 v[2:3], s[6:7], v[2:3]
	s_delay_alu instid0(VALU_DEP_2)
	v_cmp_le_u64_e32 vcc_lo, s[2:3], v[4:5]
	s_or_b32 s10, vcc_lo, s10
	s_wait_loadcnt 0x0
	v_add_f32_e32 v1, v1, v6
	s_and_not1_b32 exec_lo, exec_lo, s10
	s_cbranch_execnz .LBB106_2
; %bb.3:
	s_or_b32 exec_lo, exec_lo, s10
.LBB106_4:
	s_delay_alu instid0(SALU_CYCLE_1) | instskip(SKIP_4) | instid1(VALU_DEP_1)
	s_or_b32 exec_lo, exec_lo, s9
	v_mbcnt_lo_u32_b32 v5, -1, 0
	s_mov_b32 s2, exec_lo
	s_barrier_signal -1
	s_barrier_wait -1
	v_lshl_or_b32 v2, v5, 2, 64
	v_cmp_gt_u32_e32 vcc_lo, 24, v5
	ds_bpermute_b32 v4, v2, v1
	v_cndmask_b32_e64 v3, 0, 8, vcc_lo
	v_cmp_gt_u32_e32 vcc_lo, 28, v5
	s_delay_alu instid0(VALU_DEP_2)
	v_add_lshl_u32 v3, v3, v5, 2
	s_wait_dscnt 0x0
	v_add_f32_e32 v4, v1, v4
	v_cndmask_b32_e64 v1, 0, 4, vcc_lo
	v_cmp_gt_u32_e32 vcc_lo, 30, v5
	ds_bpermute_b32 v6, v3, v4
	v_add_lshl_u32 v1, v1, v5, 2
	s_wait_dscnt 0x0
	v_add_f32_e32 v6, v4, v6
	v_cndmask_b32_e64 v4, 0, 2, vcc_lo
	v_cmp_ne_u32_e32 vcc_lo, 31, v5
	s_delay_alu instid0(VALU_DEP_2) | instskip(SKIP_1) | instid1(VALU_DEP_1)
	v_add_lshl_u32 v4, v4, v5, 2
	v_add_co_ci_u32_e64 v5, null, 0, v5, vcc_lo
	v_lshlrev_b32_e32 v5, 2, v5
	ds_bpermute_b32 v7, v1, v6
	s_wait_dscnt 0x0
	v_add_f32_e32 v6, v6, v7
	ds_bpermute_b32 v7, v4, v6
	s_wait_dscnt 0x0
	v_dual_add_f32 v7, v6, v7 :: v_dual_bitop2_b32 v6, 31, v0 bitop3:0x40
	ds_bpermute_b32 v8, v5, v7
	v_cmpx_eq_u32_e32 0, v6
	s_cbranch_execz .LBB106_6
; %bb.5:
	s_wait_dscnt 0x0
	v_add_f32_e32 v7, v7, v8
	v_lshrrev_b32_e32 v8, 3, v0
	ds_store_b32 v8, v7
.LBB106_6:
	s_or_b32 exec_lo, exec_lo, s2
	s_wait_dscnt 0x0
	s_barrier_signal -1
	s_barrier_wait -1
	s_load_b32 s2, s[0:1], 0xc9c
	v_mov_b32_e32 v7, 0
	s_wait_kmcnt 0x0
	s_bfe_u32 s2, s2, 0xb0005
	s_delay_alu instid0(SALU_CYCLE_1)
	v_cmp_gt_u32_e32 vcc_lo, s2, v0
	s_and_saveexec_b32 s2, vcc_lo
; %bb.7:
	v_lshlrev_b32_e32 v6, 2, v6
	ds_load_b32 v7, v6
; %bb.8:
	s_or_b32 exec_lo, exec_lo, s2
	s_delay_alu instid0(SALU_CYCLE_1)
	s_mov_b32 s2, exec_lo
	v_cmpx_gt_u32_e32 32, v0
	s_cbranch_execz .LBB106_10
; %bb.9:
	s_wait_dscnt 0x0
	ds_bpermute_b32 v2, v2, v7
	s_wait_dscnt 0x0
	v_add_f32_e32 v2, v7, v2
	ds_bpermute_b32 v3, v3, v2
	s_wait_dscnt 0x0
	v_add_f32_e32 v2, v2, v3
	;; [unrolled: 3-line block ×5, first 2 shown]
.LBB106_10:
	s_or_b32 exec_lo, exec_lo, s2
	s_delay_alu instid0(SALU_CYCLE_1)
	s_mov_b32 s2, exec_lo
	v_cmpx_eq_u32_e32 0, v0
	s_cbranch_execz .LBB106_12
; %bb.11:
	s_wait_dscnt 0x0
	v_mul_f32_e32 v0, 0x4f800000, v7
	v_cmp_gt_f32_e32 vcc_lo, 0xf800000, v7
	s_load_b64 s[0:1], s[0:1], s8 offset:0x8 scale_offset
	s_delay_alu instid0(VALU_DEP_2) | instskip(NEXT) | instid1(VALU_DEP_1)
	v_cndmask_b32_e32 v0, v7, v0, vcc_lo
	v_sqrt_f32_e32 v1, v0
	v_nop
	s_delay_alu instid0(TRANS32_DEP_1) | instskip(NEXT) | instid1(VALU_DEP_1)
	v_dual_add_nc_u32 v2, -1, v1 :: v_dual_add_nc_u32 v3, 1, v1
	v_dual_fma_f32 v4, -v2, v1, v0 :: v_dual_fma_f32 v5, -v3, v1, v0
	s_delay_alu instid0(VALU_DEP_1) | instskip(NEXT) | instid1(VALU_DEP_1)
	v_cmp_ge_f32_e64 s2, 0, v4
	v_cndmask_b32_e64 v1, v1, v2, s2
	s_delay_alu instid0(VALU_DEP_3) | instskip(NEXT) | instid1(VALU_DEP_1)
	v_cmp_lt_f32_e64 s2, 0, v5
	v_cndmask_b32_e64 v1, v1, v3, s2
	s_delay_alu instid0(VALU_DEP_1) | instskip(NEXT) | instid1(VALU_DEP_1)
	v_mul_f32_e32 v2, 0x37800000, v1
	v_cndmask_b32_e32 v1, v1, v2, vcc_lo
	v_cmp_class_f32_e64 vcc_lo, v0, 0x260
	s_delay_alu instid0(VALU_DEP_2) | instskip(NEXT) | instid1(VALU_DEP_1)
	v_dual_cndmask_b32 v0, v1, v0 :: v_dual_mov_b32 v1, 0
	v_cvt_f16_f32_e32 v0, v0
	s_wait_kmcnt 0x0
	global_store_b16 v1, v0, s[0:1]
.LBB106_12:
	s_endpgm
	.section	.rodata,"a",@progbits
	.p2align	6, 0x0
	.amdhsa_kernel _ZN2at6native14lpnorm_cleanupIN3c104HalfELNS0_8NormTypeE2ES3_Lb1EfEEvPKT3_NS0_19TensorListAddressesEi
		.amdhsa_group_segment_fixed_size 2048
		.amdhsa_private_segment_fixed_size 0
		.amdhsa_kernarg_size 3472
		.amdhsa_user_sgpr_count 2
		.amdhsa_user_sgpr_dispatch_ptr 0
		.amdhsa_user_sgpr_queue_ptr 0
		.amdhsa_user_sgpr_kernarg_segment_ptr 1
		.amdhsa_user_sgpr_dispatch_id 0
		.amdhsa_user_sgpr_kernarg_preload_length 0
		.amdhsa_user_sgpr_kernarg_preload_offset 0
		.amdhsa_user_sgpr_private_segment_size 0
		.amdhsa_wavefront_size32 1
		.amdhsa_uses_dynamic_stack 0
		.amdhsa_enable_private_segment 0
		.amdhsa_system_sgpr_workgroup_id_x 1
		.amdhsa_system_sgpr_workgroup_id_y 0
		.amdhsa_system_sgpr_workgroup_id_z 0
		.amdhsa_system_sgpr_workgroup_info 0
		.amdhsa_system_vgpr_workitem_id 0
		.amdhsa_next_free_vgpr 9
		.amdhsa_next_free_sgpr 12
		.amdhsa_named_barrier_count 0
		.amdhsa_reserve_vcc 1
		.amdhsa_float_round_mode_32 0
		.amdhsa_float_round_mode_16_64 0
		.amdhsa_float_denorm_mode_32 3
		.amdhsa_float_denorm_mode_16_64 3
		.amdhsa_fp16_overflow 0
		.amdhsa_memory_ordered 1
		.amdhsa_forward_progress 1
		.amdhsa_inst_pref_size 7
		.amdhsa_round_robin_scheduling 0
		.amdhsa_exception_fp_ieee_invalid_op 0
		.amdhsa_exception_fp_denorm_src 0
		.amdhsa_exception_fp_ieee_div_zero 0
		.amdhsa_exception_fp_ieee_overflow 0
		.amdhsa_exception_fp_ieee_underflow 0
		.amdhsa_exception_fp_ieee_inexact 0
		.amdhsa_exception_int_div_zero 0
	.end_amdhsa_kernel
	.section	.text._ZN2at6native14lpnorm_cleanupIN3c104HalfELNS0_8NormTypeE2ES3_Lb1EfEEvPKT3_NS0_19TensorListAddressesEi,"axG",@progbits,_ZN2at6native14lpnorm_cleanupIN3c104HalfELNS0_8NormTypeE2ES3_Lb1EfEEvPKT3_NS0_19TensorListAddressesEi,comdat
.Lfunc_end106:
	.size	_ZN2at6native14lpnorm_cleanupIN3c104HalfELNS0_8NormTypeE2ES3_Lb1EfEEvPKT3_NS0_19TensorListAddressesEi, .Lfunc_end106-_ZN2at6native14lpnorm_cleanupIN3c104HalfELNS0_8NormTypeE2ES3_Lb1EfEEvPKT3_NS0_19TensorListAddressesEi
                                        ; -- End function
	.set _ZN2at6native14lpnorm_cleanupIN3c104HalfELNS0_8NormTypeE2ES3_Lb1EfEEvPKT3_NS0_19TensorListAddressesEi.num_vgpr, 9
	.set _ZN2at6native14lpnorm_cleanupIN3c104HalfELNS0_8NormTypeE2ES3_Lb1EfEEvPKT3_NS0_19TensorListAddressesEi.num_agpr, 0
	.set _ZN2at6native14lpnorm_cleanupIN3c104HalfELNS0_8NormTypeE2ES3_Lb1EfEEvPKT3_NS0_19TensorListAddressesEi.numbered_sgpr, 12
	.set _ZN2at6native14lpnorm_cleanupIN3c104HalfELNS0_8NormTypeE2ES3_Lb1EfEEvPKT3_NS0_19TensorListAddressesEi.num_named_barrier, 0
	.set _ZN2at6native14lpnorm_cleanupIN3c104HalfELNS0_8NormTypeE2ES3_Lb1EfEEvPKT3_NS0_19TensorListAddressesEi.private_seg_size, 0
	.set _ZN2at6native14lpnorm_cleanupIN3c104HalfELNS0_8NormTypeE2ES3_Lb1EfEEvPKT3_NS0_19TensorListAddressesEi.uses_vcc, 1
	.set _ZN2at6native14lpnorm_cleanupIN3c104HalfELNS0_8NormTypeE2ES3_Lb1EfEEvPKT3_NS0_19TensorListAddressesEi.uses_flat_scratch, 0
	.set _ZN2at6native14lpnorm_cleanupIN3c104HalfELNS0_8NormTypeE2ES3_Lb1EfEEvPKT3_NS0_19TensorListAddressesEi.has_dyn_sized_stack, 0
	.set _ZN2at6native14lpnorm_cleanupIN3c104HalfELNS0_8NormTypeE2ES3_Lb1EfEEvPKT3_NS0_19TensorListAddressesEi.has_recursion, 0
	.set _ZN2at6native14lpnorm_cleanupIN3c104HalfELNS0_8NormTypeE2ES3_Lb1EfEEvPKT3_NS0_19TensorListAddressesEi.has_indirect_call, 0
	.section	.AMDGPU.csdata,"",@progbits
; Kernel info:
; codeLenInByte = 808
; TotalNumSgprs: 14
; NumVgprs: 9
; ScratchSize: 0
; MemoryBound: 0
; FloatMode: 240
; IeeeMode: 1
; LDSByteSize: 2048 bytes/workgroup (compile time only)
; SGPRBlocks: 0
; VGPRBlocks: 0
; NumSGPRsForWavesPerEU: 14
; NumVGPRsForWavesPerEU: 9
; NamedBarCnt: 0
; Occupancy: 16
; WaveLimiterHint : 0
; COMPUTE_PGM_RSRC2:SCRATCH_EN: 0
; COMPUTE_PGM_RSRC2:USER_SGPR: 2
; COMPUTE_PGM_RSRC2:TRAP_HANDLER: 0
; COMPUTE_PGM_RSRC2:TGID_X_EN: 1
; COMPUTE_PGM_RSRC2:TGID_Y_EN: 0
; COMPUTE_PGM_RSRC2:TGID_Z_EN: 0
; COMPUTE_PGM_RSRC2:TIDIG_COMP_CNT: 0
	.section	.text._ZN2at6native14lpnorm_cleanupIN3c104HalfELNS0_8NormTypeE3ES3_Lb1EfEEvPKT3_NS0_19TensorListAddressesEi,"axG",@progbits,_ZN2at6native14lpnorm_cleanupIN3c104HalfELNS0_8NormTypeE3ES3_Lb1EfEEvPKT3_NS0_19TensorListAddressesEi,comdat
	.protected	_ZN2at6native14lpnorm_cleanupIN3c104HalfELNS0_8NormTypeE3ES3_Lb1EfEEvPKT3_NS0_19TensorListAddressesEi ; -- Begin function _ZN2at6native14lpnorm_cleanupIN3c104HalfELNS0_8NormTypeE3ES3_Lb1EfEEvPKT3_NS0_19TensorListAddressesEi
	.globl	_ZN2at6native14lpnorm_cleanupIN3c104HalfELNS0_8NormTypeE3ES3_Lb1EfEEvPKT3_NS0_19TensorListAddressesEi
	.p2align	8
	.type	_ZN2at6native14lpnorm_cleanupIN3c104HalfELNS0_8NormTypeE3ES3_Lb1EfEEvPKT3_NS0_19TensorListAddressesEi,@function
_ZN2at6native14lpnorm_cleanupIN3c104HalfELNS0_8NormTypeE3ES3_Lb1EfEEvPKT3_NS0_19TensorListAddressesEi: ; @_ZN2at6native14lpnorm_cleanupIN3c104HalfELNS0_8NormTypeE3ES3_Lb1EfEEvPKT3_NS0_19TensorListAddressesEi
; %bb.0:
	s_load_b32 s4, s[0:1], 0xc88
	s_bfe_u32 s2, ttmp6, 0x4000c
	s_and_b32 s3, ttmp6, 15
	s_add_co_i32 s2, s2, 1
	s_getreg_b32 s5, hwreg(HW_REG_IB_STS2, 6, 4)
	s_mul_i32 s2, ttmp9, s2
	v_mov_b32_e32 v1, 0
	s_add_co_i32 s3, s3, s2
	s_cmp_eq_u32 s5, 0
	s_mov_b32 s7, 0
	s_cselect_b32 s10, ttmp9, s3
	s_mov_b32 s11, exec_lo
	s_wait_kmcnt 0x0
	v_cmpx_gt_u32_e64 s4, v0
	s_cbranch_execz .LBB107_4
; %bb.1:
	s_clause 0x1
	s_load_b64 s[2:3], s[0:1], 0x0
	s_load_b32 s6, s[0:1], 0xc9c
	v_dual_mov_b32 v1, 0 :: v_dual_lshlrev_b32 v2, 2, v0
	s_mul_i32 s8, s4, s10
	s_mov_b32 s9, s7
	s_ashr_i32 s5, s4, 31
	s_delay_alu instid0(VALU_DEP_1)
	v_mov_b32_e32 v3, v1
	s_lshl_b64 s[8:9], s[8:9], 2
	v_mov_b64_e32 v[4:5], v[0:1]
	s_mov_b32 s12, s7
	s_wait_kmcnt 0x0
	s_add_nc_u64 s[2:3], s[2:3], s[8:9]
	s_and_b32 s6, s6, 0xffff
	v_add_nc_u64_e32 v[2:3], s[2:3], v[2:3]
	s_lshl_b32 s8, s6, 2
	s_mov_b32 s9, s7
.LBB107_2:                              ; =>This Inner Loop Header: Depth=1
	global_load_b32 v6, v[2:3], off
	v_add_nc_u64_e32 v[4:5], s[6:7], v[4:5]
	s_wait_xcnt 0x0
	v_add_nc_u64_e32 v[2:3], s[8:9], v[2:3]
	s_delay_alu instid0(VALU_DEP_2)
	v_cmp_le_u64_e32 vcc_lo, s[4:5], v[4:5]
	s_wait_loadcnt 0x0
	v_cmp_u_f32_e64 s2, v6, v6
	v_cmp_lt_f32_e64 s3, v1, v6
	s_or_b32 s2, s2, s3
	s_or_b32 s12, vcc_lo, s12
	v_cndmask_b32_e64 v1, v1, v6, s2
	s_and_not1_b32 exec_lo, exec_lo, s12
	s_cbranch_execnz .LBB107_2
; %bb.3:
	s_or_b32 exec_lo, exec_lo, s12
.LBB107_4:
	s_delay_alu instid0(SALU_CYCLE_1) | instskip(SKIP_3) | instid1(VALU_DEP_1)
	s_or_b32 exec_lo, exec_lo, s11
	v_mbcnt_lo_u32_b32 v5, -1, 0
	s_barrier_signal -1
	s_barrier_wait -1
	v_lshl_or_b32 v2, v5, 2, 64
	v_cmp_gt_u32_e32 vcc_lo, 24, v5
	v_cmp_ne_u32_e64 s3, 31, v5
	ds_bpermute_b32 v4, v2, v1
	v_cndmask_b32_e64 v3, 0, 8, vcc_lo
	s_delay_alu instid0(VALU_DEP_1)
	v_add_lshl_u32 v3, v3, v5, 2
	s_wait_dscnt 0x0
	v_cmp_u_f32_e32 vcc_lo, v4, v4
	v_cmp_lt_f32_e64 s2, v1, v4
	s_or_b32 vcc_lo, vcc_lo, s2
	v_cndmask_b32_e32 v4, v1, v4, vcc_lo
	v_cmp_gt_u32_e32 vcc_lo, 28, v5
	ds_bpermute_b32 v6, v3, v4
	v_cndmask_b32_e64 v1, 0, 4, vcc_lo
	s_delay_alu instid0(VALU_DEP_1)
	v_add_lshl_u32 v1, v1, v5, 2
	s_wait_dscnt 0x0
	v_cmp_u_f32_e32 vcc_lo, v6, v6
	v_cmp_lt_f32_e64 s2, v4, v6
	s_or_b32 vcc_lo, vcc_lo, s2
	v_cndmask_b32_e32 v6, v4, v6, vcc_lo
	v_cmp_gt_u32_e32 vcc_lo, 30, v5
	v_cndmask_b32_e64 v4, 0, 2, vcc_lo
	s_delay_alu instid0(VALU_DEP_1)
	v_add_lshl_u32 v4, v4, v5, 2
	v_add_co_ci_u32_e64 v5, null, 0, v5, s3
	s_mov_b32 s3, exec_lo
	v_lshlrev_b32_e32 v5, 2, v5
	ds_bpermute_b32 v7, v1, v6
	s_wait_dscnt 0x0
	v_cmp_u_f32_e32 vcc_lo, v7, v7
	v_cmp_lt_f32_e64 s2, v6, v7
	s_or_b32 vcc_lo, vcc_lo, s2
	v_cndmask_b32_e32 v6, v6, v7, vcc_lo
	ds_bpermute_b32 v7, v4, v6
	s_wait_dscnt 0x0
	v_cmp_u_f32_e32 vcc_lo, v7, v7
	v_cmp_lt_f32_e64 s2, v6, v7
	s_or_b32 vcc_lo, vcc_lo, s2
	s_delay_alu instid0(SALU_CYCLE_1)
	v_dual_cndmask_b32 v7, v6, v7, vcc_lo :: v_dual_bitop2_b32 v6, 31, v0 bitop3:0x40
	ds_bpermute_b32 v8, v5, v7
	v_cmpx_eq_u32_e32 0, v6
	s_cbranch_execz .LBB107_6
; %bb.5:
	s_wait_dscnt 0x0
	v_cmp_u_f32_e32 vcc_lo, v8, v8
	v_cmp_lt_f32_e64 s2, v7, v8
	s_or_b32 vcc_lo, vcc_lo, s2
	v_cndmask_b32_e32 v7, v7, v8, vcc_lo
	v_lshrrev_b32_e32 v8, 3, v0
	ds_store_b32 v8, v7
.LBB107_6:
	s_or_b32 exec_lo, exec_lo, s3
	s_wait_dscnt 0x0
	s_barrier_signal -1
	s_barrier_wait -1
	s_load_b32 s2, s[0:1], 0xc9c
	v_mov_b32_e32 v7, 0xff7fffff
	s_wait_kmcnt 0x0
	s_bfe_u32 s2, s2, 0xb0005
	s_delay_alu instid0(SALU_CYCLE_1)
	v_cmp_gt_u32_e32 vcc_lo, s2, v0
	s_and_saveexec_b32 s2, vcc_lo
; %bb.7:
	v_lshlrev_b32_e32 v6, 2, v6
	ds_load_b32 v7, v6
; %bb.8:
	s_or_b32 exec_lo, exec_lo, s2
	s_delay_alu instid0(SALU_CYCLE_1)
	s_mov_b32 s3, exec_lo
	v_cmpx_gt_u32_e32 32, v0
	s_cbranch_execz .LBB107_10
; %bb.9:
	s_wait_dscnt 0x0
	ds_bpermute_b32 v2, v2, v7
	s_wait_dscnt 0x0
	v_cmp_u_f32_e32 vcc_lo, v2, v2
	v_cmp_lt_f32_e64 s2, v7, v2
	s_or_b32 vcc_lo, vcc_lo, s2
	v_cndmask_b32_e32 v2, v7, v2, vcc_lo
	ds_bpermute_b32 v3, v3, v2
	s_wait_dscnt 0x0
	v_cmp_u_f32_e32 vcc_lo, v3, v3
	v_cmp_lt_f32_e64 s2, v2, v3
	s_or_b32 vcc_lo, vcc_lo, s2
	v_cndmask_b32_e32 v2, v2, v3, vcc_lo
	;; [unrolled: 6-line block ×5, first 2 shown]
.LBB107_10:
	s_or_b32 exec_lo, exec_lo, s3
	s_delay_alu instid0(SALU_CYCLE_1)
	s_mov_b32 s2, exec_lo
	v_cmpx_eq_u32_e32 0, v0
	s_cbranch_execz .LBB107_12
; %bb.11:
	s_load_b64 s[0:1], s[0:1], s10 offset:0x8 scale_offset
	s_wait_dscnt 0x0
	v_cvt_f16_f32_e32 v0, v7
	v_mov_b32_e32 v1, 0
	s_wait_kmcnt 0x0
	global_store_b16 v1, v0, s[0:1]
.LBB107_12:
	s_endpgm
	.section	.rodata,"a",@progbits
	.p2align	6, 0x0
	.amdhsa_kernel _ZN2at6native14lpnorm_cleanupIN3c104HalfELNS0_8NormTypeE3ES3_Lb1EfEEvPKT3_NS0_19TensorListAddressesEi
		.amdhsa_group_segment_fixed_size 2048
		.amdhsa_private_segment_fixed_size 0
		.amdhsa_kernarg_size 3472
		.amdhsa_user_sgpr_count 2
		.amdhsa_user_sgpr_dispatch_ptr 0
		.amdhsa_user_sgpr_queue_ptr 0
		.amdhsa_user_sgpr_kernarg_segment_ptr 1
		.amdhsa_user_sgpr_dispatch_id 0
		.amdhsa_user_sgpr_kernarg_preload_length 0
		.amdhsa_user_sgpr_kernarg_preload_offset 0
		.amdhsa_user_sgpr_private_segment_size 0
		.amdhsa_wavefront_size32 1
		.amdhsa_uses_dynamic_stack 0
		.amdhsa_enable_private_segment 0
		.amdhsa_system_sgpr_workgroup_id_x 1
		.amdhsa_system_sgpr_workgroup_id_y 0
		.amdhsa_system_sgpr_workgroup_id_z 0
		.amdhsa_system_sgpr_workgroup_info 0
		.amdhsa_system_vgpr_workitem_id 0
		.amdhsa_next_free_vgpr 9
		.amdhsa_next_free_sgpr 13
		.amdhsa_named_barrier_count 0
		.amdhsa_reserve_vcc 1
		.amdhsa_float_round_mode_32 0
		.amdhsa_float_round_mode_16_64 0
		.amdhsa_float_denorm_mode_32 3
		.amdhsa_float_denorm_mode_16_64 3
		.amdhsa_fp16_overflow 0
		.amdhsa_memory_ordered 1
		.amdhsa_forward_progress 1
		.amdhsa_inst_pref_size 7
		.amdhsa_round_robin_scheduling 0
		.amdhsa_exception_fp_ieee_invalid_op 0
		.amdhsa_exception_fp_denorm_src 0
		.amdhsa_exception_fp_ieee_div_zero 0
		.amdhsa_exception_fp_ieee_overflow 0
		.amdhsa_exception_fp_ieee_underflow 0
		.amdhsa_exception_fp_ieee_inexact 0
		.amdhsa_exception_int_div_zero 0
	.end_amdhsa_kernel
	.section	.text._ZN2at6native14lpnorm_cleanupIN3c104HalfELNS0_8NormTypeE3ES3_Lb1EfEEvPKT3_NS0_19TensorListAddressesEi,"axG",@progbits,_ZN2at6native14lpnorm_cleanupIN3c104HalfELNS0_8NormTypeE3ES3_Lb1EfEEvPKT3_NS0_19TensorListAddressesEi,comdat
.Lfunc_end107:
	.size	_ZN2at6native14lpnorm_cleanupIN3c104HalfELNS0_8NormTypeE3ES3_Lb1EfEEvPKT3_NS0_19TensorListAddressesEi, .Lfunc_end107-_ZN2at6native14lpnorm_cleanupIN3c104HalfELNS0_8NormTypeE3ES3_Lb1EfEEvPKT3_NS0_19TensorListAddressesEi
                                        ; -- End function
	.set _ZN2at6native14lpnorm_cleanupIN3c104HalfELNS0_8NormTypeE3ES3_Lb1EfEEvPKT3_NS0_19TensorListAddressesEi.num_vgpr, 9
	.set _ZN2at6native14lpnorm_cleanupIN3c104HalfELNS0_8NormTypeE3ES3_Lb1EfEEvPKT3_NS0_19TensorListAddressesEi.num_agpr, 0
	.set _ZN2at6native14lpnorm_cleanupIN3c104HalfELNS0_8NormTypeE3ES3_Lb1EfEEvPKT3_NS0_19TensorListAddressesEi.numbered_sgpr, 13
	.set _ZN2at6native14lpnorm_cleanupIN3c104HalfELNS0_8NormTypeE3ES3_Lb1EfEEvPKT3_NS0_19TensorListAddressesEi.num_named_barrier, 0
	.set _ZN2at6native14lpnorm_cleanupIN3c104HalfELNS0_8NormTypeE3ES3_Lb1EfEEvPKT3_NS0_19TensorListAddressesEi.private_seg_size, 0
	.set _ZN2at6native14lpnorm_cleanupIN3c104HalfELNS0_8NormTypeE3ES3_Lb1EfEEvPKT3_NS0_19TensorListAddressesEi.uses_vcc, 1
	.set _ZN2at6native14lpnorm_cleanupIN3c104HalfELNS0_8NormTypeE3ES3_Lb1EfEEvPKT3_NS0_19TensorListAddressesEi.uses_flat_scratch, 0
	.set _ZN2at6native14lpnorm_cleanupIN3c104HalfELNS0_8NormTypeE3ES3_Lb1EfEEvPKT3_NS0_19TensorListAddressesEi.has_dyn_sized_stack, 0
	.set _ZN2at6native14lpnorm_cleanupIN3c104HalfELNS0_8NormTypeE3ES3_Lb1EfEEvPKT3_NS0_19TensorListAddressesEi.has_recursion, 0
	.set _ZN2at6native14lpnorm_cleanupIN3c104HalfELNS0_8NormTypeE3ES3_Lb1EfEEvPKT3_NS0_19TensorListAddressesEi.has_indirect_call, 0
	.section	.AMDGPU.csdata,"",@progbits
; Kernel info:
; codeLenInByte = 872
; TotalNumSgprs: 15
; NumVgprs: 9
; ScratchSize: 0
; MemoryBound: 0
; FloatMode: 240
; IeeeMode: 1
; LDSByteSize: 2048 bytes/workgroup (compile time only)
; SGPRBlocks: 0
; VGPRBlocks: 0
; NumSGPRsForWavesPerEU: 15
; NumVGPRsForWavesPerEU: 9
; NamedBarCnt: 0
; Occupancy: 16
; WaveLimiterHint : 0
; COMPUTE_PGM_RSRC2:SCRATCH_EN: 0
; COMPUTE_PGM_RSRC2:USER_SGPR: 2
; COMPUTE_PGM_RSRC2:TRAP_HANDLER: 0
; COMPUTE_PGM_RSRC2:TGID_X_EN: 1
; COMPUTE_PGM_RSRC2:TGID_Y_EN: 0
; COMPUTE_PGM_RSRC2:TGID_Z_EN: 0
; COMPUTE_PGM_RSRC2:TIDIG_COMP_CNT: 0
	.section	.text._ZN2at6native12_GLOBAL__N_125multi_tensor_apply_kernelINS1_18TensorListMetadataILi1EEENS0_13LpNormFunctorIN3c104HalfELNS0_8NormTypeE0ENS6_8BFloat16ELi1ELi1ELi0EEEJPfiEEEvT_T0_DpT1_,"axG",@progbits,_ZN2at6native12_GLOBAL__N_125multi_tensor_apply_kernelINS1_18TensorListMetadataILi1EEENS0_13LpNormFunctorIN3c104HalfELNS0_8NormTypeE0ENS6_8BFloat16ELi1ELi1ELi0EEEJPfiEEEvT_T0_DpT1_,comdat
	.globl	_ZN2at6native12_GLOBAL__N_125multi_tensor_apply_kernelINS1_18TensorListMetadataILi1EEENS0_13LpNormFunctorIN3c104HalfELNS0_8NormTypeE0ENS6_8BFloat16ELi1ELi1ELi0EEEJPfiEEEvT_T0_DpT1_ ; -- Begin function _ZN2at6native12_GLOBAL__N_125multi_tensor_apply_kernelINS1_18TensorListMetadataILi1EEENS0_13LpNormFunctorIN3c104HalfELNS0_8NormTypeE0ENS6_8BFloat16ELi1ELi1ELi0EEEJPfiEEEvT_T0_DpT1_
	.p2align	8
	.type	_ZN2at6native12_GLOBAL__N_125multi_tensor_apply_kernelINS1_18TensorListMetadataILi1EEENS0_13LpNormFunctorIN3c104HalfELNS0_8NormTypeE0ENS6_8BFloat16ELi1ELi1ELi0EEEJPfiEEEvT_T0_DpT1_,@function
_ZN2at6native12_GLOBAL__N_125multi_tensor_apply_kernelINS1_18TensorListMetadataILi1EEENS0_13LpNormFunctorIN3c104HalfELNS0_8NormTypeE0ENS6_8BFloat16ELi1ELi1ELi0EEEJPfiEEEvT_T0_DpT1_: ; @_ZN2at6native12_GLOBAL__N_125multi_tensor_apply_kernelINS1_18TensorListMetadataILi1EEENS0_13LpNormFunctorIN3c104HalfELNS0_8NormTypeE0ENS6_8BFloat16ELi1ELi1ELi0EEEJPfiEEEvT_T0_DpT1_
; %bb.0:
	s_bfe_u32 s2, ttmp6, 0x4000c
	s_and_b32 s3, ttmp6, 15
	s_add_co_i32 s2, s2, 1
	s_getreg_b32 s4, hwreg(HW_REG_IB_STS2, 6, 4)
	s_mul_i32 s2, ttmp9, s2
	s_delay_alu instid0(SALU_CYCLE_1)
	s_add_co_i32 s3, s3, s2
	s_cmp_eq_u32 s4, 0
	s_cselect_b32 s2, ttmp9, s3
	s_mov_b32 s3, 0
	v_mov_b32_e32 v1, s2
	s_add_nc_u64 s[4:5], s[0:1], s[2:3]
	s_mul_u64 s[6:7], s[2:3], 3
	s_delay_alu instid0(SALU_CYCLE_1) | instskip(SKIP_4) | instid1(SALU_CYCLE_1)
	s_add_nc_u64 s[4:5], s[4:5], s[6:7]
	global_load_u8 v13, v1, s[0:1] offset:1760
	s_load_b32 s4, s[4:5], 0x820
	s_wait_kmcnt 0x0
	s_ashr_i32 s5, s4, 31
	s_lshl_b64 s[10:11], s[4:5], 17
	s_lshl_b64 s[12:13], s[4:5], 16
	s_wait_loadcnt 0x0
	v_readfirstlane_b32 s2, v13
	s_and_b32 s2, s2, 0xff
	s_clause 0x1
	s_load_b64 s[6:7], s[0:1], s2 offset:0x0 scale_offset
	s_load_b64 s[8:9], s[0:1], s2 offset:0x370 scale_offset
	s_wait_kmcnt 0x0
	s_add_nc_u64 s[6:7], s[6:7], s[10:11]
	s_and_b32 s2, s8, 3
	s_and_b64 s[10:11], s[6:7], 7
	s_sub_nc_u64 s[8:9], s[8:9], s[12:13]
	s_or_b64 s[10:11], s[2:3], s[10:11]
	s_delay_alu instid0(SALU_CYCLE_1)
	s_cmp_eq_u64 s[10:11], 0
	s_cbranch_scc1 .LBB108_12
; %bb.1:
	v_cmp_lt_i64_e64 s2, s[8:9], 1
	s_and_b32 vcc_lo, exec_lo, s2
	s_cbranch_vccnz .LBB108_28
; %bb.2:
	s_load_b32 s2, s[0:1], 0xd4c
	v_min_i64 v[10:11], 0x10000, s[8:9]
	s_mov_b32 s11, 0
	s_mov_b64 s[12:13], 0
	s_wait_kmcnt 0x0
	s_and_b32 s2, s2, 0xffff
	s_delay_alu instid0(SALU_CYCLE_1) | instskip(SKIP_3) | instid1(VALU_DEP_3)
	v_dual_mov_b32 v7, 0 :: v_dual_add_nc_u32 v16, s2, v0
	v_mad_u32 v12, s2, 3, v0
	v_lshl_add_u32 v14, s2, 1, v0
	s_lshl_b32 s10, s2, 2
	v_dual_mov_b32 v6, v7 :: v_dual_mov_b32 v8, v7
	v_mov_b32_e32 v9, v7
	s_delay_alu instid0(VALU_DEP_2) | instskip(NEXT) | instid1(VALU_DEP_2)
	v_mov_b64_e32 v[2:3], v[6:7]
	v_mov_b64_e32 v[4:5], v[8:9]
	s_branch .LBB108_4
.LBB108_3:                              ;   in Loop: Header=BB108_4 Depth=1
	s_or_b32 exec_lo, exec_lo, s2
	s_add_nc_u64 s[12:13], s[12:13], s[10:11]
	s_delay_alu instid0(SALU_CYCLE_1)
	v_cmp_ge_i64_e32 vcc_lo, s[12:13], v[10:11]
	s_cbranch_vccnz .LBB108_13
.LBB108_4:                              ; =>This Inner Loop Header: Depth=1
	v_add_nc_u32_e32 v6, s12, v0
	s_delay_alu instid0(VALU_DEP_1) | instskip(SKIP_2) | instid1(SALU_CYCLE_1)
	v_cmp_gt_i64_e32 vcc_lo, s[8:9], v[6:7]
	v_cmp_gt_u32_e64 s2, 0x10000, v6
	s_and_b32 s5, s2, vcc_lo
	s_and_saveexec_b32 s2, s5
	s_cbranch_execz .LBB108_6
; %bb.5:                                ;   in Loop: Header=BB108_4 Depth=1
	v_lshl_add_u64 v[8:9], v[6:7], 1, s[6:7]
	global_load_u16 v1, v[8:9], off
	s_wait_loadcnt 0x0
	v_cmp_neq_f16_e32 vcc_lo, 0, v1
	v_cndmask_b32_e64 v1, 0, 1.0, vcc_lo
	s_delay_alu instid0(VALU_DEP_1)
	v_add_f32_e32 v2, v2, v1
.LBB108_6:                              ;   in Loop: Header=BB108_4 Depth=1
	s_or_b32 exec_lo, exec_lo, s2
	v_add_nc_u32_e32 v6, s12, v16
	s_delay_alu instid0(VALU_DEP_1) | instskip(SKIP_2) | instid1(SALU_CYCLE_1)
	v_cmp_gt_i64_e32 vcc_lo, s[8:9], v[6:7]
	v_cmp_gt_u32_e64 s2, 0x10000, v6
	s_and_b32 s5, s2, vcc_lo
	s_and_saveexec_b32 s2, s5
	s_cbranch_execz .LBB108_8
; %bb.7:                                ;   in Loop: Header=BB108_4 Depth=1
	v_lshl_add_u64 v[8:9], v[6:7], 1, s[6:7]
	global_load_u16 v1, v[8:9], off
	s_wait_loadcnt 0x0
	v_cmp_neq_f16_e32 vcc_lo, 0, v1
	v_cndmask_b32_e64 v1, 0, 1.0, vcc_lo
	s_delay_alu instid0(VALU_DEP_1)
	v_add_f32_e32 v3, v3, v1
.LBB108_8:                              ;   in Loop: Header=BB108_4 Depth=1
	s_or_b32 exec_lo, exec_lo, s2
	v_add_nc_u32_e32 v6, s12, v14
	s_delay_alu instid0(VALU_DEP_1) | instskip(SKIP_2) | instid1(SALU_CYCLE_1)
	v_cmp_gt_i64_e32 vcc_lo, s[8:9], v[6:7]
	v_cmp_gt_u32_e64 s2, 0x10000, v6
	s_and_b32 s5, s2, vcc_lo
	s_and_saveexec_b32 s2, s5
	s_cbranch_execz .LBB108_10
; %bb.9:                                ;   in Loop: Header=BB108_4 Depth=1
	v_lshl_add_u64 v[8:9], v[6:7], 1, s[6:7]
	global_load_u16 v1, v[8:9], off
	s_wait_loadcnt 0x0
	v_cmp_neq_f16_e32 vcc_lo, 0, v1
	v_cndmask_b32_e64 v1, 0, 1.0, vcc_lo
	s_delay_alu instid0(VALU_DEP_1)
	v_add_f32_e32 v4, v4, v1
.LBB108_10:                             ;   in Loop: Header=BB108_4 Depth=1
	s_or_b32 exec_lo, exec_lo, s2
	v_add_nc_u32_e32 v6, s12, v12
	s_delay_alu instid0(VALU_DEP_1) | instskip(SKIP_2) | instid1(SALU_CYCLE_1)
	v_cmp_gt_i64_e32 vcc_lo, s[8:9], v[6:7]
	v_cmp_gt_u32_e64 s2, 0x10000, v6
	s_and_b32 s5, s2, vcc_lo
	s_and_saveexec_b32 s2, s5
	s_cbranch_execz .LBB108_3
; %bb.11:                               ;   in Loop: Header=BB108_4 Depth=1
	v_lshl_add_u64 v[8:9], v[6:7], 1, s[6:7]
	global_load_u16 v1, v[8:9], off
	s_wait_loadcnt 0x0
	v_cmp_neq_f16_e32 vcc_lo, 0, v1
	v_cndmask_b32_e64 v1, 0, 1.0, vcc_lo
	s_delay_alu instid0(VALU_DEP_1)
	v_add_f32_e32 v5, v5, v1
	s_branch .LBB108_3
.LBB108_12:
	s_mov_b32 s3, -1
                                        ; implicit-def: $vgpr2_vgpr3_vgpr4_vgpr5
.LBB108_13:
	s_delay_alu instid0(SALU_CYCLE_1)
	s_and_not1_b32 vcc_lo, exec_lo, s3
	s_cbranch_vccnz .LBB108_19
.LBB108_14:
	v_min_i64 v[6:7], 0x10000, s[8:9]
	v_dual_mov_b32 v2, 0 :: v_dual_lshlrev_b32 v4, 2, v0
	s_mov_b32 s9, 0
	s_delay_alu instid0(VALU_DEP_1) | instskip(NEXT) | instid1(VALU_DEP_1)
	v_dual_mov_b32 v5, v2 :: v_dual_mov_b32 v3, v2
	v_cmp_lt_i64_e32 vcc_lo, v[4:5], v[6:7]
	v_mov_b32_e32 v4, v2
	s_and_saveexec_b32 s3, vcc_lo
	s_cbranch_execz .LBB108_18
; %bb.15:
	s_load_b32 s2, s[0:1], 0xd4c
	v_dual_mov_b32 v5, v2 :: v_dual_lshlrev_b32 v4, 3, v0
	v_dual_mov_b32 v1, v2 :: v_dual_mov_b32 v3, v2
	s_mov_b32 s5, s9
	s_delay_alu instid0(VALU_DEP_2) | instskip(NEXT) | instid1(VALU_DEP_2)
	v_add_nc_u64_e32 v[8:9], s[6:7], v[4:5]
	v_mov_b64_e32 v[10:11], v[0:1]
	v_mov_b32_e32 v4, v2
	s_mov_b32 s7, s9
	s_delay_alu instid0(VALU_DEP_3) | instskip(SKIP_2) | instid1(SALU_CYCLE_1)
	v_add_nc_u64_e32 v[8:9], 4, v[8:9]
	s_wait_kmcnt 0x0
	s_and_b32 s8, s2, 0xffff
	s_lshl_b32 s6, s8, 3
.LBB108_16:                             ; =>This Inner Loop Header: Depth=1
	global_load_b64 v[14:15], v[8:9], off offset:-4
	v_add_nc_u64_e32 v[10:11], s[8:9], v[10:11]
	s_wait_xcnt 0x0
	v_add_nc_u64_e32 v[8:9], s[6:7], v[8:9]
	s_delay_alu instid0(VALU_DEP_2) | instskip(NEXT) | instid1(VALU_DEP_1)
	v_lshlrev_b64_e32 v[16:17], 2, v[10:11]
	v_cmp_ge_i64_e32 vcc_lo, v[16:17], v[6:7]
	s_or_b32 s5, vcc_lo, s5
	s_wait_loadcnt 0x0
	v_cmp_neq_f16_e64 s2, 0, v14
	v_dual_lshrrev_b32 v1, 16, v14 :: v_dual_lshrrev_b32 v12, 16, v15
	s_delay_alu instid0(VALU_DEP_2) | instskip(SKIP_1) | instid1(VALU_DEP_1)
	v_cndmask_b32_e64 v14, 0, 1.0, s2
	v_cmp_neq_f16_e64 s2, 0, v15
	v_cndmask_b32_e64 v16, 0, 1.0, s2
	s_delay_alu instid0(VALU_DEP_4) | instskip(NEXT) | instid1(VALU_DEP_1)
	v_cmp_neq_f16_e64 s2, 0, v1
	v_cndmask_b32_e64 v15, 0, 1.0, s2
	v_cmp_neq_f16_e64 s2, 0, v12
	s_delay_alu instid0(VALU_DEP_2) | instskip(NEXT) | instid1(VALU_DEP_2)
	v_pk_add_f32 v[2:3], v[2:3], v[14:15]
	v_cndmask_b32_e64 v17, 0, 1.0, s2
	s_delay_alu instid0(VALU_DEP_1)
	v_pk_add_f32 v[4:5], v[4:5], v[16:17]
	s_and_not1_b32 exec_lo, exec_lo, s5
	s_cbranch_execnz .LBB108_16
; %bb.17:
	s_or_b32 exec_lo, exec_lo, s5
.LBB108_18:
	s_delay_alu instid0(SALU_CYCLE_1)
	s_or_b32 exec_lo, exec_lo, s3
.LBB108_19:
	v_add_f32_e32 v1, 0, v2
	v_mbcnt_lo_u32_b32 v6, -1, 0
	s_mov_b32 s2, exec_lo
	s_barrier_signal -1
	s_delay_alu instid0(VALU_DEP_2) | instskip(NEXT) | instid1(VALU_DEP_2)
	v_add_f32_e32 v1, v3, v1
	v_cmp_gt_u32_e32 vcc_lo, 24, v6
	s_barrier_wait -1
	s_delay_alu instid0(VALU_DEP_2) | instskip(SKIP_1) | instid1(VALU_DEP_2)
	v_add_f32_e32 v2, v4, v1
	v_lshl_or_b32 v1, v6, 2, 64
	v_add_f32_e32 v3, v5, v2
	v_cndmask_b32_e64 v2, 0, 8, vcc_lo
	v_cmp_gt_u32_e32 vcc_lo, 28, v6
	ds_bpermute_b32 v4, v1, v3
	v_add_lshl_u32 v2, v2, v6, 2
	s_wait_dscnt 0x0
	v_add_f32_e32 v4, v3, v4
	v_cndmask_b32_e64 v3, 0, 4, vcc_lo
	v_cmp_gt_u32_e32 vcc_lo, 30, v6
	ds_bpermute_b32 v5, v2, v4
	v_add_lshl_u32 v3, v3, v6, 2
	s_wait_dscnt 0x0
	v_add_f32_e32 v5, v4, v5
	v_cndmask_b32_e64 v4, 0, 2, vcc_lo
	v_cmp_ne_u32_e32 vcc_lo, 31, v6
	ds_bpermute_b32 v7, v3, v5
	v_add_lshl_u32 v4, v4, v6, 2
	v_add_co_ci_u32_e64 v8, null, 0, v6, vcc_lo
	s_wait_dscnt 0x0
	v_add_f32_e32 v5, v5, v7
	ds_bpermute_b32 v7, v4, v5
	s_wait_dscnt 0x0
	v_dual_add_f32 v6, v5, v7 :: v_dual_lshlrev_b32 v5, 2, v8
	v_and_b32_e32 v7, 31, v0
	ds_bpermute_b32 v8, v5, v6
	v_cmpx_eq_u32_e32 0, v7
	s_cbranch_execz .LBB108_21
; %bb.20:
	v_lshrrev_b32_e32 v9, 3, v0
	s_wait_dscnt 0x0
	v_add_f32_e32 v6, v6, v8
	ds_store_b32 v9, v6
.LBB108_21:
	s_or_b32 exec_lo, exec_lo, s2
	s_wait_dscnt 0x0
	s_barrier_signal -1
	s_barrier_wait -1
	s_load_b32 s2, s[0:1], 0xd4c
	v_mov_b32_e32 v6, 0
	s_wait_kmcnt 0x0
	s_bfe_u32 s2, s2, 0xb0005
	s_delay_alu instid0(SALU_CYCLE_1)
	v_cmp_gt_u32_e32 vcc_lo, s2, v0
	s_and_saveexec_b32 s2, vcc_lo
; %bb.22:
	v_lshlrev_b32_e32 v6, 2, v7
	ds_load_b32 v6, v6
; %bb.23:
	s_or_b32 exec_lo, exec_lo, s2
	s_delay_alu instid0(SALU_CYCLE_1)
	s_mov_b32 s2, exec_lo
	v_cmpx_gt_u32_e32 32, v0
	s_cbranch_execz .LBB108_25
; %bb.24:
	s_wait_dscnt 0x0
	ds_bpermute_b32 v1, v1, v6
	s_wait_dscnt 0x0
	v_add_f32_e32 v1, v6, v1
	ds_bpermute_b32 v2, v2, v1
	s_wait_dscnt 0x0
	v_add_f32_e32 v1, v1, v2
	;; [unrolled: 3-line block ×5, first 2 shown]
.LBB108_25:
	s_or_b32 exec_lo, exec_lo, s2
	s_delay_alu instid0(SALU_CYCLE_1)
	s_mov_b32 s2, exec_lo
	v_cmpx_eq_u32_e32 0, v0
	s_cbranch_execz .LBB108_27
; %bb.26:
	s_clause 0x1
	s_load_b32 s2, s[0:1], 0xd20
	s_load_b96 s[8:10], s[0:1], 0xd30
	v_and_b32_e32 v0, 0xff, v13
	s_wait_kmcnt 0x0
	s_delay_alu instid0(VALU_DEP_1) | instskip(NEXT) | instid1(VALU_DEP_1)
	v_add_nc_u32_e32 v0, s2, v0
	v_mul_lo_u32 v0, v0, s10
	s_delay_alu instid0(VALU_DEP_1)
	v_add_nc_u32_e32 v0, s4, v0
	s_wait_dscnt 0x0
	global_store_b32 v0, v6, s[8:9] scale_offset
.LBB108_27:
	s_endpgm
.LBB108_28:
	v_mov_b32_e32 v2, 0
	s_delay_alu instid0(VALU_DEP_1)
	v_dual_mov_b32 v3, v2 :: v_dual_mov_b32 v4, v2
	v_mov_b32_e32 v5, v2
	s_and_not1_b32 vcc_lo, exec_lo, s3
	s_cbranch_vccz .LBB108_14
	s_branch .LBB108_19
	.section	.rodata,"a",@progbits
	.p2align	6, 0x0
	.amdhsa_kernel _ZN2at6native12_GLOBAL__N_125multi_tensor_apply_kernelINS1_18TensorListMetadataILi1EEENS0_13LpNormFunctorIN3c104HalfELNS0_8NormTypeE0ENS6_8BFloat16ELi1ELi1ELi0EEEJPfiEEEvT_T0_DpT1_
		.amdhsa_group_segment_fixed_size 2048
		.amdhsa_private_segment_fixed_size 0
		.amdhsa_kernarg_size 3648
		.amdhsa_user_sgpr_count 2
		.amdhsa_user_sgpr_dispatch_ptr 0
		.amdhsa_user_sgpr_queue_ptr 0
		.amdhsa_user_sgpr_kernarg_segment_ptr 1
		.amdhsa_user_sgpr_dispatch_id 0
		.amdhsa_user_sgpr_kernarg_preload_length 0
		.amdhsa_user_sgpr_kernarg_preload_offset 0
		.amdhsa_user_sgpr_private_segment_size 0
		.amdhsa_wavefront_size32 1
		.amdhsa_uses_dynamic_stack 0
		.amdhsa_enable_private_segment 0
		.amdhsa_system_sgpr_workgroup_id_x 1
		.amdhsa_system_sgpr_workgroup_id_y 0
		.amdhsa_system_sgpr_workgroup_id_z 0
		.amdhsa_system_sgpr_workgroup_info 0
		.amdhsa_system_vgpr_workitem_id 0
		.amdhsa_next_free_vgpr 18
		.amdhsa_next_free_sgpr 14
		.amdhsa_named_barrier_count 0
		.amdhsa_reserve_vcc 1
		.amdhsa_float_round_mode_32 0
		.amdhsa_float_round_mode_16_64 0
		.amdhsa_float_denorm_mode_32 3
		.amdhsa_float_denorm_mode_16_64 3
		.amdhsa_fp16_overflow 0
		.amdhsa_memory_ordered 1
		.amdhsa_forward_progress 1
		.amdhsa_inst_pref_size 12
		.amdhsa_round_robin_scheduling 0
		.amdhsa_exception_fp_ieee_invalid_op 0
		.amdhsa_exception_fp_denorm_src 0
		.amdhsa_exception_fp_ieee_div_zero 0
		.amdhsa_exception_fp_ieee_overflow 0
		.amdhsa_exception_fp_ieee_underflow 0
		.amdhsa_exception_fp_ieee_inexact 0
		.amdhsa_exception_int_div_zero 0
	.end_amdhsa_kernel
	.section	.text._ZN2at6native12_GLOBAL__N_125multi_tensor_apply_kernelINS1_18TensorListMetadataILi1EEENS0_13LpNormFunctorIN3c104HalfELNS0_8NormTypeE0ENS6_8BFloat16ELi1ELi1ELi0EEEJPfiEEEvT_T0_DpT1_,"axG",@progbits,_ZN2at6native12_GLOBAL__N_125multi_tensor_apply_kernelINS1_18TensorListMetadataILi1EEENS0_13LpNormFunctorIN3c104HalfELNS0_8NormTypeE0ENS6_8BFloat16ELi1ELi1ELi0EEEJPfiEEEvT_T0_DpT1_,comdat
.Lfunc_end108:
	.size	_ZN2at6native12_GLOBAL__N_125multi_tensor_apply_kernelINS1_18TensorListMetadataILi1EEENS0_13LpNormFunctorIN3c104HalfELNS0_8NormTypeE0ENS6_8BFloat16ELi1ELi1ELi0EEEJPfiEEEvT_T0_DpT1_, .Lfunc_end108-_ZN2at6native12_GLOBAL__N_125multi_tensor_apply_kernelINS1_18TensorListMetadataILi1EEENS0_13LpNormFunctorIN3c104HalfELNS0_8NormTypeE0ENS6_8BFloat16ELi1ELi1ELi0EEEJPfiEEEvT_T0_DpT1_
                                        ; -- End function
	.set _ZN2at6native12_GLOBAL__N_125multi_tensor_apply_kernelINS1_18TensorListMetadataILi1EEENS0_13LpNormFunctorIN3c104HalfELNS0_8NormTypeE0ENS6_8BFloat16ELi1ELi1ELi0EEEJPfiEEEvT_T0_DpT1_.num_vgpr, 18
	.set _ZN2at6native12_GLOBAL__N_125multi_tensor_apply_kernelINS1_18TensorListMetadataILi1EEENS0_13LpNormFunctorIN3c104HalfELNS0_8NormTypeE0ENS6_8BFloat16ELi1ELi1ELi0EEEJPfiEEEvT_T0_DpT1_.num_agpr, 0
	.set _ZN2at6native12_GLOBAL__N_125multi_tensor_apply_kernelINS1_18TensorListMetadataILi1EEENS0_13LpNormFunctorIN3c104HalfELNS0_8NormTypeE0ENS6_8BFloat16ELi1ELi1ELi0EEEJPfiEEEvT_T0_DpT1_.numbered_sgpr, 14
	.set _ZN2at6native12_GLOBAL__N_125multi_tensor_apply_kernelINS1_18TensorListMetadataILi1EEENS0_13LpNormFunctorIN3c104HalfELNS0_8NormTypeE0ENS6_8BFloat16ELi1ELi1ELi0EEEJPfiEEEvT_T0_DpT1_.num_named_barrier, 0
	.set _ZN2at6native12_GLOBAL__N_125multi_tensor_apply_kernelINS1_18TensorListMetadataILi1EEENS0_13LpNormFunctorIN3c104HalfELNS0_8NormTypeE0ENS6_8BFloat16ELi1ELi1ELi0EEEJPfiEEEvT_T0_DpT1_.private_seg_size, 0
	.set _ZN2at6native12_GLOBAL__N_125multi_tensor_apply_kernelINS1_18TensorListMetadataILi1EEENS0_13LpNormFunctorIN3c104HalfELNS0_8NormTypeE0ENS6_8BFloat16ELi1ELi1ELi0EEEJPfiEEEvT_T0_DpT1_.uses_vcc, 1
	.set _ZN2at6native12_GLOBAL__N_125multi_tensor_apply_kernelINS1_18TensorListMetadataILi1EEENS0_13LpNormFunctorIN3c104HalfELNS0_8NormTypeE0ENS6_8BFloat16ELi1ELi1ELi0EEEJPfiEEEvT_T0_DpT1_.uses_flat_scratch, 0
	.set _ZN2at6native12_GLOBAL__N_125multi_tensor_apply_kernelINS1_18TensorListMetadataILi1EEENS0_13LpNormFunctorIN3c104HalfELNS0_8NormTypeE0ENS6_8BFloat16ELi1ELi1ELi0EEEJPfiEEEvT_T0_DpT1_.has_dyn_sized_stack, 0
	.set _ZN2at6native12_GLOBAL__N_125multi_tensor_apply_kernelINS1_18TensorListMetadataILi1EEENS0_13LpNormFunctorIN3c104HalfELNS0_8NormTypeE0ENS6_8BFloat16ELi1ELi1ELi0EEEJPfiEEEvT_T0_DpT1_.has_recursion, 0
	.set _ZN2at6native12_GLOBAL__N_125multi_tensor_apply_kernelINS1_18TensorListMetadataILi1EEENS0_13LpNormFunctorIN3c104HalfELNS0_8NormTypeE0ENS6_8BFloat16ELi1ELi1ELi0EEEJPfiEEEvT_T0_DpT1_.has_indirect_call, 0
	.section	.AMDGPU.csdata,"",@progbits
; Kernel info:
; codeLenInByte = 1500
; TotalNumSgprs: 16
; NumVgprs: 18
; ScratchSize: 0
; MemoryBound: 0
; FloatMode: 240
; IeeeMode: 1
; LDSByteSize: 2048 bytes/workgroup (compile time only)
; SGPRBlocks: 0
; VGPRBlocks: 1
; NumSGPRsForWavesPerEU: 16
; NumVGPRsForWavesPerEU: 18
; NamedBarCnt: 0
; Occupancy: 16
; WaveLimiterHint : 0
; COMPUTE_PGM_RSRC2:SCRATCH_EN: 0
; COMPUTE_PGM_RSRC2:USER_SGPR: 2
; COMPUTE_PGM_RSRC2:TRAP_HANDLER: 0
; COMPUTE_PGM_RSRC2:TGID_X_EN: 1
; COMPUTE_PGM_RSRC2:TGID_Y_EN: 0
; COMPUTE_PGM_RSRC2:TGID_Z_EN: 0
; COMPUTE_PGM_RSRC2:TIDIG_COMP_CNT: 0
	.section	.text._ZN2at6native12_GLOBAL__N_125multi_tensor_apply_kernelINS1_18TensorListMetadataILi1EEENS0_13LpNormFunctorIN3c104HalfELNS0_8NormTypeE1ENS6_8BFloat16ELi1ELi1ELi0EEEJPfiEEEvT_T0_DpT1_,"axG",@progbits,_ZN2at6native12_GLOBAL__N_125multi_tensor_apply_kernelINS1_18TensorListMetadataILi1EEENS0_13LpNormFunctorIN3c104HalfELNS0_8NormTypeE1ENS6_8BFloat16ELi1ELi1ELi0EEEJPfiEEEvT_T0_DpT1_,comdat
	.globl	_ZN2at6native12_GLOBAL__N_125multi_tensor_apply_kernelINS1_18TensorListMetadataILi1EEENS0_13LpNormFunctorIN3c104HalfELNS0_8NormTypeE1ENS6_8BFloat16ELi1ELi1ELi0EEEJPfiEEEvT_T0_DpT1_ ; -- Begin function _ZN2at6native12_GLOBAL__N_125multi_tensor_apply_kernelINS1_18TensorListMetadataILi1EEENS0_13LpNormFunctorIN3c104HalfELNS0_8NormTypeE1ENS6_8BFloat16ELi1ELi1ELi0EEEJPfiEEEvT_T0_DpT1_
	.p2align	8
	.type	_ZN2at6native12_GLOBAL__N_125multi_tensor_apply_kernelINS1_18TensorListMetadataILi1EEENS0_13LpNormFunctorIN3c104HalfELNS0_8NormTypeE1ENS6_8BFloat16ELi1ELi1ELi0EEEJPfiEEEvT_T0_DpT1_,@function
_ZN2at6native12_GLOBAL__N_125multi_tensor_apply_kernelINS1_18TensorListMetadataILi1EEENS0_13LpNormFunctorIN3c104HalfELNS0_8NormTypeE1ENS6_8BFloat16ELi1ELi1ELi0EEEJPfiEEEvT_T0_DpT1_: ; @_ZN2at6native12_GLOBAL__N_125multi_tensor_apply_kernelINS1_18TensorListMetadataILi1EEENS0_13LpNormFunctorIN3c104HalfELNS0_8NormTypeE1ENS6_8BFloat16ELi1ELi1ELi0EEEJPfiEEEvT_T0_DpT1_
; %bb.0:
	s_bfe_u32 s2, ttmp6, 0x4000c
	s_and_b32 s3, ttmp6, 15
	s_add_co_i32 s2, s2, 1
	s_getreg_b32 s4, hwreg(HW_REG_IB_STS2, 6, 4)
	s_mul_i32 s2, ttmp9, s2
	s_delay_alu instid0(SALU_CYCLE_1)
	s_add_co_i32 s3, s3, s2
	s_cmp_eq_u32 s4, 0
	s_cselect_b32 s2, ttmp9, s3
	s_mov_b32 s3, 0
	v_mov_b32_e32 v1, s2
	s_add_nc_u64 s[4:5], s[0:1], s[2:3]
	s_mul_u64 s[6:7], s[2:3], 3
	s_delay_alu instid0(SALU_CYCLE_1) | instskip(SKIP_4) | instid1(SALU_CYCLE_1)
	s_add_nc_u64 s[4:5], s[4:5], s[6:7]
	global_load_u8 v13, v1, s[0:1] offset:1760
	s_load_b32 s4, s[4:5], 0x820
	s_wait_kmcnt 0x0
	s_ashr_i32 s5, s4, 31
	s_lshl_b64 s[10:11], s[4:5], 17
	s_lshl_b64 s[12:13], s[4:5], 16
	s_wait_loadcnt 0x0
	v_readfirstlane_b32 s2, v13
	s_and_b32 s2, s2, 0xff
	s_clause 0x1
	s_load_b64 s[6:7], s[0:1], s2 offset:0x0 scale_offset
	s_load_b64 s[8:9], s[0:1], s2 offset:0x370 scale_offset
	s_wait_kmcnt 0x0
	s_add_nc_u64 s[6:7], s[6:7], s[10:11]
	s_and_b32 s2, s8, 3
	s_and_b64 s[10:11], s[6:7], 7
	s_sub_nc_u64 s[8:9], s[8:9], s[12:13]
	s_or_b64 s[10:11], s[2:3], s[10:11]
	s_delay_alu instid0(SALU_CYCLE_1)
	s_cmp_eq_u64 s[10:11], 0
	s_cbranch_scc1 .LBB109_12
; %bb.1:
	v_cmp_lt_i64_e64 s2, s[8:9], 1
	s_and_b32 vcc_lo, exec_lo, s2
	s_cbranch_vccnz .LBB109_28
; %bb.2:
	s_load_b32 s2, s[0:1], 0xd4c
	v_min_i64 v[10:11], 0x10000, s[8:9]
	s_mov_b32 s11, 0
	s_mov_b64 s[12:13], 0
	s_wait_kmcnt 0x0
	s_and_b32 s2, s2, 0xffff
	s_delay_alu instid0(SALU_CYCLE_1) | instskip(SKIP_3) | instid1(VALU_DEP_3)
	v_dual_mov_b32 v7, 0 :: v_dual_add_nc_u32 v16, s2, v0
	v_mad_u32 v12, s2, 3, v0
	v_lshl_add_u32 v14, s2, 1, v0
	s_lshl_b32 s10, s2, 2
	v_dual_mov_b32 v6, v7 :: v_dual_mov_b32 v8, v7
	v_mov_b32_e32 v9, v7
	s_delay_alu instid0(VALU_DEP_2) | instskip(NEXT) | instid1(VALU_DEP_2)
	v_mov_b64_e32 v[2:3], v[6:7]
	v_mov_b64_e32 v[4:5], v[8:9]
	s_branch .LBB109_4
.LBB109_3:                              ;   in Loop: Header=BB109_4 Depth=1
	s_or_b32 exec_lo, exec_lo, s2
	s_add_nc_u64 s[12:13], s[12:13], s[10:11]
	s_delay_alu instid0(SALU_CYCLE_1)
	v_cmp_lt_i64_e32 vcc_lo, s[12:13], v[10:11]
	s_cbranch_vccz .LBB109_13
.LBB109_4:                              ; =>This Inner Loop Header: Depth=1
	v_add_nc_u32_e32 v6, s12, v0
	s_delay_alu instid0(VALU_DEP_1) | instskip(SKIP_2) | instid1(SALU_CYCLE_1)
	v_cmp_gt_i64_e32 vcc_lo, s[8:9], v[6:7]
	v_cmp_gt_u32_e64 s2, 0x10000, v6
	s_and_b32 s5, s2, vcc_lo
	s_and_saveexec_b32 s2, s5
	s_cbranch_execz .LBB109_6
; %bb.5:                                ;   in Loop: Header=BB109_4 Depth=1
	v_lshl_add_u64 v[8:9], v[6:7], 1, s[6:7]
	global_load_u16 v1, v[8:9], off
	s_wait_loadcnt 0x0
	v_cvt_f32_f16_e64 v1, |v1|
	s_delay_alu instid0(VALU_DEP_1)
	v_add_f32_e32 v2, v2, v1
.LBB109_6:                              ;   in Loop: Header=BB109_4 Depth=1
	s_or_b32 exec_lo, exec_lo, s2
	v_add_nc_u32_e32 v6, s12, v16
	s_delay_alu instid0(VALU_DEP_1) | instskip(SKIP_2) | instid1(SALU_CYCLE_1)
	v_cmp_gt_i64_e32 vcc_lo, s[8:9], v[6:7]
	v_cmp_gt_u32_e64 s2, 0x10000, v6
	s_and_b32 s5, s2, vcc_lo
	s_and_saveexec_b32 s2, s5
	s_cbranch_execz .LBB109_8
; %bb.7:                                ;   in Loop: Header=BB109_4 Depth=1
	v_lshl_add_u64 v[8:9], v[6:7], 1, s[6:7]
	global_load_u16 v1, v[8:9], off
	s_wait_loadcnt 0x0
	v_cvt_f32_f16_e64 v1, |v1|
	s_delay_alu instid0(VALU_DEP_1)
	v_add_f32_e32 v3, v3, v1
.LBB109_8:                              ;   in Loop: Header=BB109_4 Depth=1
	s_or_b32 exec_lo, exec_lo, s2
	v_add_nc_u32_e32 v6, s12, v14
	s_delay_alu instid0(VALU_DEP_1) | instskip(SKIP_2) | instid1(SALU_CYCLE_1)
	v_cmp_gt_i64_e32 vcc_lo, s[8:9], v[6:7]
	v_cmp_gt_u32_e64 s2, 0x10000, v6
	s_and_b32 s5, s2, vcc_lo
	s_and_saveexec_b32 s2, s5
	s_cbranch_execz .LBB109_10
; %bb.9:                                ;   in Loop: Header=BB109_4 Depth=1
	v_lshl_add_u64 v[8:9], v[6:7], 1, s[6:7]
	global_load_u16 v1, v[8:9], off
	s_wait_loadcnt 0x0
	v_cvt_f32_f16_e64 v1, |v1|
	s_delay_alu instid0(VALU_DEP_1)
	v_add_f32_e32 v4, v4, v1
.LBB109_10:                             ;   in Loop: Header=BB109_4 Depth=1
	s_or_b32 exec_lo, exec_lo, s2
	v_add_nc_u32_e32 v6, s12, v12
	s_delay_alu instid0(VALU_DEP_1) | instskip(SKIP_2) | instid1(SALU_CYCLE_1)
	v_cmp_gt_i64_e32 vcc_lo, s[8:9], v[6:7]
	v_cmp_gt_u32_e64 s2, 0x10000, v6
	s_and_b32 s5, s2, vcc_lo
	s_and_saveexec_b32 s2, s5
	s_cbranch_execz .LBB109_3
; %bb.11:                               ;   in Loop: Header=BB109_4 Depth=1
	v_lshl_add_u64 v[8:9], v[6:7], 1, s[6:7]
	global_load_u16 v1, v[8:9], off
	s_wait_loadcnt 0x0
	v_cvt_f32_f16_e64 v1, |v1|
	s_delay_alu instid0(VALU_DEP_1)
	v_add_f32_e32 v5, v5, v1
	s_branch .LBB109_3
.LBB109_12:
	s_mov_b32 s3, -1
                                        ; implicit-def: $vgpr2_vgpr3_vgpr4_vgpr5
.LBB109_13:
	s_delay_alu instid0(SALU_CYCLE_1)
	s_and_not1_b32 vcc_lo, exec_lo, s3
	s_cbranch_vccnz .LBB109_19
.LBB109_14:
	v_min_i64 v[6:7], 0x10000, s[8:9]
	v_dual_mov_b32 v2, 0 :: v_dual_lshlrev_b32 v4, 2, v0
	s_mov_b32 s3, 0
	s_delay_alu instid0(VALU_DEP_1) | instskip(NEXT) | instid1(VALU_DEP_1)
	v_dual_mov_b32 v5, v2 :: v_dual_mov_b32 v3, v2
	v_cmp_lt_i64_e32 vcc_lo, v[4:5], v[6:7]
	v_mov_b32_e32 v4, v2
	s_and_saveexec_b32 s5, vcc_lo
	s_cbranch_execz .LBB109_18
; %bb.15:
	s_load_b32 s2, s[0:1], 0xd4c
	v_dual_mov_b32 v5, v2 :: v_dual_lshlrev_b32 v4, 3, v0
	v_dual_mov_b32 v1, v2 :: v_dual_mov_b32 v3, v2
	s_mov_b32 s8, s3
	s_delay_alu instid0(VALU_DEP_2) | instskip(NEXT) | instid1(VALU_DEP_2)
	v_add_nc_u64_e32 v[8:9], s[6:7], v[4:5]
	v_mov_b64_e32 v[10:11], v[0:1]
	v_mov_b32_e32 v4, v2
	s_mov_b32 s7, s3
	s_delay_alu instid0(VALU_DEP_3) | instskip(SKIP_2) | instid1(SALU_CYCLE_1)
	v_add_nc_u64_e32 v[8:9], 4, v[8:9]
	s_wait_kmcnt 0x0
	s_and_b32 s2, s2, 0xffff
	s_lshl_b32 s6, s2, 3
.LBB109_16:                             ; =>This Inner Loop Header: Depth=1
	global_load_b64 v[14:15], v[8:9], off offset:-4
	v_add_nc_u64_e32 v[10:11], s[2:3], v[10:11]
	s_wait_xcnt 0x0
	v_add_nc_u64_e32 v[8:9], s[6:7], v[8:9]
	s_delay_alu instid0(VALU_DEP_2) | instskip(NEXT) | instid1(VALU_DEP_1)
	v_lshlrev_b64_e32 v[16:17], 2, v[10:11]
	v_cmp_ge_i64_e32 vcc_lo, v[16:17], v[6:7]
	s_or_b32 s8, vcc_lo, s8
	s_wait_loadcnt 0x0
	v_dual_lshrrev_b32 v1, 16, v15 :: v_dual_lshrrev_b32 v12, 16, v14
	v_cvt_f32_f16_e64 v14, |v14|
	v_cvt_f32_f16_e64 v16, |v15|
	s_delay_alu instid0(VALU_DEP_3) | instskip(NEXT) | instid1(VALU_DEP_4)
	v_cvt_f32_f16_e64 v17, |v1|
	v_cvt_f32_f16_e64 v15, |v12|
	s_delay_alu instid0(VALU_DEP_2) | instskip(NEXT) | instid1(VALU_DEP_2)
	v_pk_add_f32 v[4:5], v[4:5], v[16:17]
	v_pk_add_f32 v[2:3], v[2:3], v[14:15]
	s_and_not1_b32 exec_lo, exec_lo, s8
	s_cbranch_execnz .LBB109_16
; %bb.17:
	s_or_b32 exec_lo, exec_lo, s8
.LBB109_18:
	s_delay_alu instid0(SALU_CYCLE_1)
	s_or_b32 exec_lo, exec_lo, s5
.LBB109_19:
	v_add_f32_e32 v1, 0, v2
	v_mbcnt_lo_u32_b32 v6, -1, 0
	s_mov_b32 s2, exec_lo
	s_barrier_signal -1
	s_delay_alu instid0(VALU_DEP_2) | instskip(NEXT) | instid1(VALU_DEP_2)
	v_add_f32_e32 v1, v3, v1
	v_cmp_gt_u32_e32 vcc_lo, 24, v6
	s_barrier_wait -1
	s_delay_alu instid0(VALU_DEP_2) | instskip(SKIP_1) | instid1(VALU_DEP_2)
	v_add_f32_e32 v2, v4, v1
	v_lshl_or_b32 v1, v6, 2, 64
	v_add_f32_e32 v3, v5, v2
	v_cndmask_b32_e64 v2, 0, 8, vcc_lo
	v_cmp_gt_u32_e32 vcc_lo, 28, v6
	ds_bpermute_b32 v4, v1, v3
	v_add_lshl_u32 v2, v2, v6, 2
	s_wait_dscnt 0x0
	v_add_f32_e32 v4, v3, v4
	v_cndmask_b32_e64 v3, 0, 4, vcc_lo
	v_cmp_gt_u32_e32 vcc_lo, 30, v6
	ds_bpermute_b32 v5, v2, v4
	v_add_lshl_u32 v3, v3, v6, 2
	s_wait_dscnt 0x0
	v_add_f32_e32 v5, v4, v5
	v_cndmask_b32_e64 v4, 0, 2, vcc_lo
	v_cmp_ne_u32_e32 vcc_lo, 31, v6
	ds_bpermute_b32 v7, v3, v5
	v_add_lshl_u32 v4, v4, v6, 2
	v_add_co_ci_u32_e64 v8, null, 0, v6, vcc_lo
	s_wait_dscnt 0x0
	v_add_f32_e32 v5, v5, v7
	ds_bpermute_b32 v7, v4, v5
	s_wait_dscnt 0x0
	v_dual_add_f32 v6, v5, v7 :: v_dual_lshlrev_b32 v5, 2, v8
	v_and_b32_e32 v7, 31, v0
	ds_bpermute_b32 v8, v5, v6
	v_cmpx_eq_u32_e32 0, v7
	s_cbranch_execz .LBB109_21
; %bb.20:
	v_lshrrev_b32_e32 v9, 3, v0
	s_wait_dscnt 0x0
	v_add_f32_e32 v6, v6, v8
	ds_store_b32 v9, v6
.LBB109_21:
	s_or_b32 exec_lo, exec_lo, s2
	s_wait_dscnt 0x0
	s_barrier_signal -1
	s_barrier_wait -1
	s_load_b32 s2, s[0:1], 0xd4c
	v_mov_b32_e32 v6, 0
	s_wait_kmcnt 0x0
	s_bfe_u32 s2, s2, 0xb0005
	s_delay_alu instid0(SALU_CYCLE_1)
	v_cmp_gt_u32_e32 vcc_lo, s2, v0
	s_and_saveexec_b32 s2, vcc_lo
; %bb.22:
	v_lshlrev_b32_e32 v6, 2, v7
	ds_load_b32 v6, v6
; %bb.23:
	s_or_b32 exec_lo, exec_lo, s2
	s_delay_alu instid0(SALU_CYCLE_1)
	s_mov_b32 s2, exec_lo
	v_cmpx_gt_u32_e32 32, v0
	s_cbranch_execz .LBB109_25
; %bb.24:
	s_wait_dscnt 0x0
	ds_bpermute_b32 v1, v1, v6
	s_wait_dscnt 0x0
	v_add_f32_e32 v1, v6, v1
	ds_bpermute_b32 v2, v2, v1
	s_wait_dscnt 0x0
	v_add_f32_e32 v1, v1, v2
	;; [unrolled: 3-line block ×5, first 2 shown]
.LBB109_25:
	s_or_b32 exec_lo, exec_lo, s2
	s_delay_alu instid0(SALU_CYCLE_1)
	s_mov_b32 s2, exec_lo
	v_cmpx_eq_u32_e32 0, v0
	s_cbranch_execz .LBB109_27
; %bb.26:
	s_clause 0x1
	s_load_b32 s2, s[0:1], 0xd20
	s_load_b96 s[8:10], s[0:1], 0xd30
	v_and_b32_e32 v0, 0xff, v13
	s_wait_kmcnt 0x0
	s_delay_alu instid0(VALU_DEP_1) | instskip(NEXT) | instid1(VALU_DEP_1)
	v_add_nc_u32_e32 v0, s2, v0
	v_mul_lo_u32 v0, v0, s10
	s_delay_alu instid0(VALU_DEP_1)
	v_add_nc_u32_e32 v0, s4, v0
	s_wait_dscnt 0x0
	global_store_b32 v0, v6, s[8:9] scale_offset
.LBB109_27:
	s_endpgm
.LBB109_28:
	v_mov_b32_e32 v2, 0
	s_delay_alu instid0(VALU_DEP_1)
	v_dual_mov_b32 v3, v2 :: v_dual_mov_b32 v4, v2
	v_mov_b32_e32 v5, v2
	s_and_not1_b32 vcc_lo, exec_lo, s3
	s_cbranch_vccz .LBB109_14
	s_branch .LBB109_19
	.section	.rodata,"a",@progbits
	.p2align	6, 0x0
	.amdhsa_kernel _ZN2at6native12_GLOBAL__N_125multi_tensor_apply_kernelINS1_18TensorListMetadataILi1EEENS0_13LpNormFunctorIN3c104HalfELNS0_8NormTypeE1ENS6_8BFloat16ELi1ELi1ELi0EEEJPfiEEEvT_T0_DpT1_
		.amdhsa_group_segment_fixed_size 2048
		.amdhsa_private_segment_fixed_size 0
		.amdhsa_kernarg_size 3648
		.amdhsa_user_sgpr_count 2
		.amdhsa_user_sgpr_dispatch_ptr 0
		.amdhsa_user_sgpr_queue_ptr 0
		.amdhsa_user_sgpr_kernarg_segment_ptr 1
		.amdhsa_user_sgpr_dispatch_id 0
		.amdhsa_user_sgpr_kernarg_preload_length 0
		.amdhsa_user_sgpr_kernarg_preload_offset 0
		.amdhsa_user_sgpr_private_segment_size 0
		.amdhsa_wavefront_size32 1
		.amdhsa_uses_dynamic_stack 0
		.amdhsa_enable_private_segment 0
		.amdhsa_system_sgpr_workgroup_id_x 1
		.amdhsa_system_sgpr_workgroup_id_y 0
		.amdhsa_system_sgpr_workgroup_id_z 0
		.amdhsa_system_sgpr_workgroup_info 0
		.amdhsa_system_vgpr_workitem_id 0
		.amdhsa_next_free_vgpr 18
		.amdhsa_next_free_sgpr 14
		.amdhsa_named_barrier_count 0
		.amdhsa_reserve_vcc 1
		.amdhsa_float_round_mode_32 0
		.amdhsa_float_round_mode_16_64 0
		.amdhsa_float_denorm_mode_32 3
		.amdhsa_float_denorm_mode_16_64 3
		.amdhsa_fp16_overflow 0
		.amdhsa_memory_ordered 1
		.amdhsa_forward_progress 1
		.amdhsa_inst_pref_size 12
		.amdhsa_round_robin_scheduling 0
		.amdhsa_exception_fp_ieee_invalid_op 0
		.amdhsa_exception_fp_denorm_src 0
		.amdhsa_exception_fp_ieee_div_zero 0
		.amdhsa_exception_fp_ieee_overflow 0
		.amdhsa_exception_fp_ieee_underflow 0
		.amdhsa_exception_fp_ieee_inexact 0
		.amdhsa_exception_int_div_zero 0
	.end_amdhsa_kernel
	.section	.text._ZN2at6native12_GLOBAL__N_125multi_tensor_apply_kernelINS1_18TensorListMetadataILi1EEENS0_13LpNormFunctorIN3c104HalfELNS0_8NormTypeE1ENS6_8BFloat16ELi1ELi1ELi0EEEJPfiEEEvT_T0_DpT1_,"axG",@progbits,_ZN2at6native12_GLOBAL__N_125multi_tensor_apply_kernelINS1_18TensorListMetadataILi1EEENS0_13LpNormFunctorIN3c104HalfELNS0_8NormTypeE1ENS6_8BFloat16ELi1ELi1ELi0EEEJPfiEEEvT_T0_DpT1_,comdat
.Lfunc_end109:
	.size	_ZN2at6native12_GLOBAL__N_125multi_tensor_apply_kernelINS1_18TensorListMetadataILi1EEENS0_13LpNormFunctorIN3c104HalfELNS0_8NormTypeE1ENS6_8BFloat16ELi1ELi1ELi0EEEJPfiEEEvT_T0_DpT1_, .Lfunc_end109-_ZN2at6native12_GLOBAL__N_125multi_tensor_apply_kernelINS1_18TensorListMetadataILi1EEENS0_13LpNormFunctorIN3c104HalfELNS0_8NormTypeE1ENS6_8BFloat16ELi1ELi1ELi0EEEJPfiEEEvT_T0_DpT1_
                                        ; -- End function
	.set _ZN2at6native12_GLOBAL__N_125multi_tensor_apply_kernelINS1_18TensorListMetadataILi1EEENS0_13LpNormFunctorIN3c104HalfELNS0_8NormTypeE1ENS6_8BFloat16ELi1ELi1ELi0EEEJPfiEEEvT_T0_DpT1_.num_vgpr, 18
	.set _ZN2at6native12_GLOBAL__N_125multi_tensor_apply_kernelINS1_18TensorListMetadataILi1EEENS0_13LpNormFunctorIN3c104HalfELNS0_8NormTypeE1ENS6_8BFloat16ELi1ELi1ELi0EEEJPfiEEEvT_T0_DpT1_.num_agpr, 0
	.set _ZN2at6native12_GLOBAL__N_125multi_tensor_apply_kernelINS1_18TensorListMetadataILi1EEENS0_13LpNormFunctorIN3c104HalfELNS0_8NormTypeE1ENS6_8BFloat16ELi1ELi1ELi0EEEJPfiEEEvT_T0_DpT1_.numbered_sgpr, 14
	.set _ZN2at6native12_GLOBAL__N_125multi_tensor_apply_kernelINS1_18TensorListMetadataILi1EEENS0_13LpNormFunctorIN3c104HalfELNS0_8NormTypeE1ENS6_8BFloat16ELi1ELi1ELi0EEEJPfiEEEvT_T0_DpT1_.num_named_barrier, 0
	.set _ZN2at6native12_GLOBAL__N_125multi_tensor_apply_kernelINS1_18TensorListMetadataILi1EEENS0_13LpNormFunctorIN3c104HalfELNS0_8NormTypeE1ENS6_8BFloat16ELi1ELi1ELi0EEEJPfiEEEvT_T0_DpT1_.private_seg_size, 0
	.set _ZN2at6native12_GLOBAL__N_125multi_tensor_apply_kernelINS1_18TensorListMetadataILi1EEENS0_13LpNormFunctorIN3c104HalfELNS0_8NormTypeE1ENS6_8BFloat16ELi1ELi1ELi0EEEJPfiEEEvT_T0_DpT1_.uses_vcc, 1
	.set _ZN2at6native12_GLOBAL__N_125multi_tensor_apply_kernelINS1_18TensorListMetadataILi1EEENS0_13LpNormFunctorIN3c104HalfELNS0_8NormTypeE1ENS6_8BFloat16ELi1ELi1ELi0EEEJPfiEEEvT_T0_DpT1_.uses_flat_scratch, 0
	.set _ZN2at6native12_GLOBAL__N_125multi_tensor_apply_kernelINS1_18TensorListMetadataILi1EEENS0_13LpNormFunctorIN3c104HalfELNS0_8NormTypeE1ENS6_8BFloat16ELi1ELi1ELi0EEEJPfiEEEvT_T0_DpT1_.has_dyn_sized_stack, 0
	.set _ZN2at6native12_GLOBAL__N_125multi_tensor_apply_kernelINS1_18TensorListMetadataILi1EEENS0_13LpNormFunctorIN3c104HalfELNS0_8NormTypeE1ENS6_8BFloat16ELi1ELi1ELi0EEEJPfiEEEvT_T0_DpT1_.has_recursion, 0
	.set _ZN2at6native12_GLOBAL__N_125multi_tensor_apply_kernelINS1_18TensorListMetadataILi1EEENS0_13LpNormFunctorIN3c104HalfELNS0_8NormTypeE1ENS6_8BFloat16ELi1ELi1ELi0EEEJPfiEEEvT_T0_DpT1_.has_indirect_call, 0
	.section	.AMDGPU.csdata,"",@progbits
; Kernel info:
; codeLenInByte = 1444
; TotalNumSgprs: 16
; NumVgprs: 18
; ScratchSize: 0
; MemoryBound: 0
; FloatMode: 240
; IeeeMode: 1
; LDSByteSize: 2048 bytes/workgroup (compile time only)
; SGPRBlocks: 0
; VGPRBlocks: 1
; NumSGPRsForWavesPerEU: 16
; NumVGPRsForWavesPerEU: 18
; NamedBarCnt: 0
; Occupancy: 16
; WaveLimiterHint : 0
; COMPUTE_PGM_RSRC2:SCRATCH_EN: 0
; COMPUTE_PGM_RSRC2:USER_SGPR: 2
; COMPUTE_PGM_RSRC2:TRAP_HANDLER: 0
; COMPUTE_PGM_RSRC2:TGID_X_EN: 1
; COMPUTE_PGM_RSRC2:TGID_Y_EN: 0
; COMPUTE_PGM_RSRC2:TGID_Z_EN: 0
; COMPUTE_PGM_RSRC2:TIDIG_COMP_CNT: 0
	.section	.text._ZN2at6native12_GLOBAL__N_125multi_tensor_apply_kernelINS1_18TensorListMetadataILi1EEENS0_13LpNormFunctorIN3c104HalfELNS0_8NormTypeE2ENS6_8BFloat16ELi1ELi1ELi0EEEJPfiEEEvT_T0_DpT1_,"axG",@progbits,_ZN2at6native12_GLOBAL__N_125multi_tensor_apply_kernelINS1_18TensorListMetadataILi1EEENS0_13LpNormFunctorIN3c104HalfELNS0_8NormTypeE2ENS6_8BFloat16ELi1ELi1ELi0EEEJPfiEEEvT_T0_DpT1_,comdat
	.globl	_ZN2at6native12_GLOBAL__N_125multi_tensor_apply_kernelINS1_18TensorListMetadataILi1EEENS0_13LpNormFunctorIN3c104HalfELNS0_8NormTypeE2ENS6_8BFloat16ELi1ELi1ELi0EEEJPfiEEEvT_T0_DpT1_ ; -- Begin function _ZN2at6native12_GLOBAL__N_125multi_tensor_apply_kernelINS1_18TensorListMetadataILi1EEENS0_13LpNormFunctorIN3c104HalfELNS0_8NormTypeE2ENS6_8BFloat16ELi1ELi1ELi0EEEJPfiEEEvT_T0_DpT1_
	.p2align	8
	.type	_ZN2at6native12_GLOBAL__N_125multi_tensor_apply_kernelINS1_18TensorListMetadataILi1EEENS0_13LpNormFunctorIN3c104HalfELNS0_8NormTypeE2ENS6_8BFloat16ELi1ELi1ELi0EEEJPfiEEEvT_T0_DpT1_,@function
_ZN2at6native12_GLOBAL__N_125multi_tensor_apply_kernelINS1_18TensorListMetadataILi1EEENS0_13LpNormFunctorIN3c104HalfELNS0_8NormTypeE2ENS6_8BFloat16ELi1ELi1ELi0EEEJPfiEEEvT_T0_DpT1_: ; @_ZN2at6native12_GLOBAL__N_125multi_tensor_apply_kernelINS1_18TensorListMetadataILi1EEENS0_13LpNormFunctorIN3c104HalfELNS0_8NormTypeE2ENS6_8BFloat16ELi1ELi1ELi0EEEJPfiEEEvT_T0_DpT1_
; %bb.0:
	s_bfe_u32 s2, ttmp6, 0x4000c
	s_and_b32 s3, ttmp6, 15
	s_add_co_i32 s2, s2, 1
	s_getreg_b32 s4, hwreg(HW_REG_IB_STS2, 6, 4)
	s_mul_i32 s2, ttmp9, s2
	s_delay_alu instid0(SALU_CYCLE_1)
	s_add_co_i32 s3, s3, s2
	s_cmp_eq_u32 s4, 0
	s_cselect_b32 s2, ttmp9, s3
	s_mov_b32 s3, 0
	v_mov_b32_e32 v1, s2
	s_add_nc_u64 s[4:5], s[0:1], s[2:3]
	s_mul_u64 s[6:7], s[2:3], 3
	s_delay_alu instid0(SALU_CYCLE_1) | instskip(SKIP_4) | instid1(SALU_CYCLE_1)
	s_add_nc_u64 s[4:5], s[4:5], s[6:7]
	global_load_u8 v13, v1, s[0:1] offset:1760
	s_load_b32 s4, s[4:5], 0x820
	s_wait_kmcnt 0x0
	s_ashr_i32 s5, s4, 31
	s_lshl_b64 s[10:11], s[4:5], 17
	s_lshl_b64 s[12:13], s[4:5], 16
	s_wait_loadcnt 0x0
	v_readfirstlane_b32 s2, v13
	s_and_b32 s2, s2, 0xff
	s_clause 0x1
	s_load_b64 s[6:7], s[0:1], s2 offset:0x0 scale_offset
	s_load_b64 s[8:9], s[0:1], s2 offset:0x370 scale_offset
	s_wait_kmcnt 0x0
	s_add_nc_u64 s[6:7], s[6:7], s[10:11]
	s_and_b32 s2, s8, 3
	s_and_b64 s[10:11], s[6:7], 7
	s_sub_nc_u64 s[8:9], s[8:9], s[12:13]
	s_or_b64 s[10:11], s[2:3], s[10:11]
	s_delay_alu instid0(SALU_CYCLE_1)
	s_cmp_eq_u64 s[10:11], 0
	s_cbranch_scc1 .LBB110_12
; %bb.1:
	v_cmp_lt_i64_e64 s2, s[8:9], 1
	s_and_b32 vcc_lo, exec_lo, s2
	s_cbranch_vccnz .LBB110_28
; %bb.2:
	s_load_b32 s2, s[0:1], 0xd4c
	v_min_i64 v[10:11], 0x10000, s[8:9]
	s_mov_b32 s11, 0
	s_mov_b64 s[12:13], 0
	s_wait_kmcnt 0x0
	s_and_b32 s2, s2, 0xffff
	s_delay_alu instid0(SALU_CYCLE_1) | instskip(SKIP_3) | instid1(VALU_DEP_3)
	v_dual_mov_b32 v7, 0 :: v_dual_add_nc_u32 v16, s2, v0
	v_mad_u32 v12, s2, 3, v0
	v_lshl_add_u32 v14, s2, 1, v0
	s_lshl_b32 s10, s2, 2
	v_dual_mov_b32 v6, v7 :: v_dual_mov_b32 v8, v7
	v_mov_b32_e32 v9, v7
	s_delay_alu instid0(VALU_DEP_2) | instskip(NEXT) | instid1(VALU_DEP_2)
	v_mov_b64_e32 v[2:3], v[6:7]
	v_mov_b64_e32 v[4:5], v[8:9]
	s_branch .LBB110_4
.LBB110_3:                              ;   in Loop: Header=BB110_4 Depth=1
	s_or_b32 exec_lo, exec_lo, s2
	s_add_nc_u64 s[12:13], s[12:13], s[10:11]
	s_delay_alu instid0(SALU_CYCLE_1)
	v_cmp_lt_i64_e32 vcc_lo, s[12:13], v[10:11]
	s_cbranch_vccz .LBB110_13
.LBB110_4:                              ; =>This Inner Loop Header: Depth=1
	v_add_nc_u32_e32 v6, s12, v0
	s_delay_alu instid0(VALU_DEP_1) | instskip(SKIP_2) | instid1(SALU_CYCLE_1)
	v_cmp_gt_i64_e32 vcc_lo, s[8:9], v[6:7]
	v_cmp_gt_u32_e64 s2, 0x10000, v6
	s_and_b32 s5, s2, vcc_lo
	s_and_saveexec_b32 s2, s5
	s_cbranch_execz .LBB110_6
; %bb.5:                                ;   in Loop: Header=BB110_4 Depth=1
	v_lshl_add_u64 v[8:9], v[6:7], 1, s[6:7]
	global_load_u16 v1, v[8:9], off
	s_wait_loadcnt 0x0
	v_fma_mix_f32 v2, v1, v1, v2 op_sel_hi:[1,1,0]
.LBB110_6:                              ;   in Loop: Header=BB110_4 Depth=1
	s_or_b32 exec_lo, exec_lo, s2
	v_add_nc_u32_e32 v6, s12, v16
	s_delay_alu instid0(VALU_DEP_1) | instskip(SKIP_2) | instid1(SALU_CYCLE_1)
	v_cmp_gt_i64_e32 vcc_lo, s[8:9], v[6:7]
	v_cmp_gt_u32_e64 s2, 0x10000, v6
	s_and_b32 s5, s2, vcc_lo
	s_and_saveexec_b32 s2, s5
	s_cbranch_execz .LBB110_8
; %bb.7:                                ;   in Loop: Header=BB110_4 Depth=1
	v_lshl_add_u64 v[8:9], v[6:7], 1, s[6:7]
	global_load_u16 v1, v[8:9], off
	s_wait_loadcnt 0x0
	v_fma_mix_f32 v3, v1, v1, v3 op_sel_hi:[1,1,0]
.LBB110_8:                              ;   in Loop: Header=BB110_4 Depth=1
	s_or_b32 exec_lo, exec_lo, s2
	v_add_nc_u32_e32 v6, s12, v14
	s_delay_alu instid0(VALU_DEP_1) | instskip(SKIP_2) | instid1(SALU_CYCLE_1)
	v_cmp_gt_i64_e32 vcc_lo, s[8:9], v[6:7]
	v_cmp_gt_u32_e64 s2, 0x10000, v6
	s_and_b32 s5, s2, vcc_lo
	s_and_saveexec_b32 s2, s5
	s_cbranch_execz .LBB110_10
; %bb.9:                                ;   in Loop: Header=BB110_4 Depth=1
	v_lshl_add_u64 v[8:9], v[6:7], 1, s[6:7]
	global_load_u16 v1, v[8:9], off
	s_wait_loadcnt 0x0
	v_fma_mix_f32 v4, v1, v1, v4 op_sel_hi:[1,1,0]
.LBB110_10:                             ;   in Loop: Header=BB110_4 Depth=1
	s_or_b32 exec_lo, exec_lo, s2
	v_add_nc_u32_e32 v6, s12, v12
	s_delay_alu instid0(VALU_DEP_1) | instskip(SKIP_2) | instid1(SALU_CYCLE_1)
	v_cmp_gt_i64_e32 vcc_lo, s[8:9], v[6:7]
	v_cmp_gt_u32_e64 s2, 0x10000, v6
	s_and_b32 s5, s2, vcc_lo
	s_and_saveexec_b32 s2, s5
	s_cbranch_execz .LBB110_3
; %bb.11:                               ;   in Loop: Header=BB110_4 Depth=1
	v_lshl_add_u64 v[8:9], v[6:7], 1, s[6:7]
	global_load_u16 v1, v[8:9], off
	s_wait_loadcnt 0x0
	v_fma_mix_f32 v5, v1, v1, v5 op_sel_hi:[1,1,0]
	s_branch .LBB110_3
.LBB110_12:
	s_mov_b32 s3, -1
                                        ; implicit-def: $vgpr2_vgpr3_vgpr4_vgpr5
.LBB110_13:
	s_delay_alu instid0(SALU_CYCLE_1)
	s_and_not1_b32 vcc_lo, exec_lo, s3
	s_cbranch_vccnz .LBB110_19
.LBB110_14:
	v_min_i64 v[6:7], 0x10000, s[8:9]
	v_dual_mov_b32 v2, 0 :: v_dual_lshlrev_b32 v4, 2, v0
	s_mov_b32 s3, 0
	s_delay_alu instid0(VALU_DEP_1) | instskip(NEXT) | instid1(VALU_DEP_1)
	v_dual_mov_b32 v5, v2 :: v_dual_mov_b32 v3, v2
	v_cmp_lt_i64_e32 vcc_lo, v[4:5], v[6:7]
	v_mov_b32_e32 v4, v2
	s_and_saveexec_b32 s5, vcc_lo
	s_cbranch_execz .LBB110_18
; %bb.15:
	s_load_b32 s2, s[0:1], 0xd4c
	v_dual_mov_b32 v5, v2 :: v_dual_lshlrev_b32 v4, 3, v0
	v_dual_mov_b32 v1, v2 :: v_dual_mov_b32 v3, v2
	s_mov_b32 s8, s3
	s_delay_alu instid0(VALU_DEP_2) | instskip(NEXT) | instid1(VALU_DEP_2)
	v_add_nc_u64_e32 v[8:9], s[6:7], v[4:5]
	v_mov_b64_e32 v[10:11], v[0:1]
	v_mov_b32_e32 v4, v2
	s_mov_b32 s7, s3
	s_delay_alu instid0(VALU_DEP_3) | instskip(SKIP_2) | instid1(SALU_CYCLE_1)
	v_add_nc_u64_e32 v[8:9], 4, v[8:9]
	s_wait_kmcnt 0x0
	s_and_b32 s2, s2, 0xffff
	s_lshl_b32 s6, s2, 3
.LBB110_16:                             ; =>This Inner Loop Header: Depth=1
	global_load_b64 v[14:15], v[8:9], off offset:-4
	v_add_nc_u64_e32 v[10:11], s[2:3], v[10:11]
	s_wait_xcnt 0x0
	v_add_nc_u64_e32 v[8:9], s[6:7], v[8:9]
	s_delay_alu instid0(VALU_DEP_2) | instskip(NEXT) | instid1(VALU_DEP_1)
	v_lshlrev_b64_e32 v[16:17], 2, v[10:11]
	v_cmp_ge_i64_e32 vcc_lo, v[16:17], v[6:7]
	s_or_b32 s8, vcc_lo, s8
	s_wait_loadcnt 0x0
	v_dual_lshrrev_b32 v1, 16, v15 :: v_dual_lshrrev_b32 v12, 16, v14
	v_cvt_f32_f16_e32 v14, v14
	v_cvt_f32_f16_e32 v16, v15
	s_delay_alu instid0(VALU_DEP_3) | instskip(NEXT) | instid1(VALU_DEP_4)
	v_cvt_f32_f16_e32 v17, v1
	v_cvt_f32_f16_e32 v15, v12
	s_delay_alu instid0(VALU_DEP_2) | instskip(NEXT) | instid1(VALU_DEP_2)
	v_pk_fma_f32 v[4:5], v[16:17], v[16:17], v[4:5]
	v_pk_fma_f32 v[2:3], v[14:15], v[14:15], v[2:3]
	s_and_not1_b32 exec_lo, exec_lo, s8
	s_cbranch_execnz .LBB110_16
; %bb.17:
	s_or_b32 exec_lo, exec_lo, s8
.LBB110_18:
	s_delay_alu instid0(SALU_CYCLE_1)
	s_or_b32 exec_lo, exec_lo, s5
.LBB110_19:
	v_add_f32_e32 v1, 0, v2
	v_mbcnt_lo_u32_b32 v6, -1, 0
	s_mov_b32 s2, exec_lo
	s_barrier_signal -1
	s_delay_alu instid0(VALU_DEP_2) | instskip(NEXT) | instid1(VALU_DEP_2)
	v_add_f32_e32 v1, v3, v1
	v_cmp_gt_u32_e32 vcc_lo, 24, v6
	s_barrier_wait -1
	s_delay_alu instid0(VALU_DEP_2) | instskip(SKIP_1) | instid1(VALU_DEP_2)
	v_add_f32_e32 v2, v4, v1
	v_lshl_or_b32 v1, v6, 2, 64
	v_add_f32_e32 v3, v5, v2
	v_cndmask_b32_e64 v2, 0, 8, vcc_lo
	v_cmp_gt_u32_e32 vcc_lo, 28, v6
	ds_bpermute_b32 v4, v1, v3
	v_add_lshl_u32 v2, v2, v6, 2
	s_wait_dscnt 0x0
	v_add_f32_e32 v4, v3, v4
	v_cndmask_b32_e64 v3, 0, 4, vcc_lo
	v_cmp_gt_u32_e32 vcc_lo, 30, v6
	ds_bpermute_b32 v5, v2, v4
	v_add_lshl_u32 v3, v3, v6, 2
	s_wait_dscnt 0x0
	v_add_f32_e32 v5, v4, v5
	v_cndmask_b32_e64 v4, 0, 2, vcc_lo
	v_cmp_ne_u32_e32 vcc_lo, 31, v6
	ds_bpermute_b32 v7, v3, v5
	v_add_lshl_u32 v4, v4, v6, 2
	v_add_co_ci_u32_e64 v8, null, 0, v6, vcc_lo
	s_wait_dscnt 0x0
	v_add_f32_e32 v5, v5, v7
	ds_bpermute_b32 v7, v4, v5
	s_wait_dscnt 0x0
	v_dual_add_f32 v6, v5, v7 :: v_dual_lshlrev_b32 v5, 2, v8
	v_and_b32_e32 v7, 31, v0
	ds_bpermute_b32 v8, v5, v6
	v_cmpx_eq_u32_e32 0, v7
	s_cbranch_execz .LBB110_21
; %bb.20:
	v_lshrrev_b32_e32 v9, 3, v0
	s_wait_dscnt 0x0
	v_add_f32_e32 v6, v6, v8
	ds_store_b32 v9, v6
.LBB110_21:
	s_or_b32 exec_lo, exec_lo, s2
	s_wait_dscnt 0x0
	s_barrier_signal -1
	s_barrier_wait -1
	s_load_b32 s2, s[0:1], 0xd4c
	v_mov_b32_e32 v6, 0
	s_wait_kmcnt 0x0
	s_bfe_u32 s2, s2, 0xb0005
	s_delay_alu instid0(SALU_CYCLE_1)
	v_cmp_gt_u32_e32 vcc_lo, s2, v0
	s_and_saveexec_b32 s2, vcc_lo
; %bb.22:
	v_lshlrev_b32_e32 v6, 2, v7
	ds_load_b32 v6, v6
; %bb.23:
	s_or_b32 exec_lo, exec_lo, s2
	s_delay_alu instid0(SALU_CYCLE_1)
	s_mov_b32 s2, exec_lo
	v_cmpx_gt_u32_e32 32, v0
	s_cbranch_execz .LBB110_25
; %bb.24:
	s_wait_dscnt 0x0
	ds_bpermute_b32 v1, v1, v6
	s_wait_dscnt 0x0
	v_add_f32_e32 v1, v6, v1
	ds_bpermute_b32 v2, v2, v1
	s_wait_dscnt 0x0
	v_add_f32_e32 v1, v1, v2
	;; [unrolled: 3-line block ×5, first 2 shown]
.LBB110_25:
	s_or_b32 exec_lo, exec_lo, s2
	s_delay_alu instid0(SALU_CYCLE_1)
	s_mov_b32 s2, exec_lo
	v_cmpx_eq_u32_e32 0, v0
	s_cbranch_execz .LBB110_27
; %bb.26:
	s_clause 0x1
	s_load_b32 s2, s[0:1], 0xd20
	s_load_b96 s[8:10], s[0:1], 0xd30
	v_and_b32_e32 v0, 0xff, v13
	s_wait_kmcnt 0x0
	s_delay_alu instid0(VALU_DEP_1) | instskip(NEXT) | instid1(VALU_DEP_1)
	v_add_nc_u32_e32 v0, s2, v0
	v_mul_lo_u32 v0, v0, s10
	s_delay_alu instid0(VALU_DEP_1)
	v_add_nc_u32_e32 v0, s4, v0
	s_wait_dscnt 0x0
	global_store_b32 v0, v6, s[8:9] scale_offset
.LBB110_27:
	s_endpgm
.LBB110_28:
	v_mov_b32_e32 v2, 0
	s_delay_alu instid0(VALU_DEP_1)
	v_dual_mov_b32 v3, v2 :: v_dual_mov_b32 v4, v2
	v_mov_b32_e32 v5, v2
	s_and_not1_b32 vcc_lo, exec_lo, s3
	s_cbranch_vccz .LBB110_14
	s_branch .LBB110_19
	.section	.rodata,"a",@progbits
	.p2align	6, 0x0
	.amdhsa_kernel _ZN2at6native12_GLOBAL__N_125multi_tensor_apply_kernelINS1_18TensorListMetadataILi1EEENS0_13LpNormFunctorIN3c104HalfELNS0_8NormTypeE2ENS6_8BFloat16ELi1ELi1ELi0EEEJPfiEEEvT_T0_DpT1_
		.amdhsa_group_segment_fixed_size 2048
		.amdhsa_private_segment_fixed_size 0
		.amdhsa_kernarg_size 3648
		.amdhsa_user_sgpr_count 2
		.amdhsa_user_sgpr_dispatch_ptr 0
		.amdhsa_user_sgpr_queue_ptr 0
		.amdhsa_user_sgpr_kernarg_segment_ptr 1
		.amdhsa_user_sgpr_dispatch_id 0
		.amdhsa_user_sgpr_kernarg_preload_length 0
		.amdhsa_user_sgpr_kernarg_preload_offset 0
		.amdhsa_user_sgpr_private_segment_size 0
		.amdhsa_wavefront_size32 1
		.amdhsa_uses_dynamic_stack 0
		.amdhsa_enable_private_segment 0
		.amdhsa_system_sgpr_workgroup_id_x 1
		.amdhsa_system_sgpr_workgroup_id_y 0
		.amdhsa_system_sgpr_workgroup_id_z 0
		.amdhsa_system_sgpr_workgroup_info 0
		.amdhsa_system_vgpr_workitem_id 0
		.amdhsa_next_free_vgpr 18
		.amdhsa_next_free_sgpr 14
		.amdhsa_named_barrier_count 0
		.amdhsa_reserve_vcc 1
		.amdhsa_float_round_mode_32 0
		.amdhsa_float_round_mode_16_64 0
		.amdhsa_float_denorm_mode_32 3
		.amdhsa_float_denorm_mode_16_64 3
		.amdhsa_fp16_overflow 0
		.amdhsa_memory_ordered 1
		.amdhsa_forward_progress 1
		.amdhsa_inst_pref_size 11
		.amdhsa_round_robin_scheduling 0
		.amdhsa_exception_fp_ieee_invalid_op 0
		.amdhsa_exception_fp_denorm_src 0
		.amdhsa_exception_fp_ieee_div_zero 0
		.amdhsa_exception_fp_ieee_overflow 0
		.amdhsa_exception_fp_ieee_underflow 0
		.amdhsa_exception_fp_ieee_inexact 0
		.amdhsa_exception_int_div_zero 0
	.end_amdhsa_kernel
	.section	.text._ZN2at6native12_GLOBAL__N_125multi_tensor_apply_kernelINS1_18TensorListMetadataILi1EEENS0_13LpNormFunctorIN3c104HalfELNS0_8NormTypeE2ENS6_8BFloat16ELi1ELi1ELi0EEEJPfiEEEvT_T0_DpT1_,"axG",@progbits,_ZN2at6native12_GLOBAL__N_125multi_tensor_apply_kernelINS1_18TensorListMetadataILi1EEENS0_13LpNormFunctorIN3c104HalfELNS0_8NormTypeE2ENS6_8BFloat16ELi1ELi1ELi0EEEJPfiEEEvT_T0_DpT1_,comdat
.Lfunc_end110:
	.size	_ZN2at6native12_GLOBAL__N_125multi_tensor_apply_kernelINS1_18TensorListMetadataILi1EEENS0_13LpNormFunctorIN3c104HalfELNS0_8NormTypeE2ENS6_8BFloat16ELi1ELi1ELi0EEEJPfiEEEvT_T0_DpT1_, .Lfunc_end110-_ZN2at6native12_GLOBAL__N_125multi_tensor_apply_kernelINS1_18TensorListMetadataILi1EEENS0_13LpNormFunctorIN3c104HalfELNS0_8NormTypeE2ENS6_8BFloat16ELi1ELi1ELi0EEEJPfiEEEvT_T0_DpT1_
                                        ; -- End function
	.set _ZN2at6native12_GLOBAL__N_125multi_tensor_apply_kernelINS1_18TensorListMetadataILi1EEENS0_13LpNormFunctorIN3c104HalfELNS0_8NormTypeE2ENS6_8BFloat16ELi1ELi1ELi0EEEJPfiEEEvT_T0_DpT1_.num_vgpr, 18
	.set _ZN2at6native12_GLOBAL__N_125multi_tensor_apply_kernelINS1_18TensorListMetadataILi1EEENS0_13LpNormFunctorIN3c104HalfELNS0_8NormTypeE2ENS6_8BFloat16ELi1ELi1ELi0EEEJPfiEEEvT_T0_DpT1_.num_agpr, 0
	.set _ZN2at6native12_GLOBAL__N_125multi_tensor_apply_kernelINS1_18TensorListMetadataILi1EEENS0_13LpNormFunctorIN3c104HalfELNS0_8NormTypeE2ENS6_8BFloat16ELi1ELi1ELi0EEEJPfiEEEvT_T0_DpT1_.numbered_sgpr, 14
	.set _ZN2at6native12_GLOBAL__N_125multi_tensor_apply_kernelINS1_18TensorListMetadataILi1EEENS0_13LpNormFunctorIN3c104HalfELNS0_8NormTypeE2ENS6_8BFloat16ELi1ELi1ELi0EEEJPfiEEEvT_T0_DpT1_.num_named_barrier, 0
	.set _ZN2at6native12_GLOBAL__N_125multi_tensor_apply_kernelINS1_18TensorListMetadataILi1EEENS0_13LpNormFunctorIN3c104HalfELNS0_8NormTypeE2ENS6_8BFloat16ELi1ELi1ELi0EEEJPfiEEEvT_T0_DpT1_.private_seg_size, 0
	.set _ZN2at6native12_GLOBAL__N_125multi_tensor_apply_kernelINS1_18TensorListMetadataILi1EEENS0_13LpNormFunctorIN3c104HalfELNS0_8NormTypeE2ENS6_8BFloat16ELi1ELi1ELi0EEEJPfiEEEvT_T0_DpT1_.uses_vcc, 1
	.set _ZN2at6native12_GLOBAL__N_125multi_tensor_apply_kernelINS1_18TensorListMetadataILi1EEENS0_13LpNormFunctorIN3c104HalfELNS0_8NormTypeE2ENS6_8BFloat16ELi1ELi1ELi0EEEJPfiEEEvT_T0_DpT1_.uses_flat_scratch, 0
	.set _ZN2at6native12_GLOBAL__N_125multi_tensor_apply_kernelINS1_18TensorListMetadataILi1EEENS0_13LpNormFunctorIN3c104HalfELNS0_8NormTypeE2ENS6_8BFloat16ELi1ELi1ELi0EEEJPfiEEEvT_T0_DpT1_.has_dyn_sized_stack, 0
	.set _ZN2at6native12_GLOBAL__N_125multi_tensor_apply_kernelINS1_18TensorListMetadataILi1EEENS0_13LpNormFunctorIN3c104HalfELNS0_8NormTypeE2ENS6_8BFloat16ELi1ELi1ELi0EEEJPfiEEEvT_T0_DpT1_.has_recursion, 0
	.set _ZN2at6native12_GLOBAL__N_125multi_tensor_apply_kernelINS1_18TensorListMetadataILi1EEENS0_13LpNormFunctorIN3c104HalfELNS0_8NormTypeE2ENS6_8BFloat16ELi1ELi1ELi0EEEJPfiEEEvT_T0_DpT1_.has_indirect_call, 0
	.section	.AMDGPU.csdata,"",@progbits
; Kernel info:
; codeLenInByte = 1396
; TotalNumSgprs: 16
; NumVgprs: 18
; ScratchSize: 0
; MemoryBound: 0
; FloatMode: 240
; IeeeMode: 1
; LDSByteSize: 2048 bytes/workgroup (compile time only)
; SGPRBlocks: 0
; VGPRBlocks: 1
; NumSGPRsForWavesPerEU: 16
; NumVGPRsForWavesPerEU: 18
; NamedBarCnt: 0
; Occupancy: 16
; WaveLimiterHint : 0
; COMPUTE_PGM_RSRC2:SCRATCH_EN: 0
; COMPUTE_PGM_RSRC2:USER_SGPR: 2
; COMPUTE_PGM_RSRC2:TRAP_HANDLER: 0
; COMPUTE_PGM_RSRC2:TGID_X_EN: 1
; COMPUTE_PGM_RSRC2:TGID_Y_EN: 0
; COMPUTE_PGM_RSRC2:TGID_Z_EN: 0
; COMPUTE_PGM_RSRC2:TIDIG_COMP_CNT: 0
	.section	.text._ZN2at6native12_GLOBAL__N_125multi_tensor_apply_kernelINS1_18TensorListMetadataILi1EEENS0_13LpNormFunctorIN3c104HalfELNS0_8NormTypeE3ENS6_8BFloat16ELi1ELi1ELi0EEEJPfiEEEvT_T0_DpT1_,"axG",@progbits,_ZN2at6native12_GLOBAL__N_125multi_tensor_apply_kernelINS1_18TensorListMetadataILi1EEENS0_13LpNormFunctorIN3c104HalfELNS0_8NormTypeE3ENS6_8BFloat16ELi1ELi1ELi0EEEJPfiEEEvT_T0_DpT1_,comdat
	.globl	_ZN2at6native12_GLOBAL__N_125multi_tensor_apply_kernelINS1_18TensorListMetadataILi1EEENS0_13LpNormFunctorIN3c104HalfELNS0_8NormTypeE3ENS6_8BFloat16ELi1ELi1ELi0EEEJPfiEEEvT_T0_DpT1_ ; -- Begin function _ZN2at6native12_GLOBAL__N_125multi_tensor_apply_kernelINS1_18TensorListMetadataILi1EEENS0_13LpNormFunctorIN3c104HalfELNS0_8NormTypeE3ENS6_8BFloat16ELi1ELi1ELi0EEEJPfiEEEvT_T0_DpT1_
	.p2align	8
	.type	_ZN2at6native12_GLOBAL__N_125multi_tensor_apply_kernelINS1_18TensorListMetadataILi1EEENS0_13LpNormFunctorIN3c104HalfELNS0_8NormTypeE3ENS6_8BFloat16ELi1ELi1ELi0EEEJPfiEEEvT_T0_DpT1_,@function
_ZN2at6native12_GLOBAL__N_125multi_tensor_apply_kernelINS1_18TensorListMetadataILi1EEENS0_13LpNormFunctorIN3c104HalfELNS0_8NormTypeE3ENS6_8BFloat16ELi1ELi1ELi0EEEJPfiEEEvT_T0_DpT1_: ; @_ZN2at6native12_GLOBAL__N_125multi_tensor_apply_kernelINS1_18TensorListMetadataILi1EEENS0_13LpNormFunctorIN3c104HalfELNS0_8NormTypeE3ENS6_8BFloat16ELi1ELi1ELi0EEEJPfiEEEvT_T0_DpT1_
; %bb.0:
	s_bfe_u32 s2, ttmp6, 0x4000c
	s_and_b32 s3, ttmp6, 15
	s_add_co_i32 s2, s2, 1
	s_getreg_b32 s4, hwreg(HW_REG_IB_STS2, 6, 4)
	s_mul_i32 s2, ttmp9, s2
	s_delay_alu instid0(SALU_CYCLE_1)
	s_add_co_i32 s3, s3, s2
	s_cmp_eq_u32 s4, 0
	s_cselect_b32 s2, ttmp9, s3
	s_mov_b32 s3, 0
	v_mov_b32_e32 v1, s2
	s_add_nc_u64 s[4:5], s[0:1], s[2:3]
	s_mul_u64 s[6:7], s[2:3], 3
	s_delay_alu instid0(SALU_CYCLE_1) | instskip(SKIP_4) | instid1(SALU_CYCLE_1)
	s_add_nc_u64 s[4:5], s[4:5], s[6:7]
	global_load_u8 v15, v1, s[0:1] offset:1760
	s_load_b32 s10, s[4:5], 0x820
	s_wait_kmcnt 0x0
	s_ashr_i32 s11, s10, 31
	s_lshl_b64 s[8:9], s[10:11], 17
	s_lshl_b64 s[12:13], s[10:11], 16
	s_wait_loadcnt 0x0
	v_readfirstlane_b32 s2, v15
	s_and_b32 s2, s2, 0xff
	s_clause 0x1
	s_load_b64 s[4:5], s[0:1], s2 offset:0x0 scale_offset
	s_load_b64 s[6:7], s[0:1], s2 offset:0x370 scale_offset
	s_wait_kmcnt 0x0
	s_add_nc_u64 s[4:5], s[4:5], s[8:9]
	s_and_b32 s2, s6, 3
	s_and_b64 s[8:9], s[4:5], 7
	s_sub_nc_u64 s[6:7], s[6:7], s[12:13]
	s_or_b64 s[8:9], s[2:3], s[8:9]
	s_delay_alu instid0(SALU_CYCLE_1)
	s_cmp_eq_u64 s[8:9], 0
	s_cbranch_scc1 .LBB111_12
; %bb.1:
	v_cmp_lt_i64_e64 s2, s[6:7], 1
	s_and_b32 vcc_lo, exec_lo, s2
	s_cbranch_vccnz .LBB111_28
; %bb.2:
	s_load_b32 s2, s[0:1], 0xd4c
	v_min_i64 v[10:11], 0x10000, s[6:7]
	s_mov_b32 s9, 0
	s_mov_b64 s[12:13], 0
	s_wait_kmcnt 0x0
	s_and_b32 s2, s2, 0xffff
	s_delay_alu instid0(SALU_CYCLE_1) | instskip(SKIP_3) | instid1(VALU_DEP_3)
	v_dual_mov_b32 v7, 0 :: v_dual_add_nc_u32 v16, s2, v0
	v_mad_u32 v12, s2, 3, v0
	v_lshl_add_u32 v14, s2, 1, v0
	s_lshl_b32 s8, s2, 2
	v_dual_mov_b32 v6, v7 :: v_dual_mov_b32 v8, v7
	v_mov_b32_e32 v9, v7
	s_delay_alu instid0(VALU_DEP_2) | instskip(NEXT) | instid1(VALU_DEP_2)
	v_mov_b64_e32 v[2:3], v[6:7]
	v_mov_b64_e32 v[4:5], v[8:9]
	s_branch .LBB111_4
.LBB111_3:                              ;   in Loop: Header=BB111_4 Depth=1
	s_or_b32 exec_lo, exec_lo, s11
	s_add_nc_u64 s[12:13], s[12:13], s[8:9]
	s_delay_alu instid0(SALU_CYCLE_1)
	v_cmp_lt_i64_e32 vcc_lo, s[12:13], v[10:11]
	s_cbranch_vccz .LBB111_13
.LBB111_4:                              ; =>This Inner Loop Header: Depth=1
	v_add_nc_u32_e32 v6, s12, v0
	s_delay_alu instid0(VALU_DEP_1) | instskip(SKIP_2) | instid1(SALU_CYCLE_1)
	v_cmp_gt_i64_e32 vcc_lo, s[6:7], v[6:7]
	v_cmp_gt_u32_e64 s2, 0x10000, v6
	s_and_b32 s2, s2, vcc_lo
	s_and_saveexec_b32 s11, s2
	s_cbranch_execz .LBB111_6
; %bb.5:                                ;   in Loop: Header=BB111_4 Depth=1
	v_lshl_add_u64 v[8:9], v[6:7], 1, s[4:5]
	global_load_u16 v1, v[8:9], off
	s_wait_loadcnt 0x0
	v_cvt_f32_f16_e64 v6, |v1|
	v_cmp_u_f16_e32 vcc_lo, v1, v1
	s_delay_alu instid0(VALU_DEP_2)
	v_cmp_lt_f32_e64 s2, v2, v6
	s_or_b32 vcc_lo, vcc_lo, s2
	v_cndmask_b32_e32 v2, v2, v6, vcc_lo
.LBB111_6:                              ;   in Loop: Header=BB111_4 Depth=1
	s_or_b32 exec_lo, exec_lo, s11
	v_add_nc_u32_e32 v6, s12, v16
	s_delay_alu instid0(VALU_DEP_1) | instskip(SKIP_2) | instid1(SALU_CYCLE_1)
	v_cmp_gt_i64_e32 vcc_lo, s[6:7], v[6:7]
	v_cmp_gt_u32_e64 s2, 0x10000, v6
	s_and_b32 s2, s2, vcc_lo
	s_and_saveexec_b32 s11, s2
	s_cbranch_execz .LBB111_8
; %bb.7:                                ;   in Loop: Header=BB111_4 Depth=1
	v_lshl_add_u64 v[8:9], v[6:7], 1, s[4:5]
	global_load_u16 v1, v[8:9], off
	s_wait_loadcnt 0x0
	v_cvt_f32_f16_e64 v6, |v1|
	v_cmp_u_f16_e32 vcc_lo, v1, v1
	s_delay_alu instid0(VALU_DEP_2)
	v_cmp_lt_f32_e64 s2, v3, v6
	s_or_b32 vcc_lo, vcc_lo, s2
	v_cndmask_b32_e32 v3, v3, v6, vcc_lo
.LBB111_8:                              ;   in Loop: Header=BB111_4 Depth=1
	s_or_b32 exec_lo, exec_lo, s11
	v_add_nc_u32_e32 v6, s12, v14
	s_delay_alu instid0(VALU_DEP_1) | instskip(SKIP_2) | instid1(SALU_CYCLE_1)
	v_cmp_gt_i64_e32 vcc_lo, s[6:7], v[6:7]
	v_cmp_gt_u32_e64 s2, 0x10000, v6
	s_and_b32 s2, s2, vcc_lo
	s_and_saveexec_b32 s11, s2
	s_cbranch_execz .LBB111_10
; %bb.9:                                ;   in Loop: Header=BB111_4 Depth=1
	v_lshl_add_u64 v[8:9], v[6:7], 1, s[4:5]
	global_load_u16 v1, v[8:9], off
	s_wait_loadcnt 0x0
	v_cvt_f32_f16_e64 v6, |v1|
	v_cmp_u_f16_e32 vcc_lo, v1, v1
	s_delay_alu instid0(VALU_DEP_2)
	v_cmp_lt_f32_e64 s2, v4, v6
	s_or_b32 vcc_lo, vcc_lo, s2
	v_cndmask_b32_e32 v4, v4, v6, vcc_lo
.LBB111_10:                             ;   in Loop: Header=BB111_4 Depth=1
	s_or_b32 exec_lo, exec_lo, s11
	v_add_nc_u32_e32 v6, s12, v12
	s_delay_alu instid0(VALU_DEP_1) | instskip(SKIP_2) | instid1(SALU_CYCLE_1)
	v_cmp_gt_i64_e32 vcc_lo, s[6:7], v[6:7]
	v_cmp_gt_u32_e64 s2, 0x10000, v6
	s_and_b32 s2, s2, vcc_lo
	s_and_saveexec_b32 s11, s2
	s_cbranch_execz .LBB111_3
; %bb.11:                               ;   in Loop: Header=BB111_4 Depth=1
	v_lshl_add_u64 v[8:9], v[6:7], 1, s[4:5]
	global_load_u16 v1, v[8:9], off
	s_wait_loadcnt 0x0
	v_cvt_f32_f16_e64 v6, |v1|
	v_cmp_u_f16_e32 vcc_lo, v1, v1
	s_delay_alu instid0(VALU_DEP_2)
	v_cmp_lt_f32_e64 s2, v5, v6
	s_or_b32 vcc_lo, vcc_lo, s2
	v_cndmask_b32_e32 v5, v5, v6, vcc_lo
	s_branch .LBB111_3
.LBB111_12:
	s_mov_b32 s3, -1
                                        ; implicit-def: $vgpr2_vgpr3_vgpr4_vgpr5
.LBB111_13:
	s_delay_alu instid0(SALU_CYCLE_1)
	s_and_not1_b32 vcc_lo, exec_lo, s3
	s_cbranch_vccnz .LBB111_19
.LBB111_14:
	v_min_i64 v[8:9], 0x10000, s[6:7]
	v_dual_mov_b32 v3, 0 :: v_dual_lshlrev_b32 v2, 2, v0
	s_mov_b32 s13, 0
	s_delay_alu instid0(VALU_DEP_1) | instskip(NEXT) | instid1(VALU_DEP_2)
	v_dual_mov_b32 v5, v3 :: v_dual_mov_b32 v4, v3
	v_cmp_lt_i64_e32 vcc_lo, v[2:3], v[8:9]
	v_mov_b32_e32 v2, v3
	s_and_saveexec_b32 s9, vcc_lo
	s_cbranch_execz .LBB111_18
; %bb.15:
	s_load_b32 s2, s[0:1], 0xd4c
	v_dual_mov_b32 v1, v3 :: v_dual_lshlrev_b32 v2, 3, v0
	v_dual_mov_b32 v5, 0 :: v_dual_mov_b32 v6, 0
	v_mov_b32_e32 v7, 0
	s_delay_alu instid0(VALU_DEP_3) | instskip(NEXT) | instid1(VALU_DEP_4)
	v_add_nc_u64_e32 v[10:11], s[4:5], v[2:3]
	v_mov_b64_e32 v[12:13], v[0:1]
	s_mov_b32 s15, s13
	s_mov_b32 s11, s13
	s_delay_alu instid0(VALU_DEP_2) | instskip(SKIP_2) | instid1(SALU_CYCLE_1)
	v_add_nc_u64_e32 v[10:11], 4, v[10:11]
	s_wait_kmcnt 0x0
	s_and_b32 s12, s2, 0xffff
	s_lshl_b32 s14, s12, 3
.LBB111_16:                             ; =>This Inner Loop Header: Depth=1
	global_load_b64 v[16:17], v[10:11], off offset:-4
	v_add_nc_u64_e32 v[12:13], s[12:13], v[12:13]
	s_wait_xcnt 0x0
	v_add_nc_u64_e32 v[10:11], s[14:15], v[10:11]
	s_delay_alu instid0(VALU_DEP_2) | instskip(NEXT) | instid1(VALU_DEP_1)
	v_lshlrev_b64_e32 v[18:19], 2, v[12:13]
	v_cmp_ge_i64_e32 vcc_lo, v[18:19], v[8:9]
	s_wait_loadcnt 0x0
	v_dual_lshrrev_b32 v1, 16, v16 :: v_dual_lshrrev_b32 v4, 16, v17
	v_cvt_f32_f16_e64 v2, |v16|
	v_cvt_f32_f16_e64 v14, |v17|
	v_cmp_u_f16_e64 s2, v16, v16
	s_delay_alu instid0(VALU_DEP_4)
	v_cvt_f32_f16_e64 v16, |v1|
	v_cmp_u_f16_e64 s3, v17, v17
	v_cmp_lt_f32_e64 s4, v3, v2
	v_cmp_lt_f32_e64 s6, v6, v14
	v_cmp_u_f16_e64 s5, v1, v1
	v_cvt_f32_f16_e64 v1, |v4|
	v_cmp_lt_f32_e64 s8, v5, v16
	s_or_b32 s2, s2, s4
	s_or_b32 s3, s3, s6
	v_cmp_u_f16_e64 s7, v4, v4
	v_cndmask_b32_e64 v6, v6, v14, s3
	s_or_b32 s3, s5, s8
	s_delay_alu instid0(SALU_CYCLE_1)
	v_dual_cndmask_b32 v3, v3, v2, s2 :: v_dual_cndmask_b32 v5, v5, v16, s3
	v_cmp_lt_f32_e64 s2, v7, v1
	s_or_b32 s2, s7, s2
	s_or_b32 s11, vcc_lo, s11
	v_cndmask_b32_e64 v7, v7, v1, s2
	s_and_not1_b32 exec_lo, exec_lo, s11
	s_cbranch_execnz .LBB111_16
; %bb.17:
	s_or_b32 exec_lo, exec_lo, s11
	v_mov_b32_e32 v4, v3
	s_delay_alu instid0(VALU_DEP_1)
	v_mov_b64_e32 v[2:3], v[4:5]
	v_mov_b64_e32 v[4:5], v[6:7]
.LBB111_18:
	s_or_b32 exec_lo, exec_lo, s9
.LBB111_19:
	s_delay_alu instid0(VALU_DEP_1)
	v_cmp_nge_f32_e32 vcc_lo, 0, v2
	v_mbcnt_lo_u32_b32 v6, -1, 0
	s_barrier_signal -1
	s_barrier_wait -1
	v_cndmask_b32_e32 v1, 0, v2, vcc_lo
	v_cmp_u_f32_e32 vcc_lo, v3, v3
	v_cmp_ne_u32_e64 s3, 31, v6
	s_delay_alu instid0(VALU_DEP_3) | instskip(NEXT) | instid1(VALU_DEP_2)
	v_cmp_lt_f32_e64 s2, v1, v3
	v_add_co_ci_u32_e64 v8, null, 0, v6, s3
	s_mov_b32 s3, exec_lo
	s_or_b32 vcc_lo, vcc_lo, s2
	v_cndmask_b32_e32 v1, v1, v3, vcc_lo
	v_cmp_u_f32_e32 vcc_lo, v4, v4
	s_delay_alu instid0(VALU_DEP_2) | instskip(SKIP_4) | instid1(VALU_DEP_3)
	v_cmp_lt_f32_e64 s2, v1, v4
	s_or_b32 vcc_lo, vcc_lo, s2
	v_cndmask_b32_e32 v2, v1, v4, vcc_lo
	v_cmp_u_f32_e32 vcc_lo, v5, v5
	v_lshl_or_b32 v1, v6, 2, 64
	v_cmp_lt_f32_e64 s2, v2, v5
	s_or_b32 vcc_lo, vcc_lo, s2
	v_cndmask_b32_e32 v3, v2, v5, vcc_lo
	v_cmp_gt_u32_e32 vcc_lo, 24, v6
	ds_bpermute_b32 v4, v1, v3
	v_cndmask_b32_e64 v2, 0, 8, vcc_lo
	s_delay_alu instid0(VALU_DEP_1)
	v_add_lshl_u32 v2, v2, v6, 2
	s_wait_dscnt 0x0
	v_cmp_u_f32_e32 vcc_lo, v4, v4
	v_cmp_lt_f32_e64 s2, v3, v4
	s_or_b32 vcc_lo, vcc_lo, s2
	v_cndmask_b32_e32 v4, v3, v4, vcc_lo
	v_cmp_gt_u32_e32 vcc_lo, 28, v6
	ds_bpermute_b32 v5, v2, v4
	v_cndmask_b32_e64 v3, 0, 4, vcc_lo
	s_delay_alu instid0(VALU_DEP_1)
	v_add_lshl_u32 v3, v3, v6, 2
	s_wait_dscnt 0x0
	v_cmp_u_f32_e32 vcc_lo, v5, v5
	;; [unrolled: 10-line block ×3, first 2 shown]
	v_cmp_lt_f32_e64 s2, v5, v7
	s_or_b32 vcc_lo, vcc_lo, s2
	v_cndmask_b32_e32 v5, v5, v7, vcc_lo
	ds_bpermute_b32 v7, v4, v5
	s_wait_dscnt 0x0
	v_cmp_u_f32_e32 vcc_lo, v7, v7
	v_cmp_lt_f32_e64 s2, v5, v7
	s_or_b32 vcc_lo, vcc_lo, s2
	v_dual_cndmask_b32 v6, v5, v7 :: v_dual_lshlrev_b32 v5, 2, v8
	v_and_b32_e32 v7, 31, v0
	ds_bpermute_b32 v8, v5, v6
	v_cmpx_eq_u32_e32 0, v7
	s_cbranch_execz .LBB111_21
; %bb.20:
	s_wait_dscnt 0x0
	v_cmp_u_f32_e32 vcc_lo, v8, v8
	v_cmp_lt_f32_e64 s2, v6, v8
	v_lshrrev_b32_e32 v9, 3, v0
	s_or_b32 vcc_lo, vcc_lo, s2
	v_cndmask_b32_e32 v6, v6, v8, vcc_lo
	ds_store_b32 v9, v6
.LBB111_21:
	s_or_b32 exec_lo, exec_lo, s3
	s_wait_dscnt 0x0
	s_barrier_signal -1
	s_barrier_wait -1
	s_load_b32 s2, s[0:1], 0xd4c
	v_mov_b32_e32 v6, 0xff7fffff
	s_wait_kmcnt 0x0
	s_bfe_u32 s2, s2, 0xb0005
	s_delay_alu instid0(SALU_CYCLE_1)
	v_cmp_gt_u32_e32 vcc_lo, s2, v0
	s_and_saveexec_b32 s2, vcc_lo
; %bb.22:
	v_lshlrev_b32_e32 v6, 2, v7
	ds_load_b32 v6, v6
; %bb.23:
	s_or_b32 exec_lo, exec_lo, s2
	s_delay_alu instid0(SALU_CYCLE_1)
	s_mov_b32 s3, exec_lo
	v_cmpx_gt_u32_e32 32, v0
	s_cbranch_execz .LBB111_25
; %bb.24:
	s_wait_dscnt 0x0
	ds_bpermute_b32 v1, v1, v6
	s_wait_dscnt 0x0
	v_cmp_u_f32_e32 vcc_lo, v1, v1
	v_cmp_lt_f32_e64 s2, v6, v1
	s_or_b32 vcc_lo, vcc_lo, s2
	v_cndmask_b32_e32 v1, v6, v1, vcc_lo
	ds_bpermute_b32 v2, v2, v1
	s_wait_dscnt 0x0
	v_cmp_u_f32_e32 vcc_lo, v2, v2
	v_cmp_lt_f32_e64 s2, v1, v2
	s_or_b32 vcc_lo, vcc_lo, s2
	v_cndmask_b32_e32 v1, v1, v2, vcc_lo
	;; [unrolled: 6-line block ×5, first 2 shown]
.LBB111_25:
	s_or_b32 exec_lo, exec_lo, s3
	s_delay_alu instid0(SALU_CYCLE_1)
	s_mov_b32 s2, exec_lo
	v_cmpx_eq_u32_e32 0, v0
	s_cbranch_execz .LBB111_27
; %bb.26:
	s_clause 0x1
	s_load_b32 s2, s[0:1], 0xd20
	s_load_b96 s[4:6], s[0:1], 0xd30
	v_and_b32_e32 v0, 0xff, v15
	s_wait_kmcnt 0x0
	s_delay_alu instid0(VALU_DEP_1) | instskip(NEXT) | instid1(VALU_DEP_1)
	v_add_nc_u32_e32 v0, s2, v0
	v_mul_lo_u32 v0, v0, s6
	s_delay_alu instid0(VALU_DEP_1)
	v_add_nc_u32_e32 v0, s10, v0
	s_wait_dscnt 0x0
	global_store_b32 v0, v6, s[4:5] scale_offset
.LBB111_27:
	s_endpgm
.LBB111_28:
	v_mov_b32_e32 v2, 0
	s_delay_alu instid0(VALU_DEP_1)
	v_dual_mov_b32 v3, v2 :: v_dual_mov_b32 v4, v2
	v_mov_b32_e32 v5, v2
	s_and_not1_b32 vcc_lo, exec_lo, s3
	s_cbranch_vccz .LBB111_14
	s_branch .LBB111_19
	.section	.rodata,"a",@progbits
	.p2align	6, 0x0
	.amdhsa_kernel _ZN2at6native12_GLOBAL__N_125multi_tensor_apply_kernelINS1_18TensorListMetadataILi1EEENS0_13LpNormFunctorIN3c104HalfELNS0_8NormTypeE3ENS6_8BFloat16ELi1ELi1ELi0EEEJPfiEEEvT_T0_DpT1_
		.amdhsa_group_segment_fixed_size 2048
		.amdhsa_private_segment_fixed_size 0
		.amdhsa_kernarg_size 3648
		.amdhsa_user_sgpr_count 2
		.amdhsa_user_sgpr_dispatch_ptr 0
		.amdhsa_user_sgpr_queue_ptr 0
		.amdhsa_user_sgpr_kernarg_segment_ptr 1
		.amdhsa_user_sgpr_dispatch_id 0
		.amdhsa_user_sgpr_kernarg_preload_length 0
		.amdhsa_user_sgpr_kernarg_preload_offset 0
		.amdhsa_user_sgpr_private_segment_size 0
		.amdhsa_wavefront_size32 1
		.amdhsa_uses_dynamic_stack 0
		.amdhsa_enable_private_segment 0
		.amdhsa_system_sgpr_workgroup_id_x 1
		.amdhsa_system_sgpr_workgroup_id_y 0
		.amdhsa_system_sgpr_workgroup_id_z 0
		.amdhsa_system_sgpr_workgroup_info 0
		.amdhsa_system_vgpr_workitem_id 0
		.amdhsa_next_free_vgpr 20
		.amdhsa_next_free_sgpr 16
		.amdhsa_named_barrier_count 0
		.amdhsa_reserve_vcc 1
		.amdhsa_float_round_mode_32 0
		.amdhsa_float_round_mode_16_64 0
		.amdhsa_float_denorm_mode_32 3
		.amdhsa_float_denorm_mode_16_64 3
		.amdhsa_fp16_overflow 0
		.amdhsa_memory_ordered 1
		.amdhsa_forward_progress 1
		.amdhsa_inst_pref_size 15
		.amdhsa_round_robin_scheduling 0
		.amdhsa_exception_fp_ieee_invalid_op 0
		.amdhsa_exception_fp_denorm_src 0
		.amdhsa_exception_fp_ieee_div_zero 0
		.amdhsa_exception_fp_ieee_overflow 0
		.amdhsa_exception_fp_ieee_underflow 0
		.amdhsa_exception_fp_ieee_inexact 0
		.amdhsa_exception_int_div_zero 0
	.end_amdhsa_kernel
	.section	.text._ZN2at6native12_GLOBAL__N_125multi_tensor_apply_kernelINS1_18TensorListMetadataILi1EEENS0_13LpNormFunctorIN3c104HalfELNS0_8NormTypeE3ENS6_8BFloat16ELi1ELi1ELi0EEEJPfiEEEvT_T0_DpT1_,"axG",@progbits,_ZN2at6native12_GLOBAL__N_125multi_tensor_apply_kernelINS1_18TensorListMetadataILi1EEENS0_13LpNormFunctorIN3c104HalfELNS0_8NormTypeE3ENS6_8BFloat16ELi1ELi1ELi0EEEJPfiEEEvT_T0_DpT1_,comdat
.Lfunc_end111:
	.size	_ZN2at6native12_GLOBAL__N_125multi_tensor_apply_kernelINS1_18TensorListMetadataILi1EEENS0_13LpNormFunctorIN3c104HalfELNS0_8NormTypeE3ENS6_8BFloat16ELi1ELi1ELi0EEEJPfiEEEvT_T0_DpT1_, .Lfunc_end111-_ZN2at6native12_GLOBAL__N_125multi_tensor_apply_kernelINS1_18TensorListMetadataILi1EEENS0_13LpNormFunctorIN3c104HalfELNS0_8NormTypeE3ENS6_8BFloat16ELi1ELi1ELi0EEEJPfiEEEvT_T0_DpT1_
                                        ; -- End function
	.set _ZN2at6native12_GLOBAL__N_125multi_tensor_apply_kernelINS1_18TensorListMetadataILi1EEENS0_13LpNormFunctorIN3c104HalfELNS0_8NormTypeE3ENS6_8BFloat16ELi1ELi1ELi0EEEJPfiEEEvT_T0_DpT1_.num_vgpr, 20
	.set _ZN2at6native12_GLOBAL__N_125multi_tensor_apply_kernelINS1_18TensorListMetadataILi1EEENS0_13LpNormFunctorIN3c104HalfELNS0_8NormTypeE3ENS6_8BFloat16ELi1ELi1ELi0EEEJPfiEEEvT_T0_DpT1_.num_agpr, 0
	.set _ZN2at6native12_GLOBAL__N_125multi_tensor_apply_kernelINS1_18TensorListMetadataILi1EEENS0_13LpNormFunctorIN3c104HalfELNS0_8NormTypeE3ENS6_8BFloat16ELi1ELi1ELi0EEEJPfiEEEvT_T0_DpT1_.numbered_sgpr, 16
	.set _ZN2at6native12_GLOBAL__N_125multi_tensor_apply_kernelINS1_18TensorListMetadataILi1EEENS0_13LpNormFunctorIN3c104HalfELNS0_8NormTypeE3ENS6_8BFloat16ELi1ELi1ELi0EEEJPfiEEEvT_T0_DpT1_.num_named_barrier, 0
	.set _ZN2at6native12_GLOBAL__N_125multi_tensor_apply_kernelINS1_18TensorListMetadataILi1EEENS0_13LpNormFunctorIN3c104HalfELNS0_8NormTypeE3ENS6_8BFloat16ELi1ELi1ELi0EEEJPfiEEEvT_T0_DpT1_.private_seg_size, 0
	.set _ZN2at6native12_GLOBAL__N_125multi_tensor_apply_kernelINS1_18TensorListMetadataILi1EEENS0_13LpNormFunctorIN3c104HalfELNS0_8NormTypeE3ENS6_8BFloat16ELi1ELi1ELi0EEEJPfiEEEvT_T0_DpT1_.uses_vcc, 1
	.set _ZN2at6native12_GLOBAL__N_125multi_tensor_apply_kernelINS1_18TensorListMetadataILi1EEENS0_13LpNormFunctorIN3c104HalfELNS0_8NormTypeE3ENS6_8BFloat16ELi1ELi1ELi0EEEJPfiEEEvT_T0_DpT1_.uses_flat_scratch, 0
	.set _ZN2at6native12_GLOBAL__N_125multi_tensor_apply_kernelINS1_18TensorListMetadataILi1EEENS0_13LpNormFunctorIN3c104HalfELNS0_8NormTypeE3ENS6_8BFloat16ELi1ELi1ELi0EEEJPfiEEEvT_T0_DpT1_.has_dyn_sized_stack, 0
	.set _ZN2at6native12_GLOBAL__N_125multi_tensor_apply_kernelINS1_18TensorListMetadataILi1EEENS0_13LpNormFunctorIN3c104HalfELNS0_8NormTypeE3ENS6_8BFloat16ELi1ELi1ELi0EEEJPfiEEEvT_T0_DpT1_.has_recursion, 0
	.set _ZN2at6native12_GLOBAL__N_125multi_tensor_apply_kernelINS1_18TensorListMetadataILi1EEENS0_13LpNormFunctorIN3c104HalfELNS0_8NormTypeE3ENS6_8BFloat16ELi1ELi1ELi0EEEJPfiEEEvT_T0_DpT1_.has_indirect_call, 0
	.section	.AMDGPU.csdata,"",@progbits
; Kernel info:
; codeLenInByte = 1836
; TotalNumSgprs: 18
; NumVgprs: 20
; ScratchSize: 0
; MemoryBound: 0
; FloatMode: 240
; IeeeMode: 1
; LDSByteSize: 2048 bytes/workgroup (compile time only)
; SGPRBlocks: 0
; VGPRBlocks: 1
; NumSGPRsForWavesPerEU: 18
; NumVGPRsForWavesPerEU: 20
; NamedBarCnt: 0
; Occupancy: 16
; WaveLimiterHint : 0
; COMPUTE_PGM_RSRC2:SCRATCH_EN: 0
; COMPUTE_PGM_RSRC2:USER_SGPR: 2
; COMPUTE_PGM_RSRC2:TRAP_HANDLER: 0
; COMPUTE_PGM_RSRC2:TGID_X_EN: 1
; COMPUTE_PGM_RSRC2:TGID_Y_EN: 0
; COMPUTE_PGM_RSRC2:TGID_Z_EN: 0
; COMPUTE_PGM_RSRC2:TIDIG_COMP_CNT: 0
	.section	.text._ZN2at6native14lpnorm_cleanupIN3c104HalfELNS0_8NormTypeE0ENS2_8BFloat16ELb1EfEEvPKT3_NS0_19TensorListAddressesEi,"axG",@progbits,_ZN2at6native14lpnorm_cleanupIN3c104HalfELNS0_8NormTypeE0ENS2_8BFloat16ELb1EfEEvPKT3_NS0_19TensorListAddressesEi,comdat
	.protected	_ZN2at6native14lpnorm_cleanupIN3c104HalfELNS0_8NormTypeE0ENS2_8BFloat16ELb1EfEEvPKT3_NS0_19TensorListAddressesEi ; -- Begin function _ZN2at6native14lpnorm_cleanupIN3c104HalfELNS0_8NormTypeE0ENS2_8BFloat16ELb1EfEEvPKT3_NS0_19TensorListAddressesEi
	.globl	_ZN2at6native14lpnorm_cleanupIN3c104HalfELNS0_8NormTypeE0ENS2_8BFloat16ELb1EfEEvPKT3_NS0_19TensorListAddressesEi
	.p2align	8
	.type	_ZN2at6native14lpnorm_cleanupIN3c104HalfELNS0_8NormTypeE0ENS2_8BFloat16ELb1EfEEvPKT3_NS0_19TensorListAddressesEi,@function
_ZN2at6native14lpnorm_cleanupIN3c104HalfELNS0_8NormTypeE0ENS2_8BFloat16ELb1EfEEvPKT3_NS0_19TensorListAddressesEi: ; @_ZN2at6native14lpnorm_cleanupIN3c104HalfELNS0_8NormTypeE0ENS2_8BFloat16ELb1EfEEvPKT3_NS0_19TensorListAddressesEi
; %bb.0:
	s_load_b32 s2, s[0:1], 0xc88
	s_bfe_u32 s3, ttmp6, 0x4000c
	s_and_b32 s4, ttmp6, 15
	s_add_co_i32 s3, s3, 1
	s_getreg_b32 s5, hwreg(HW_REG_IB_STS2, 6, 4)
	s_mul_i32 s3, ttmp9, s3
	v_mov_b32_e32 v1, 0
	s_add_co_i32 s4, s4, s3
	s_cmp_eq_u32 s5, 0
	s_mov_b32 s5, 0
	s_cselect_b32 s8, ttmp9, s4
	s_mov_b32 s9, exec_lo
	s_wait_kmcnt 0x0
	v_cmpx_gt_u32_e64 s2, v0
	s_cbranch_execz .LBB112_4
; %bb.1:
	s_clause 0x1
	s_load_b64 s[6:7], s[0:1], 0x0
	s_load_b32 s4, s[0:1], 0xc9c
	v_dual_mov_b32 v1, 0 :: v_dual_lshlrev_b32 v2, 2, v0
	s_mul_i32 s10, s2, s8
	s_mov_b32 s11, s5
	s_ashr_i32 s3, s2, 31
	s_delay_alu instid0(VALU_DEP_1)
	v_mov_b32_e32 v3, v1
	s_lshl_b64 s[10:11], s[10:11], 2
	v_mov_b64_e32 v[4:5], v[0:1]
	s_wait_kmcnt 0x0
	s_add_nc_u64 s[6:7], s[6:7], s[10:11]
	s_and_b32 s4, s4, 0xffff
	v_add_nc_u64_e32 v[2:3], s[6:7], v[2:3]
	s_lshl_b32 s6, s4, 2
	s_mov_b32 s7, s5
	s_mov_b32 s10, s5
.LBB112_2:                              ; =>This Inner Loop Header: Depth=1
	global_load_b32 v6, v[2:3], off
	v_add_nc_u64_e32 v[4:5], s[4:5], v[4:5]
	s_wait_xcnt 0x0
	v_add_nc_u64_e32 v[2:3], s[6:7], v[2:3]
	s_delay_alu instid0(VALU_DEP_2)
	v_cmp_le_u64_e32 vcc_lo, s[2:3], v[4:5]
	s_or_b32 s10, vcc_lo, s10
	s_wait_loadcnt 0x0
	v_add_f32_e32 v1, v1, v6
	s_and_not1_b32 exec_lo, exec_lo, s10
	s_cbranch_execnz .LBB112_2
; %bb.3:
	s_or_b32 exec_lo, exec_lo, s10
.LBB112_4:
	s_delay_alu instid0(SALU_CYCLE_1) | instskip(SKIP_4) | instid1(VALU_DEP_1)
	s_or_b32 exec_lo, exec_lo, s9
	v_mbcnt_lo_u32_b32 v5, -1, 0
	s_mov_b32 s2, exec_lo
	s_barrier_signal -1
	s_barrier_wait -1
	v_lshl_or_b32 v2, v5, 2, 64
	v_cmp_gt_u32_e32 vcc_lo, 24, v5
	ds_bpermute_b32 v4, v2, v1
	v_cndmask_b32_e64 v3, 0, 8, vcc_lo
	v_cmp_gt_u32_e32 vcc_lo, 28, v5
	s_delay_alu instid0(VALU_DEP_2)
	v_add_lshl_u32 v3, v3, v5, 2
	s_wait_dscnt 0x0
	v_add_f32_e32 v4, v1, v4
	v_cndmask_b32_e64 v1, 0, 4, vcc_lo
	v_cmp_gt_u32_e32 vcc_lo, 30, v5
	ds_bpermute_b32 v6, v3, v4
	v_add_lshl_u32 v1, v1, v5, 2
	s_wait_dscnt 0x0
	v_add_f32_e32 v6, v4, v6
	v_cndmask_b32_e64 v4, 0, 2, vcc_lo
	v_cmp_ne_u32_e32 vcc_lo, 31, v5
	s_delay_alu instid0(VALU_DEP_2) | instskip(SKIP_1) | instid1(VALU_DEP_1)
	v_add_lshl_u32 v4, v4, v5, 2
	v_add_co_ci_u32_e64 v5, null, 0, v5, vcc_lo
	v_lshlrev_b32_e32 v5, 2, v5
	ds_bpermute_b32 v7, v1, v6
	s_wait_dscnt 0x0
	v_add_f32_e32 v6, v6, v7
	ds_bpermute_b32 v7, v4, v6
	s_wait_dscnt 0x0
	v_dual_add_f32 v6, v6, v7 :: v_dual_bitop2_b32 v7, 31, v0 bitop3:0x40
	ds_bpermute_b32 v8, v5, v6
	v_cmpx_eq_u32_e32 0, v7
	s_cbranch_execz .LBB112_6
; %bb.5:
	s_wait_dscnt 0x0
	v_add_f32_e32 v6, v6, v8
	v_lshrrev_b32_e32 v8, 3, v0
	ds_store_b32 v8, v6
.LBB112_6:
	s_or_b32 exec_lo, exec_lo, s2
	s_wait_dscnt 0x0
	s_barrier_signal -1
	s_barrier_wait -1
	s_load_b32 s2, s[0:1], 0xc9c
	v_mov_b32_e32 v6, 0
	s_wait_kmcnt 0x0
	s_bfe_u32 s2, s2, 0xb0005
	s_delay_alu instid0(SALU_CYCLE_1)
	v_cmp_gt_u32_e32 vcc_lo, s2, v0
	s_and_saveexec_b32 s2, vcc_lo
; %bb.7:
	v_lshlrev_b32_e32 v6, 2, v7
	ds_load_b32 v6, v6
; %bb.8:
	s_or_b32 exec_lo, exec_lo, s2
	s_delay_alu instid0(SALU_CYCLE_1)
	s_mov_b32 s2, exec_lo
	v_cmpx_gt_u32_e32 32, v0
	s_cbranch_execz .LBB112_10
; %bb.9:
	s_wait_dscnt 0x0
	ds_bpermute_b32 v2, v2, v6
	s_wait_dscnt 0x0
	v_add_f32_e32 v2, v6, v2
	ds_bpermute_b32 v3, v3, v2
	s_wait_dscnt 0x0
	v_add_f32_e32 v2, v2, v3
	;; [unrolled: 3-line block ×5, first 2 shown]
.LBB112_10:
	s_or_b32 exec_lo, exec_lo, s2
	s_delay_alu instid0(SALU_CYCLE_1)
	s_mov_b32 s2, exec_lo
	v_cmpx_eq_u32_e32 0, v0
	s_cbranch_execz .LBB112_12
; %bb.11:
	s_wait_dscnt 0x0
	v_bfe_u32 v0, v6, 16, 1
	s_load_b64 s[0:1], s[0:1], s8 offset:0x8 scale_offset
	v_cmp_o_f32_e32 vcc_lo, v6, v6
	v_mov_b32_e32 v1, 0
	s_delay_alu instid0(VALU_DEP_3) | instskip(NEXT) | instid1(VALU_DEP_1)
	v_add3_u32 v0, v6, v0, 0x7fff
	v_lshrrev_b32_e32 v0, 16, v0
	s_delay_alu instid0(VALU_DEP_1)
	v_cndmask_b32_e32 v0, 0x7fc0, v0, vcc_lo
	s_wait_kmcnt 0x0
	global_store_b16 v1, v0, s[0:1]
.LBB112_12:
	s_endpgm
	.section	.rodata,"a",@progbits
	.p2align	6, 0x0
	.amdhsa_kernel _ZN2at6native14lpnorm_cleanupIN3c104HalfELNS0_8NormTypeE0ENS2_8BFloat16ELb1EfEEvPKT3_NS0_19TensorListAddressesEi
		.amdhsa_group_segment_fixed_size 2048
		.amdhsa_private_segment_fixed_size 0
		.amdhsa_kernarg_size 3472
		.amdhsa_user_sgpr_count 2
		.amdhsa_user_sgpr_dispatch_ptr 0
		.amdhsa_user_sgpr_queue_ptr 0
		.amdhsa_user_sgpr_kernarg_segment_ptr 1
		.amdhsa_user_sgpr_dispatch_id 0
		.amdhsa_user_sgpr_kernarg_preload_length 0
		.amdhsa_user_sgpr_kernarg_preload_offset 0
		.amdhsa_user_sgpr_private_segment_size 0
		.amdhsa_wavefront_size32 1
		.amdhsa_uses_dynamic_stack 0
		.amdhsa_enable_private_segment 0
		.amdhsa_system_sgpr_workgroup_id_x 1
		.amdhsa_system_sgpr_workgroup_id_y 0
		.amdhsa_system_sgpr_workgroup_id_z 0
		.amdhsa_system_sgpr_workgroup_info 0
		.amdhsa_system_vgpr_workitem_id 0
		.amdhsa_next_free_vgpr 9
		.amdhsa_next_free_sgpr 12
		.amdhsa_named_barrier_count 0
		.amdhsa_reserve_vcc 1
		.amdhsa_float_round_mode_32 0
		.amdhsa_float_round_mode_16_64 0
		.amdhsa_float_denorm_mode_32 3
		.amdhsa_float_denorm_mode_16_64 3
		.amdhsa_fp16_overflow 0
		.amdhsa_memory_ordered 1
		.amdhsa_forward_progress 1
		.amdhsa_inst_pref_size 6
		.amdhsa_round_robin_scheduling 0
		.amdhsa_exception_fp_ieee_invalid_op 0
		.amdhsa_exception_fp_denorm_src 0
		.amdhsa_exception_fp_ieee_div_zero 0
		.amdhsa_exception_fp_ieee_overflow 0
		.amdhsa_exception_fp_ieee_underflow 0
		.amdhsa_exception_fp_ieee_inexact 0
		.amdhsa_exception_int_div_zero 0
	.end_amdhsa_kernel
	.section	.text._ZN2at6native14lpnorm_cleanupIN3c104HalfELNS0_8NormTypeE0ENS2_8BFloat16ELb1EfEEvPKT3_NS0_19TensorListAddressesEi,"axG",@progbits,_ZN2at6native14lpnorm_cleanupIN3c104HalfELNS0_8NormTypeE0ENS2_8BFloat16ELb1EfEEvPKT3_NS0_19TensorListAddressesEi,comdat
.Lfunc_end112:
	.size	_ZN2at6native14lpnorm_cleanupIN3c104HalfELNS0_8NormTypeE0ENS2_8BFloat16ELb1EfEEvPKT3_NS0_19TensorListAddressesEi, .Lfunc_end112-_ZN2at6native14lpnorm_cleanupIN3c104HalfELNS0_8NormTypeE0ENS2_8BFloat16ELb1EfEEvPKT3_NS0_19TensorListAddressesEi
                                        ; -- End function
	.set _ZN2at6native14lpnorm_cleanupIN3c104HalfELNS0_8NormTypeE0ENS2_8BFloat16ELb1EfEEvPKT3_NS0_19TensorListAddressesEi.num_vgpr, 9
	.set _ZN2at6native14lpnorm_cleanupIN3c104HalfELNS0_8NormTypeE0ENS2_8BFloat16ELb1EfEEvPKT3_NS0_19TensorListAddressesEi.num_agpr, 0
	.set _ZN2at6native14lpnorm_cleanupIN3c104HalfELNS0_8NormTypeE0ENS2_8BFloat16ELb1EfEEvPKT3_NS0_19TensorListAddressesEi.numbered_sgpr, 12
	.set _ZN2at6native14lpnorm_cleanupIN3c104HalfELNS0_8NormTypeE0ENS2_8BFloat16ELb1EfEEvPKT3_NS0_19TensorListAddressesEi.num_named_barrier, 0
	.set _ZN2at6native14lpnorm_cleanupIN3c104HalfELNS0_8NormTypeE0ENS2_8BFloat16ELb1EfEEvPKT3_NS0_19TensorListAddressesEi.private_seg_size, 0
	.set _ZN2at6native14lpnorm_cleanupIN3c104HalfELNS0_8NormTypeE0ENS2_8BFloat16ELb1EfEEvPKT3_NS0_19TensorListAddressesEi.uses_vcc, 1
	.set _ZN2at6native14lpnorm_cleanupIN3c104HalfELNS0_8NormTypeE0ENS2_8BFloat16ELb1EfEEvPKT3_NS0_19TensorListAddressesEi.uses_flat_scratch, 0
	.set _ZN2at6native14lpnorm_cleanupIN3c104HalfELNS0_8NormTypeE0ENS2_8BFloat16ELb1EfEEvPKT3_NS0_19TensorListAddressesEi.has_dyn_sized_stack, 0
	.set _ZN2at6native14lpnorm_cleanupIN3c104HalfELNS0_8NormTypeE0ENS2_8BFloat16ELb1EfEEvPKT3_NS0_19TensorListAddressesEi.has_recursion, 0
	.set _ZN2at6native14lpnorm_cleanupIN3c104HalfELNS0_8NormTypeE0ENS2_8BFloat16ELb1EfEEvPKT3_NS0_19TensorListAddressesEi.has_indirect_call, 0
	.section	.AMDGPU.csdata,"",@progbits
; Kernel info:
; codeLenInByte = 712
; TotalNumSgprs: 14
; NumVgprs: 9
; ScratchSize: 0
; MemoryBound: 0
; FloatMode: 240
; IeeeMode: 1
; LDSByteSize: 2048 bytes/workgroup (compile time only)
; SGPRBlocks: 0
; VGPRBlocks: 0
; NumSGPRsForWavesPerEU: 14
; NumVGPRsForWavesPerEU: 9
; NamedBarCnt: 0
; Occupancy: 16
; WaveLimiterHint : 0
; COMPUTE_PGM_RSRC2:SCRATCH_EN: 0
; COMPUTE_PGM_RSRC2:USER_SGPR: 2
; COMPUTE_PGM_RSRC2:TRAP_HANDLER: 0
; COMPUTE_PGM_RSRC2:TGID_X_EN: 1
; COMPUTE_PGM_RSRC2:TGID_Y_EN: 0
; COMPUTE_PGM_RSRC2:TGID_Z_EN: 0
; COMPUTE_PGM_RSRC2:TIDIG_COMP_CNT: 0
	.section	.text._ZN2at6native14lpnorm_cleanupIN3c104HalfELNS0_8NormTypeE1ENS2_8BFloat16ELb1EfEEvPKT3_NS0_19TensorListAddressesEi,"axG",@progbits,_ZN2at6native14lpnorm_cleanupIN3c104HalfELNS0_8NormTypeE1ENS2_8BFloat16ELb1EfEEvPKT3_NS0_19TensorListAddressesEi,comdat
	.protected	_ZN2at6native14lpnorm_cleanupIN3c104HalfELNS0_8NormTypeE1ENS2_8BFloat16ELb1EfEEvPKT3_NS0_19TensorListAddressesEi ; -- Begin function _ZN2at6native14lpnorm_cleanupIN3c104HalfELNS0_8NormTypeE1ENS2_8BFloat16ELb1EfEEvPKT3_NS0_19TensorListAddressesEi
	.globl	_ZN2at6native14lpnorm_cleanupIN3c104HalfELNS0_8NormTypeE1ENS2_8BFloat16ELb1EfEEvPKT3_NS0_19TensorListAddressesEi
	.p2align	8
	.type	_ZN2at6native14lpnorm_cleanupIN3c104HalfELNS0_8NormTypeE1ENS2_8BFloat16ELb1EfEEvPKT3_NS0_19TensorListAddressesEi,@function
_ZN2at6native14lpnorm_cleanupIN3c104HalfELNS0_8NormTypeE1ENS2_8BFloat16ELb1EfEEvPKT3_NS0_19TensorListAddressesEi: ; @_ZN2at6native14lpnorm_cleanupIN3c104HalfELNS0_8NormTypeE1ENS2_8BFloat16ELb1EfEEvPKT3_NS0_19TensorListAddressesEi
; %bb.0:
	s_load_b32 s2, s[0:1], 0xc88
	s_bfe_u32 s3, ttmp6, 0x4000c
	s_and_b32 s4, ttmp6, 15
	s_add_co_i32 s3, s3, 1
	s_getreg_b32 s5, hwreg(HW_REG_IB_STS2, 6, 4)
	s_mul_i32 s3, ttmp9, s3
	v_mov_b32_e32 v1, 0
	s_add_co_i32 s4, s4, s3
	s_cmp_eq_u32 s5, 0
	s_mov_b32 s5, 0
	s_cselect_b32 s8, ttmp9, s4
	s_mov_b32 s9, exec_lo
	s_wait_kmcnt 0x0
	v_cmpx_gt_u32_e64 s2, v0
	s_cbranch_execz .LBB113_4
; %bb.1:
	s_clause 0x1
	s_load_b64 s[6:7], s[0:1], 0x0
	s_load_b32 s4, s[0:1], 0xc9c
	v_dual_mov_b32 v1, 0 :: v_dual_lshlrev_b32 v2, 2, v0
	s_mul_i32 s10, s2, s8
	s_mov_b32 s11, s5
	s_ashr_i32 s3, s2, 31
	s_delay_alu instid0(VALU_DEP_1)
	v_mov_b32_e32 v3, v1
	s_lshl_b64 s[10:11], s[10:11], 2
	v_mov_b64_e32 v[4:5], v[0:1]
	s_wait_kmcnt 0x0
	s_add_nc_u64 s[6:7], s[6:7], s[10:11]
	s_and_b32 s4, s4, 0xffff
	v_add_nc_u64_e32 v[2:3], s[6:7], v[2:3]
	s_lshl_b32 s6, s4, 2
	s_mov_b32 s7, s5
	s_mov_b32 s10, s5
.LBB113_2:                              ; =>This Inner Loop Header: Depth=1
	global_load_b32 v6, v[2:3], off
	v_add_nc_u64_e32 v[4:5], s[4:5], v[4:5]
	s_wait_xcnt 0x0
	v_add_nc_u64_e32 v[2:3], s[6:7], v[2:3]
	s_delay_alu instid0(VALU_DEP_2)
	v_cmp_le_u64_e32 vcc_lo, s[2:3], v[4:5]
	s_or_b32 s10, vcc_lo, s10
	s_wait_loadcnt 0x0
	v_add_f32_e32 v1, v1, v6
	s_and_not1_b32 exec_lo, exec_lo, s10
	s_cbranch_execnz .LBB113_2
; %bb.3:
	s_or_b32 exec_lo, exec_lo, s10
.LBB113_4:
	s_delay_alu instid0(SALU_CYCLE_1) | instskip(SKIP_4) | instid1(VALU_DEP_1)
	s_or_b32 exec_lo, exec_lo, s9
	v_mbcnt_lo_u32_b32 v5, -1, 0
	s_mov_b32 s2, exec_lo
	s_barrier_signal -1
	s_barrier_wait -1
	v_lshl_or_b32 v2, v5, 2, 64
	v_cmp_gt_u32_e32 vcc_lo, 24, v5
	ds_bpermute_b32 v4, v2, v1
	v_cndmask_b32_e64 v3, 0, 8, vcc_lo
	v_cmp_gt_u32_e32 vcc_lo, 28, v5
	s_delay_alu instid0(VALU_DEP_2)
	v_add_lshl_u32 v3, v3, v5, 2
	s_wait_dscnt 0x0
	v_add_f32_e32 v4, v1, v4
	v_cndmask_b32_e64 v1, 0, 4, vcc_lo
	v_cmp_gt_u32_e32 vcc_lo, 30, v5
	ds_bpermute_b32 v6, v3, v4
	v_add_lshl_u32 v1, v1, v5, 2
	s_wait_dscnt 0x0
	v_add_f32_e32 v6, v4, v6
	v_cndmask_b32_e64 v4, 0, 2, vcc_lo
	v_cmp_ne_u32_e32 vcc_lo, 31, v5
	s_delay_alu instid0(VALU_DEP_2) | instskip(SKIP_1) | instid1(VALU_DEP_1)
	v_add_lshl_u32 v4, v4, v5, 2
	v_add_co_ci_u32_e64 v5, null, 0, v5, vcc_lo
	v_lshlrev_b32_e32 v5, 2, v5
	ds_bpermute_b32 v7, v1, v6
	s_wait_dscnt 0x0
	v_add_f32_e32 v6, v6, v7
	ds_bpermute_b32 v7, v4, v6
	s_wait_dscnt 0x0
	v_dual_add_f32 v6, v6, v7 :: v_dual_bitop2_b32 v7, 31, v0 bitop3:0x40
	ds_bpermute_b32 v8, v5, v6
	v_cmpx_eq_u32_e32 0, v7
	s_cbranch_execz .LBB113_6
; %bb.5:
	s_wait_dscnt 0x0
	v_add_f32_e32 v6, v6, v8
	v_lshrrev_b32_e32 v8, 3, v0
	ds_store_b32 v8, v6
.LBB113_6:
	s_or_b32 exec_lo, exec_lo, s2
	s_wait_dscnt 0x0
	s_barrier_signal -1
	s_barrier_wait -1
	s_load_b32 s2, s[0:1], 0xc9c
	v_mov_b32_e32 v6, 0
	s_wait_kmcnt 0x0
	s_bfe_u32 s2, s2, 0xb0005
	s_delay_alu instid0(SALU_CYCLE_1)
	v_cmp_gt_u32_e32 vcc_lo, s2, v0
	s_and_saveexec_b32 s2, vcc_lo
; %bb.7:
	v_lshlrev_b32_e32 v6, 2, v7
	ds_load_b32 v6, v6
; %bb.8:
	s_or_b32 exec_lo, exec_lo, s2
	s_delay_alu instid0(SALU_CYCLE_1)
	s_mov_b32 s2, exec_lo
	v_cmpx_gt_u32_e32 32, v0
	s_cbranch_execz .LBB113_10
; %bb.9:
	s_wait_dscnt 0x0
	ds_bpermute_b32 v2, v2, v6
	s_wait_dscnt 0x0
	v_add_f32_e32 v2, v6, v2
	ds_bpermute_b32 v3, v3, v2
	s_wait_dscnt 0x0
	v_add_f32_e32 v2, v2, v3
	;; [unrolled: 3-line block ×5, first 2 shown]
.LBB113_10:
	s_or_b32 exec_lo, exec_lo, s2
	s_delay_alu instid0(SALU_CYCLE_1)
	s_mov_b32 s2, exec_lo
	v_cmpx_eq_u32_e32 0, v0
	s_cbranch_execz .LBB113_12
; %bb.11:
	s_wait_dscnt 0x0
	v_bfe_u32 v0, v6, 16, 1
	s_load_b64 s[0:1], s[0:1], s8 offset:0x8 scale_offset
	v_cmp_o_f32_e32 vcc_lo, v6, v6
	v_mov_b32_e32 v1, 0
	s_delay_alu instid0(VALU_DEP_3) | instskip(NEXT) | instid1(VALU_DEP_1)
	v_add3_u32 v0, v6, v0, 0x7fff
	v_lshrrev_b32_e32 v0, 16, v0
	s_delay_alu instid0(VALU_DEP_1)
	v_cndmask_b32_e32 v0, 0x7fc0, v0, vcc_lo
	s_wait_kmcnt 0x0
	global_store_b16 v1, v0, s[0:1]
.LBB113_12:
	s_endpgm
	.section	.rodata,"a",@progbits
	.p2align	6, 0x0
	.amdhsa_kernel _ZN2at6native14lpnorm_cleanupIN3c104HalfELNS0_8NormTypeE1ENS2_8BFloat16ELb1EfEEvPKT3_NS0_19TensorListAddressesEi
		.amdhsa_group_segment_fixed_size 2048
		.amdhsa_private_segment_fixed_size 0
		.amdhsa_kernarg_size 3472
		.amdhsa_user_sgpr_count 2
		.amdhsa_user_sgpr_dispatch_ptr 0
		.amdhsa_user_sgpr_queue_ptr 0
		.amdhsa_user_sgpr_kernarg_segment_ptr 1
		.amdhsa_user_sgpr_dispatch_id 0
		.amdhsa_user_sgpr_kernarg_preload_length 0
		.amdhsa_user_sgpr_kernarg_preload_offset 0
		.amdhsa_user_sgpr_private_segment_size 0
		.amdhsa_wavefront_size32 1
		.amdhsa_uses_dynamic_stack 0
		.amdhsa_enable_private_segment 0
		.amdhsa_system_sgpr_workgroup_id_x 1
		.amdhsa_system_sgpr_workgroup_id_y 0
		.amdhsa_system_sgpr_workgroup_id_z 0
		.amdhsa_system_sgpr_workgroup_info 0
		.amdhsa_system_vgpr_workitem_id 0
		.amdhsa_next_free_vgpr 9
		.amdhsa_next_free_sgpr 12
		.amdhsa_named_barrier_count 0
		.amdhsa_reserve_vcc 1
		.amdhsa_float_round_mode_32 0
		.amdhsa_float_round_mode_16_64 0
		.amdhsa_float_denorm_mode_32 3
		.amdhsa_float_denorm_mode_16_64 3
		.amdhsa_fp16_overflow 0
		.amdhsa_memory_ordered 1
		.amdhsa_forward_progress 1
		.amdhsa_inst_pref_size 6
		.amdhsa_round_robin_scheduling 0
		.amdhsa_exception_fp_ieee_invalid_op 0
		.amdhsa_exception_fp_denorm_src 0
		.amdhsa_exception_fp_ieee_div_zero 0
		.amdhsa_exception_fp_ieee_overflow 0
		.amdhsa_exception_fp_ieee_underflow 0
		.amdhsa_exception_fp_ieee_inexact 0
		.amdhsa_exception_int_div_zero 0
	.end_amdhsa_kernel
	.section	.text._ZN2at6native14lpnorm_cleanupIN3c104HalfELNS0_8NormTypeE1ENS2_8BFloat16ELb1EfEEvPKT3_NS0_19TensorListAddressesEi,"axG",@progbits,_ZN2at6native14lpnorm_cleanupIN3c104HalfELNS0_8NormTypeE1ENS2_8BFloat16ELb1EfEEvPKT3_NS0_19TensorListAddressesEi,comdat
.Lfunc_end113:
	.size	_ZN2at6native14lpnorm_cleanupIN3c104HalfELNS0_8NormTypeE1ENS2_8BFloat16ELb1EfEEvPKT3_NS0_19TensorListAddressesEi, .Lfunc_end113-_ZN2at6native14lpnorm_cleanupIN3c104HalfELNS0_8NormTypeE1ENS2_8BFloat16ELb1EfEEvPKT3_NS0_19TensorListAddressesEi
                                        ; -- End function
	.set _ZN2at6native14lpnorm_cleanupIN3c104HalfELNS0_8NormTypeE1ENS2_8BFloat16ELb1EfEEvPKT3_NS0_19TensorListAddressesEi.num_vgpr, 9
	.set _ZN2at6native14lpnorm_cleanupIN3c104HalfELNS0_8NormTypeE1ENS2_8BFloat16ELb1EfEEvPKT3_NS0_19TensorListAddressesEi.num_agpr, 0
	.set _ZN2at6native14lpnorm_cleanupIN3c104HalfELNS0_8NormTypeE1ENS2_8BFloat16ELb1EfEEvPKT3_NS0_19TensorListAddressesEi.numbered_sgpr, 12
	.set _ZN2at6native14lpnorm_cleanupIN3c104HalfELNS0_8NormTypeE1ENS2_8BFloat16ELb1EfEEvPKT3_NS0_19TensorListAddressesEi.num_named_barrier, 0
	.set _ZN2at6native14lpnorm_cleanupIN3c104HalfELNS0_8NormTypeE1ENS2_8BFloat16ELb1EfEEvPKT3_NS0_19TensorListAddressesEi.private_seg_size, 0
	.set _ZN2at6native14lpnorm_cleanupIN3c104HalfELNS0_8NormTypeE1ENS2_8BFloat16ELb1EfEEvPKT3_NS0_19TensorListAddressesEi.uses_vcc, 1
	.set _ZN2at6native14lpnorm_cleanupIN3c104HalfELNS0_8NormTypeE1ENS2_8BFloat16ELb1EfEEvPKT3_NS0_19TensorListAddressesEi.uses_flat_scratch, 0
	.set _ZN2at6native14lpnorm_cleanupIN3c104HalfELNS0_8NormTypeE1ENS2_8BFloat16ELb1EfEEvPKT3_NS0_19TensorListAddressesEi.has_dyn_sized_stack, 0
	.set _ZN2at6native14lpnorm_cleanupIN3c104HalfELNS0_8NormTypeE1ENS2_8BFloat16ELb1EfEEvPKT3_NS0_19TensorListAddressesEi.has_recursion, 0
	.set _ZN2at6native14lpnorm_cleanupIN3c104HalfELNS0_8NormTypeE1ENS2_8BFloat16ELb1EfEEvPKT3_NS0_19TensorListAddressesEi.has_indirect_call, 0
	.section	.AMDGPU.csdata,"",@progbits
; Kernel info:
; codeLenInByte = 712
; TotalNumSgprs: 14
; NumVgprs: 9
; ScratchSize: 0
; MemoryBound: 0
; FloatMode: 240
; IeeeMode: 1
; LDSByteSize: 2048 bytes/workgroup (compile time only)
; SGPRBlocks: 0
; VGPRBlocks: 0
; NumSGPRsForWavesPerEU: 14
; NumVGPRsForWavesPerEU: 9
; NamedBarCnt: 0
; Occupancy: 16
; WaveLimiterHint : 0
; COMPUTE_PGM_RSRC2:SCRATCH_EN: 0
; COMPUTE_PGM_RSRC2:USER_SGPR: 2
; COMPUTE_PGM_RSRC2:TRAP_HANDLER: 0
; COMPUTE_PGM_RSRC2:TGID_X_EN: 1
; COMPUTE_PGM_RSRC2:TGID_Y_EN: 0
; COMPUTE_PGM_RSRC2:TGID_Z_EN: 0
; COMPUTE_PGM_RSRC2:TIDIG_COMP_CNT: 0
	.section	.text._ZN2at6native14lpnorm_cleanupIN3c104HalfELNS0_8NormTypeE2ENS2_8BFloat16ELb1EfEEvPKT3_NS0_19TensorListAddressesEi,"axG",@progbits,_ZN2at6native14lpnorm_cleanupIN3c104HalfELNS0_8NormTypeE2ENS2_8BFloat16ELb1EfEEvPKT3_NS0_19TensorListAddressesEi,comdat
	.protected	_ZN2at6native14lpnorm_cleanupIN3c104HalfELNS0_8NormTypeE2ENS2_8BFloat16ELb1EfEEvPKT3_NS0_19TensorListAddressesEi ; -- Begin function _ZN2at6native14lpnorm_cleanupIN3c104HalfELNS0_8NormTypeE2ENS2_8BFloat16ELb1EfEEvPKT3_NS0_19TensorListAddressesEi
	.globl	_ZN2at6native14lpnorm_cleanupIN3c104HalfELNS0_8NormTypeE2ENS2_8BFloat16ELb1EfEEvPKT3_NS0_19TensorListAddressesEi
	.p2align	8
	.type	_ZN2at6native14lpnorm_cleanupIN3c104HalfELNS0_8NormTypeE2ENS2_8BFloat16ELb1EfEEvPKT3_NS0_19TensorListAddressesEi,@function
_ZN2at6native14lpnorm_cleanupIN3c104HalfELNS0_8NormTypeE2ENS2_8BFloat16ELb1EfEEvPKT3_NS0_19TensorListAddressesEi: ; @_ZN2at6native14lpnorm_cleanupIN3c104HalfELNS0_8NormTypeE2ENS2_8BFloat16ELb1EfEEvPKT3_NS0_19TensorListAddressesEi
; %bb.0:
	s_load_b32 s2, s[0:1], 0xc88
	s_bfe_u32 s3, ttmp6, 0x4000c
	s_and_b32 s4, ttmp6, 15
	s_add_co_i32 s3, s3, 1
	s_getreg_b32 s5, hwreg(HW_REG_IB_STS2, 6, 4)
	s_mul_i32 s3, ttmp9, s3
	v_mov_b32_e32 v1, 0
	s_add_co_i32 s4, s4, s3
	s_cmp_eq_u32 s5, 0
	s_mov_b32 s5, 0
	s_cselect_b32 s8, ttmp9, s4
	s_mov_b32 s9, exec_lo
	s_wait_kmcnt 0x0
	v_cmpx_gt_u32_e64 s2, v0
	s_cbranch_execz .LBB114_4
; %bb.1:
	s_clause 0x1
	s_load_b64 s[6:7], s[0:1], 0x0
	s_load_b32 s4, s[0:1], 0xc9c
	v_dual_mov_b32 v1, 0 :: v_dual_lshlrev_b32 v2, 2, v0
	s_mul_i32 s10, s2, s8
	s_mov_b32 s11, s5
	s_ashr_i32 s3, s2, 31
	s_delay_alu instid0(VALU_DEP_1)
	v_mov_b32_e32 v3, v1
	s_lshl_b64 s[10:11], s[10:11], 2
	v_mov_b64_e32 v[4:5], v[0:1]
	s_wait_kmcnt 0x0
	s_add_nc_u64 s[6:7], s[6:7], s[10:11]
	s_and_b32 s4, s4, 0xffff
	v_add_nc_u64_e32 v[2:3], s[6:7], v[2:3]
	s_lshl_b32 s6, s4, 2
	s_mov_b32 s7, s5
	s_mov_b32 s10, s5
.LBB114_2:                              ; =>This Inner Loop Header: Depth=1
	global_load_b32 v6, v[2:3], off
	v_add_nc_u64_e32 v[4:5], s[4:5], v[4:5]
	s_wait_xcnt 0x0
	v_add_nc_u64_e32 v[2:3], s[6:7], v[2:3]
	s_delay_alu instid0(VALU_DEP_2)
	v_cmp_le_u64_e32 vcc_lo, s[2:3], v[4:5]
	s_or_b32 s10, vcc_lo, s10
	s_wait_loadcnt 0x0
	v_add_f32_e32 v1, v1, v6
	s_and_not1_b32 exec_lo, exec_lo, s10
	s_cbranch_execnz .LBB114_2
; %bb.3:
	s_or_b32 exec_lo, exec_lo, s10
.LBB114_4:
	s_delay_alu instid0(SALU_CYCLE_1) | instskip(SKIP_4) | instid1(VALU_DEP_1)
	s_or_b32 exec_lo, exec_lo, s9
	v_mbcnt_lo_u32_b32 v5, -1, 0
	s_mov_b32 s2, exec_lo
	s_barrier_signal -1
	s_barrier_wait -1
	v_lshl_or_b32 v2, v5, 2, 64
	v_cmp_gt_u32_e32 vcc_lo, 24, v5
	ds_bpermute_b32 v4, v2, v1
	v_cndmask_b32_e64 v3, 0, 8, vcc_lo
	v_cmp_gt_u32_e32 vcc_lo, 28, v5
	s_delay_alu instid0(VALU_DEP_2)
	v_add_lshl_u32 v3, v3, v5, 2
	s_wait_dscnt 0x0
	v_add_f32_e32 v4, v1, v4
	v_cndmask_b32_e64 v1, 0, 4, vcc_lo
	v_cmp_gt_u32_e32 vcc_lo, 30, v5
	ds_bpermute_b32 v6, v3, v4
	v_add_lshl_u32 v1, v1, v5, 2
	s_wait_dscnt 0x0
	v_add_f32_e32 v6, v4, v6
	v_cndmask_b32_e64 v4, 0, 2, vcc_lo
	v_cmp_ne_u32_e32 vcc_lo, 31, v5
	ds_bpermute_b32 v7, v1, v6
	v_add_lshl_u32 v4, v4, v5, 2
	v_add_co_ci_u32_e64 v8, null, 0, v5, vcc_lo
	s_wait_dscnt 0x0
	v_add_f32_e32 v6, v6, v7
	ds_bpermute_b32 v7, v4, v6
	s_wait_dscnt 0x0
	v_dual_add_f32 v5, v6, v7 :: v_dual_lshlrev_b32 v6, 2, v8
	v_and_b32_e32 v7, 31, v0
	ds_bpermute_b32 v8, v6, v5
	v_cmpx_eq_u32_e32 0, v7
	s_cbranch_execz .LBB114_6
; %bb.5:
	s_wait_dscnt 0x0
	v_add_f32_e32 v5, v5, v8
	v_lshrrev_b32_e32 v8, 3, v0
	ds_store_b32 v8, v5
.LBB114_6:
	s_or_b32 exec_lo, exec_lo, s2
	s_wait_dscnt 0x0
	s_barrier_signal -1
	s_barrier_wait -1
	s_load_b32 s2, s[0:1], 0xc9c
	v_mov_b32_e32 v5, 0
	s_wait_kmcnt 0x0
	s_bfe_u32 s2, s2, 0xb0005
	s_delay_alu instid0(SALU_CYCLE_1)
	v_cmp_gt_u32_e32 vcc_lo, s2, v0
	s_and_saveexec_b32 s2, vcc_lo
; %bb.7:
	v_lshlrev_b32_e32 v5, 2, v7
	ds_load_b32 v5, v5
; %bb.8:
	s_or_b32 exec_lo, exec_lo, s2
	s_delay_alu instid0(SALU_CYCLE_1)
	s_mov_b32 s2, exec_lo
	v_cmpx_gt_u32_e32 32, v0
	s_cbranch_execz .LBB114_10
; %bb.9:
	s_wait_dscnt 0x0
	ds_bpermute_b32 v2, v2, v5
	s_wait_dscnt 0x0
	v_add_f32_e32 v2, v5, v2
	ds_bpermute_b32 v3, v3, v2
	s_wait_dscnt 0x0
	v_add_f32_e32 v2, v2, v3
	;; [unrolled: 3-line block ×5, first 2 shown]
.LBB114_10:
	s_or_b32 exec_lo, exec_lo, s2
	s_delay_alu instid0(SALU_CYCLE_1)
	s_mov_b32 s2, exec_lo
	v_cmpx_eq_u32_e32 0, v0
	s_cbranch_execz .LBB114_12
; %bb.11:
	s_wait_dscnt 0x0
	v_cmp_gt_f32_e32 vcc_lo, 0xf800000, v5
	v_mul_f32_e32 v0, 0x4f800000, v5
	s_load_b64 s[0:1], s[0:1], s8 offset:0x8 scale_offset
	s_delay_alu instid0(VALU_DEP_1) | instskip(NEXT) | instid1(VALU_DEP_1)
	v_cndmask_b32_e32 v0, v5, v0, vcc_lo
	v_sqrt_f32_e32 v1, v0
	v_nop
	s_delay_alu instid0(TRANS32_DEP_1) | instskip(NEXT) | instid1(VALU_DEP_1)
	v_dual_add_nc_u32 v2, -1, v1 :: v_dual_add_nc_u32 v3, 1, v1
	v_fma_f32 v4, -v2, v1, v0
	s_delay_alu instid0(VALU_DEP_1) | instskip(NEXT) | instid1(VALU_DEP_1)
	v_cmp_ge_f32_e64 s2, 0, v4
	v_dual_fma_f32 v6, -v3, v1, v0 :: v_dual_cndmask_b32 v1, v1, v2, s2
	s_delay_alu instid0(VALU_DEP_1) | instskip(NEXT) | instid1(VALU_DEP_1)
	v_cmp_lt_f32_e64 s2, 0, v6
	v_cndmask_b32_e64 v1, v1, v3, s2
	s_delay_alu instid0(VALU_DEP_1) | instskip(NEXT) | instid1(VALU_DEP_1)
	v_mul_f32_e32 v2, 0x37800000, v1
	v_cndmask_b32_e32 v1, v1, v2, vcc_lo
	v_cmp_class_f32_e64 vcc_lo, v0, 0x260
	s_delay_alu instid0(VALU_DEP_2) | instskip(SKIP_1) | instid1(VALU_DEP_2)
	v_cndmask_b32_e32 v0, v1, v0, vcc_lo
	v_cmp_le_f32_e32 vcc_lo, 0, v5
	v_bfe_u32 v1, v0, 16, 1
	s_delay_alu instid0(VALU_DEP_1) | instskip(NEXT) | instid1(VALU_DEP_1)
	v_add3_u32 v0, v0, v1, 0x7fff
	v_dual_mov_b32 v1, 0 :: v_dual_lshrrev_b32 v0, 16, v0
	s_delay_alu instid0(VALU_DEP_1)
	v_cndmask_b32_e32 v0, 0x7fc0, v0, vcc_lo
	s_wait_kmcnt 0x0
	global_store_b16 v1, v0, s[0:1]
.LBB114_12:
	s_endpgm
	.section	.rodata,"a",@progbits
	.p2align	6, 0x0
	.amdhsa_kernel _ZN2at6native14lpnorm_cleanupIN3c104HalfELNS0_8NormTypeE2ENS2_8BFloat16ELb1EfEEvPKT3_NS0_19TensorListAddressesEi
		.amdhsa_group_segment_fixed_size 2048
		.amdhsa_private_segment_fixed_size 0
		.amdhsa_kernarg_size 3472
		.amdhsa_user_sgpr_count 2
		.amdhsa_user_sgpr_dispatch_ptr 0
		.amdhsa_user_sgpr_queue_ptr 0
		.amdhsa_user_sgpr_kernarg_segment_ptr 1
		.amdhsa_user_sgpr_dispatch_id 0
		.amdhsa_user_sgpr_kernarg_preload_length 0
		.amdhsa_user_sgpr_kernarg_preload_offset 0
		.amdhsa_user_sgpr_private_segment_size 0
		.amdhsa_wavefront_size32 1
		.amdhsa_uses_dynamic_stack 0
		.amdhsa_enable_private_segment 0
		.amdhsa_system_sgpr_workgroup_id_x 1
		.amdhsa_system_sgpr_workgroup_id_y 0
		.amdhsa_system_sgpr_workgroup_id_z 0
		.amdhsa_system_sgpr_workgroup_info 0
		.amdhsa_system_vgpr_workitem_id 0
		.amdhsa_next_free_vgpr 9
		.amdhsa_next_free_sgpr 12
		.amdhsa_named_barrier_count 0
		.amdhsa_reserve_vcc 1
		.amdhsa_float_round_mode_32 0
		.amdhsa_float_round_mode_16_64 0
		.amdhsa_float_denorm_mode_32 3
		.amdhsa_float_denorm_mode_16_64 3
		.amdhsa_fp16_overflow 0
		.amdhsa_memory_ordered 1
		.amdhsa_forward_progress 1
		.amdhsa_inst_pref_size 7
		.amdhsa_round_robin_scheduling 0
		.amdhsa_exception_fp_ieee_invalid_op 0
		.amdhsa_exception_fp_denorm_src 0
		.amdhsa_exception_fp_ieee_div_zero 0
		.amdhsa_exception_fp_ieee_overflow 0
		.amdhsa_exception_fp_ieee_underflow 0
		.amdhsa_exception_fp_ieee_inexact 0
		.amdhsa_exception_int_div_zero 0
	.end_amdhsa_kernel
	.section	.text._ZN2at6native14lpnorm_cleanupIN3c104HalfELNS0_8NormTypeE2ENS2_8BFloat16ELb1EfEEvPKT3_NS0_19TensorListAddressesEi,"axG",@progbits,_ZN2at6native14lpnorm_cleanupIN3c104HalfELNS0_8NormTypeE2ENS2_8BFloat16ELb1EfEEvPKT3_NS0_19TensorListAddressesEi,comdat
.Lfunc_end114:
	.size	_ZN2at6native14lpnorm_cleanupIN3c104HalfELNS0_8NormTypeE2ENS2_8BFloat16ELb1EfEEvPKT3_NS0_19TensorListAddressesEi, .Lfunc_end114-_ZN2at6native14lpnorm_cleanupIN3c104HalfELNS0_8NormTypeE2ENS2_8BFloat16ELb1EfEEvPKT3_NS0_19TensorListAddressesEi
                                        ; -- End function
	.set _ZN2at6native14lpnorm_cleanupIN3c104HalfELNS0_8NormTypeE2ENS2_8BFloat16ELb1EfEEvPKT3_NS0_19TensorListAddressesEi.num_vgpr, 9
	.set _ZN2at6native14lpnorm_cleanupIN3c104HalfELNS0_8NormTypeE2ENS2_8BFloat16ELb1EfEEvPKT3_NS0_19TensorListAddressesEi.num_agpr, 0
	.set _ZN2at6native14lpnorm_cleanupIN3c104HalfELNS0_8NormTypeE2ENS2_8BFloat16ELb1EfEEvPKT3_NS0_19TensorListAddressesEi.numbered_sgpr, 12
	.set _ZN2at6native14lpnorm_cleanupIN3c104HalfELNS0_8NormTypeE2ENS2_8BFloat16ELb1EfEEvPKT3_NS0_19TensorListAddressesEi.num_named_barrier, 0
	.set _ZN2at6native14lpnorm_cleanupIN3c104HalfELNS0_8NormTypeE2ENS2_8BFloat16ELb1EfEEvPKT3_NS0_19TensorListAddressesEi.private_seg_size, 0
	.set _ZN2at6native14lpnorm_cleanupIN3c104HalfELNS0_8NormTypeE2ENS2_8BFloat16ELb1EfEEvPKT3_NS0_19TensorListAddressesEi.uses_vcc, 1
	.set _ZN2at6native14lpnorm_cleanupIN3c104HalfELNS0_8NormTypeE2ENS2_8BFloat16ELb1EfEEvPKT3_NS0_19TensorListAddressesEi.uses_flat_scratch, 0
	.set _ZN2at6native14lpnorm_cleanupIN3c104HalfELNS0_8NormTypeE2ENS2_8BFloat16ELb1EfEEvPKT3_NS0_19TensorListAddressesEi.has_dyn_sized_stack, 0
	.set _ZN2at6native14lpnorm_cleanupIN3c104HalfELNS0_8NormTypeE2ENS2_8BFloat16ELb1EfEEvPKT3_NS0_19TensorListAddressesEi.has_recursion, 0
	.set _ZN2at6native14lpnorm_cleanupIN3c104HalfELNS0_8NormTypeE2ENS2_8BFloat16ELb1EfEEvPKT3_NS0_19TensorListAddressesEi.has_indirect_call, 0
	.section	.AMDGPU.csdata,"",@progbits
; Kernel info:
; codeLenInByte = 840
; TotalNumSgprs: 14
; NumVgprs: 9
; ScratchSize: 0
; MemoryBound: 0
; FloatMode: 240
; IeeeMode: 1
; LDSByteSize: 2048 bytes/workgroup (compile time only)
; SGPRBlocks: 0
; VGPRBlocks: 0
; NumSGPRsForWavesPerEU: 14
; NumVGPRsForWavesPerEU: 9
; NamedBarCnt: 0
; Occupancy: 16
; WaveLimiterHint : 0
; COMPUTE_PGM_RSRC2:SCRATCH_EN: 0
; COMPUTE_PGM_RSRC2:USER_SGPR: 2
; COMPUTE_PGM_RSRC2:TRAP_HANDLER: 0
; COMPUTE_PGM_RSRC2:TGID_X_EN: 1
; COMPUTE_PGM_RSRC2:TGID_Y_EN: 0
; COMPUTE_PGM_RSRC2:TGID_Z_EN: 0
; COMPUTE_PGM_RSRC2:TIDIG_COMP_CNT: 0
	.section	.text._ZN2at6native14lpnorm_cleanupIN3c104HalfELNS0_8NormTypeE3ENS2_8BFloat16ELb1EfEEvPKT3_NS0_19TensorListAddressesEi,"axG",@progbits,_ZN2at6native14lpnorm_cleanupIN3c104HalfELNS0_8NormTypeE3ENS2_8BFloat16ELb1EfEEvPKT3_NS0_19TensorListAddressesEi,comdat
	.protected	_ZN2at6native14lpnorm_cleanupIN3c104HalfELNS0_8NormTypeE3ENS2_8BFloat16ELb1EfEEvPKT3_NS0_19TensorListAddressesEi ; -- Begin function _ZN2at6native14lpnorm_cleanupIN3c104HalfELNS0_8NormTypeE3ENS2_8BFloat16ELb1EfEEvPKT3_NS0_19TensorListAddressesEi
	.globl	_ZN2at6native14lpnorm_cleanupIN3c104HalfELNS0_8NormTypeE3ENS2_8BFloat16ELb1EfEEvPKT3_NS0_19TensorListAddressesEi
	.p2align	8
	.type	_ZN2at6native14lpnorm_cleanupIN3c104HalfELNS0_8NormTypeE3ENS2_8BFloat16ELb1EfEEvPKT3_NS0_19TensorListAddressesEi,@function
_ZN2at6native14lpnorm_cleanupIN3c104HalfELNS0_8NormTypeE3ENS2_8BFloat16ELb1EfEEvPKT3_NS0_19TensorListAddressesEi: ; @_ZN2at6native14lpnorm_cleanupIN3c104HalfELNS0_8NormTypeE3ENS2_8BFloat16ELb1EfEEvPKT3_NS0_19TensorListAddressesEi
; %bb.0:
	s_load_b32 s4, s[0:1], 0xc88
	s_bfe_u32 s2, ttmp6, 0x4000c
	s_and_b32 s3, ttmp6, 15
	s_add_co_i32 s2, s2, 1
	s_getreg_b32 s5, hwreg(HW_REG_IB_STS2, 6, 4)
	s_mul_i32 s2, ttmp9, s2
	v_mov_b32_e32 v1, 0
	s_add_co_i32 s3, s3, s2
	s_cmp_eq_u32 s5, 0
	s_mov_b32 s7, 0
	s_cselect_b32 s10, ttmp9, s3
	s_mov_b32 s11, exec_lo
	s_wait_kmcnt 0x0
	v_cmpx_gt_u32_e64 s4, v0
	s_cbranch_execz .LBB115_4
; %bb.1:
	s_clause 0x1
	s_load_b64 s[2:3], s[0:1], 0x0
	s_load_b32 s6, s[0:1], 0xc9c
	v_dual_mov_b32 v1, 0 :: v_dual_lshlrev_b32 v2, 2, v0
	s_mul_i32 s8, s4, s10
	s_mov_b32 s9, s7
	s_ashr_i32 s5, s4, 31
	s_delay_alu instid0(VALU_DEP_1)
	v_mov_b32_e32 v3, v1
	s_lshl_b64 s[8:9], s[8:9], 2
	v_mov_b64_e32 v[4:5], v[0:1]
	s_mov_b32 s12, s7
	s_wait_kmcnt 0x0
	s_add_nc_u64 s[2:3], s[2:3], s[8:9]
	s_and_b32 s6, s6, 0xffff
	v_add_nc_u64_e32 v[2:3], s[2:3], v[2:3]
	s_lshl_b32 s8, s6, 2
	s_mov_b32 s9, s7
.LBB115_2:                              ; =>This Inner Loop Header: Depth=1
	global_load_b32 v6, v[2:3], off
	v_add_nc_u64_e32 v[4:5], s[6:7], v[4:5]
	s_wait_xcnt 0x0
	v_add_nc_u64_e32 v[2:3], s[8:9], v[2:3]
	s_delay_alu instid0(VALU_DEP_2)
	v_cmp_le_u64_e32 vcc_lo, s[4:5], v[4:5]
	s_wait_loadcnt 0x0
	v_cmp_u_f32_e64 s2, v6, v6
	v_cmp_lt_f32_e64 s3, v1, v6
	s_or_b32 s2, s2, s3
	s_or_b32 s12, vcc_lo, s12
	v_cndmask_b32_e64 v1, v1, v6, s2
	s_and_not1_b32 exec_lo, exec_lo, s12
	s_cbranch_execnz .LBB115_2
; %bb.3:
	s_or_b32 exec_lo, exec_lo, s12
.LBB115_4:
	s_delay_alu instid0(SALU_CYCLE_1) | instskip(SKIP_3) | instid1(VALU_DEP_1)
	s_or_b32 exec_lo, exec_lo, s11
	v_mbcnt_lo_u32_b32 v5, -1, 0
	s_barrier_signal -1
	s_barrier_wait -1
	v_lshl_or_b32 v2, v5, 2, 64
	v_cmp_gt_u32_e32 vcc_lo, 24, v5
	v_cmp_ne_u32_e64 s3, 31, v5
	ds_bpermute_b32 v4, v2, v1
	v_cndmask_b32_e64 v3, 0, 8, vcc_lo
	s_delay_alu instid0(VALU_DEP_1)
	v_add_lshl_u32 v3, v3, v5, 2
	s_wait_dscnt 0x0
	v_cmp_u_f32_e32 vcc_lo, v4, v4
	v_cmp_lt_f32_e64 s2, v1, v4
	s_or_b32 vcc_lo, vcc_lo, s2
	v_cndmask_b32_e32 v4, v1, v4, vcc_lo
	v_cmp_gt_u32_e32 vcc_lo, 28, v5
	ds_bpermute_b32 v6, v3, v4
	v_cndmask_b32_e64 v1, 0, 4, vcc_lo
	s_delay_alu instid0(VALU_DEP_1)
	v_add_lshl_u32 v1, v1, v5, 2
	s_wait_dscnt 0x0
	v_cmp_u_f32_e32 vcc_lo, v6, v6
	v_cmp_lt_f32_e64 s2, v4, v6
	s_or_b32 vcc_lo, vcc_lo, s2
	v_cndmask_b32_e32 v6, v4, v6, vcc_lo
	v_cmp_gt_u32_e32 vcc_lo, 30, v5
	v_cndmask_b32_e64 v4, 0, 2, vcc_lo
	s_delay_alu instid0(VALU_DEP_1)
	v_add_lshl_u32 v4, v4, v5, 2
	v_add_co_ci_u32_e64 v5, null, 0, v5, s3
	s_mov_b32 s3, exec_lo
	v_lshlrev_b32_e32 v5, 2, v5
	ds_bpermute_b32 v7, v1, v6
	s_wait_dscnt 0x0
	v_cmp_u_f32_e32 vcc_lo, v7, v7
	v_cmp_lt_f32_e64 s2, v6, v7
	s_or_b32 vcc_lo, vcc_lo, s2
	v_cndmask_b32_e32 v6, v6, v7, vcc_lo
	ds_bpermute_b32 v7, v4, v6
	s_wait_dscnt 0x0
	v_cmp_u_f32_e32 vcc_lo, v7, v7
	v_cmp_lt_f32_e64 s2, v6, v7
	s_or_b32 vcc_lo, vcc_lo, s2
	s_delay_alu instid0(SALU_CYCLE_1)
	v_dual_cndmask_b32 v6, v6, v7, vcc_lo :: v_dual_bitop2_b32 v7, 31, v0 bitop3:0x40
	ds_bpermute_b32 v8, v5, v6
	v_cmpx_eq_u32_e32 0, v7
	s_cbranch_execz .LBB115_6
; %bb.5:
	s_wait_dscnt 0x0
	v_cmp_u_f32_e32 vcc_lo, v8, v8
	v_cmp_lt_f32_e64 s2, v6, v8
	s_or_b32 vcc_lo, vcc_lo, s2
	v_cndmask_b32_e32 v6, v6, v8, vcc_lo
	v_lshrrev_b32_e32 v8, 3, v0
	ds_store_b32 v8, v6
.LBB115_6:
	s_or_b32 exec_lo, exec_lo, s3
	s_wait_dscnt 0x0
	s_barrier_signal -1
	s_barrier_wait -1
	s_load_b32 s2, s[0:1], 0xc9c
	v_mov_b32_e32 v6, 0xff7fffff
	s_wait_kmcnt 0x0
	s_bfe_u32 s2, s2, 0xb0005
	s_delay_alu instid0(SALU_CYCLE_1)
	v_cmp_gt_u32_e32 vcc_lo, s2, v0
	s_and_saveexec_b32 s2, vcc_lo
; %bb.7:
	v_lshlrev_b32_e32 v6, 2, v7
	ds_load_b32 v6, v6
; %bb.8:
	s_or_b32 exec_lo, exec_lo, s2
	s_delay_alu instid0(SALU_CYCLE_1)
	s_mov_b32 s3, exec_lo
	v_cmpx_gt_u32_e32 32, v0
	s_cbranch_execz .LBB115_10
; %bb.9:
	s_wait_dscnt 0x0
	ds_bpermute_b32 v2, v2, v6
	s_wait_dscnt 0x0
	v_cmp_u_f32_e32 vcc_lo, v2, v2
	v_cmp_lt_f32_e64 s2, v6, v2
	s_or_b32 vcc_lo, vcc_lo, s2
	v_cndmask_b32_e32 v2, v6, v2, vcc_lo
	ds_bpermute_b32 v3, v3, v2
	s_wait_dscnt 0x0
	v_cmp_u_f32_e32 vcc_lo, v3, v3
	v_cmp_lt_f32_e64 s2, v2, v3
	s_or_b32 vcc_lo, vcc_lo, s2
	v_cndmask_b32_e32 v2, v2, v3, vcc_lo
	;; [unrolled: 6-line block ×5, first 2 shown]
.LBB115_10:
	s_or_b32 exec_lo, exec_lo, s3
	s_delay_alu instid0(SALU_CYCLE_1)
	s_mov_b32 s2, exec_lo
	v_cmpx_eq_u32_e32 0, v0
	s_cbranch_execz .LBB115_12
; %bb.11:
	s_wait_dscnt 0x0
	v_bfe_u32 v0, v6, 16, 1
	s_load_b64 s[0:1], s[0:1], s10 offset:0x8 scale_offset
	v_cmp_o_f32_e32 vcc_lo, v6, v6
	v_mov_b32_e32 v1, 0
	s_delay_alu instid0(VALU_DEP_3) | instskip(NEXT) | instid1(VALU_DEP_1)
	v_add3_u32 v0, v6, v0, 0x7fff
	v_lshrrev_b32_e32 v0, 16, v0
	s_delay_alu instid0(VALU_DEP_1)
	v_cndmask_b32_e32 v0, 0x7fc0, v0, vcc_lo
	s_wait_kmcnt 0x0
	global_store_b16 v1, v0, s[0:1]
.LBB115_12:
	s_endpgm
	.section	.rodata,"a",@progbits
	.p2align	6, 0x0
	.amdhsa_kernel _ZN2at6native14lpnorm_cleanupIN3c104HalfELNS0_8NormTypeE3ENS2_8BFloat16ELb1EfEEvPKT3_NS0_19TensorListAddressesEi
		.amdhsa_group_segment_fixed_size 2048
		.amdhsa_private_segment_fixed_size 0
		.amdhsa_kernarg_size 3472
		.amdhsa_user_sgpr_count 2
		.amdhsa_user_sgpr_dispatch_ptr 0
		.amdhsa_user_sgpr_queue_ptr 0
		.amdhsa_user_sgpr_kernarg_segment_ptr 1
		.amdhsa_user_sgpr_dispatch_id 0
		.amdhsa_user_sgpr_kernarg_preload_length 0
		.amdhsa_user_sgpr_kernarg_preload_offset 0
		.amdhsa_user_sgpr_private_segment_size 0
		.amdhsa_wavefront_size32 1
		.amdhsa_uses_dynamic_stack 0
		.amdhsa_enable_private_segment 0
		.amdhsa_system_sgpr_workgroup_id_x 1
		.amdhsa_system_sgpr_workgroup_id_y 0
		.amdhsa_system_sgpr_workgroup_id_z 0
		.amdhsa_system_sgpr_workgroup_info 0
		.amdhsa_system_vgpr_workitem_id 0
		.amdhsa_next_free_vgpr 9
		.amdhsa_next_free_sgpr 13
		.amdhsa_named_barrier_count 0
		.amdhsa_reserve_vcc 1
		.amdhsa_float_round_mode_32 0
		.amdhsa_float_round_mode_16_64 0
		.amdhsa_float_denorm_mode_32 3
		.amdhsa_float_denorm_mode_16_64 3
		.amdhsa_fp16_overflow 0
		.amdhsa_memory_ordered 1
		.amdhsa_forward_progress 1
		.amdhsa_inst_pref_size 8
		.amdhsa_round_robin_scheduling 0
		.amdhsa_exception_fp_ieee_invalid_op 0
		.amdhsa_exception_fp_denorm_src 0
		.amdhsa_exception_fp_ieee_div_zero 0
		.amdhsa_exception_fp_ieee_overflow 0
		.amdhsa_exception_fp_ieee_underflow 0
		.amdhsa_exception_fp_ieee_inexact 0
		.amdhsa_exception_int_div_zero 0
	.end_amdhsa_kernel
	.section	.text._ZN2at6native14lpnorm_cleanupIN3c104HalfELNS0_8NormTypeE3ENS2_8BFloat16ELb1EfEEvPKT3_NS0_19TensorListAddressesEi,"axG",@progbits,_ZN2at6native14lpnorm_cleanupIN3c104HalfELNS0_8NormTypeE3ENS2_8BFloat16ELb1EfEEvPKT3_NS0_19TensorListAddressesEi,comdat
.Lfunc_end115:
	.size	_ZN2at6native14lpnorm_cleanupIN3c104HalfELNS0_8NormTypeE3ENS2_8BFloat16ELb1EfEEvPKT3_NS0_19TensorListAddressesEi, .Lfunc_end115-_ZN2at6native14lpnorm_cleanupIN3c104HalfELNS0_8NormTypeE3ENS2_8BFloat16ELb1EfEEvPKT3_NS0_19TensorListAddressesEi
                                        ; -- End function
	.set _ZN2at6native14lpnorm_cleanupIN3c104HalfELNS0_8NormTypeE3ENS2_8BFloat16ELb1EfEEvPKT3_NS0_19TensorListAddressesEi.num_vgpr, 9
	.set _ZN2at6native14lpnorm_cleanupIN3c104HalfELNS0_8NormTypeE3ENS2_8BFloat16ELb1EfEEvPKT3_NS0_19TensorListAddressesEi.num_agpr, 0
	.set _ZN2at6native14lpnorm_cleanupIN3c104HalfELNS0_8NormTypeE3ENS2_8BFloat16ELb1EfEEvPKT3_NS0_19TensorListAddressesEi.numbered_sgpr, 13
	.set _ZN2at6native14lpnorm_cleanupIN3c104HalfELNS0_8NormTypeE3ENS2_8BFloat16ELb1EfEEvPKT3_NS0_19TensorListAddressesEi.num_named_barrier, 0
	.set _ZN2at6native14lpnorm_cleanupIN3c104HalfELNS0_8NormTypeE3ENS2_8BFloat16ELb1EfEEvPKT3_NS0_19TensorListAddressesEi.private_seg_size, 0
	.set _ZN2at6native14lpnorm_cleanupIN3c104HalfELNS0_8NormTypeE3ENS2_8BFloat16ELb1EfEEvPKT3_NS0_19TensorListAddressesEi.uses_vcc, 1
	.set _ZN2at6native14lpnorm_cleanupIN3c104HalfELNS0_8NormTypeE3ENS2_8BFloat16ELb1EfEEvPKT3_NS0_19TensorListAddressesEi.uses_flat_scratch, 0
	.set _ZN2at6native14lpnorm_cleanupIN3c104HalfELNS0_8NormTypeE3ENS2_8BFloat16ELb1EfEEvPKT3_NS0_19TensorListAddressesEi.has_dyn_sized_stack, 0
	.set _ZN2at6native14lpnorm_cleanupIN3c104HalfELNS0_8NormTypeE3ENS2_8BFloat16ELb1EfEEvPKT3_NS0_19TensorListAddressesEi.has_recursion, 0
	.set _ZN2at6native14lpnorm_cleanupIN3c104HalfELNS0_8NormTypeE3ENS2_8BFloat16ELb1EfEEvPKT3_NS0_19TensorListAddressesEi.has_indirect_call, 0
	.section	.AMDGPU.csdata,"",@progbits
; Kernel info:
; codeLenInByte = 912
; TotalNumSgprs: 15
; NumVgprs: 9
; ScratchSize: 0
; MemoryBound: 0
; FloatMode: 240
; IeeeMode: 1
; LDSByteSize: 2048 bytes/workgroup (compile time only)
; SGPRBlocks: 0
; VGPRBlocks: 0
; NumSGPRsForWavesPerEU: 15
; NumVGPRsForWavesPerEU: 9
; NamedBarCnt: 0
; Occupancy: 16
; WaveLimiterHint : 0
; COMPUTE_PGM_RSRC2:SCRATCH_EN: 0
; COMPUTE_PGM_RSRC2:USER_SGPR: 2
; COMPUTE_PGM_RSRC2:TRAP_HANDLER: 0
; COMPUTE_PGM_RSRC2:TGID_X_EN: 1
; COMPUTE_PGM_RSRC2:TGID_Y_EN: 0
; COMPUTE_PGM_RSRC2:TGID_Z_EN: 0
; COMPUTE_PGM_RSRC2:TIDIG_COMP_CNT: 0
	.section	.text._ZN2at6native12_GLOBAL__N_125multi_tensor_apply_kernelINS1_18TensorListMetadataILi1EEENS0_13LpNormFunctorIN3c108BFloat16ELNS0_8NormTypeE0EdLi1ELi1ELi0EEEJPdiEEEvT_T0_DpT1_,"axG",@progbits,_ZN2at6native12_GLOBAL__N_125multi_tensor_apply_kernelINS1_18TensorListMetadataILi1EEENS0_13LpNormFunctorIN3c108BFloat16ELNS0_8NormTypeE0EdLi1ELi1ELi0EEEJPdiEEEvT_T0_DpT1_,comdat
	.globl	_ZN2at6native12_GLOBAL__N_125multi_tensor_apply_kernelINS1_18TensorListMetadataILi1EEENS0_13LpNormFunctorIN3c108BFloat16ELNS0_8NormTypeE0EdLi1ELi1ELi0EEEJPdiEEEvT_T0_DpT1_ ; -- Begin function _ZN2at6native12_GLOBAL__N_125multi_tensor_apply_kernelINS1_18TensorListMetadataILi1EEENS0_13LpNormFunctorIN3c108BFloat16ELNS0_8NormTypeE0EdLi1ELi1ELi0EEEJPdiEEEvT_T0_DpT1_
	.p2align	8
	.type	_ZN2at6native12_GLOBAL__N_125multi_tensor_apply_kernelINS1_18TensorListMetadataILi1EEENS0_13LpNormFunctorIN3c108BFloat16ELNS0_8NormTypeE0EdLi1ELi1ELi0EEEJPdiEEEvT_T0_DpT1_,@function
_ZN2at6native12_GLOBAL__N_125multi_tensor_apply_kernelINS1_18TensorListMetadataILi1EEENS0_13LpNormFunctorIN3c108BFloat16ELNS0_8NormTypeE0EdLi1ELi1ELi0EEEJPdiEEEvT_T0_DpT1_: ; @_ZN2at6native12_GLOBAL__N_125multi_tensor_apply_kernelINS1_18TensorListMetadataILi1EEENS0_13LpNormFunctorIN3c108BFloat16ELNS0_8NormTypeE0EdLi1ELi1ELi0EEEJPdiEEEvT_T0_DpT1_
; %bb.0:
	s_bfe_u32 s2, ttmp6, 0x4000c
	s_and_b32 s3, ttmp6, 15
	s_add_co_i32 s2, s2, 1
	s_getreg_b32 s4, hwreg(HW_REG_IB_STS2, 6, 4)
	s_mul_i32 s2, ttmp9, s2
	s_delay_alu instid0(SALU_CYCLE_1)
	s_add_co_i32 s3, s3, s2
	s_cmp_eq_u32 s4, 0
	s_cselect_b32 s2, ttmp9, s3
	s_mov_b32 s3, 0
	v_mov_b32_e32 v1, s2
	s_add_nc_u64 s[4:5], s[0:1], s[2:3]
	s_mul_u64 s[6:7], s[2:3], 3
	s_delay_alu instid0(SALU_CYCLE_1) | instskip(SKIP_4) | instid1(SALU_CYCLE_1)
	s_add_nc_u64 s[4:5], s[4:5], s[6:7]
	global_load_u8 v21, v1, s[0:1] offset:1760
	s_load_b32 s4, s[4:5], 0x820
	s_wait_kmcnt 0x0
	s_ashr_i32 s5, s4, 31
	s_lshl_b64 s[10:11], s[4:5], 17
	s_lshl_b64 s[12:13], s[4:5], 16
	s_wait_loadcnt 0x0
	v_readfirstlane_b32 s2, v21
	s_and_b32 s2, s2, 0xff
	s_clause 0x1
	s_load_b64 s[6:7], s[0:1], s2 offset:0x0 scale_offset
	s_load_b64 s[8:9], s[0:1], s2 offset:0x370 scale_offset
	s_wait_kmcnt 0x0
	s_add_nc_u64 s[6:7], s[6:7], s[10:11]
	s_and_b32 s2, s8, 3
	s_and_b64 s[10:11], s[6:7], 7
	s_sub_nc_u64 s[8:9], s[8:9], s[12:13]
	s_or_b64 s[10:11], s[2:3], s[10:11]
	s_delay_alu instid0(SALU_CYCLE_1)
	s_cmp_eq_u64 s[10:11], 0
	s_cbranch_scc1 .LBB116_12
; %bb.1:
	v_cmp_lt_i64_e64 s2, s[8:9], 1
	s_and_b32 vcc_lo, exec_lo, s2
	s_cbranch_vccnz .LBB116_28
; %bb.2:
	s_load_b32 s2, s[0:1], 0xd4c
	v_min_i64 v[18:19], 0x10000, s[8:9]
	s_mov_b32 s11, 0
	s_mov_b64 s[12:13], 0
	s_wait_kmcnt 0x0
	s_and_b32 s2, s2, 0xffff
	s_delay_alu instid0(SALU_CYCLE_1) | instskip(SKIP_3) | instid1(VALU_DEP_3)
	v_dual_mov_b32 v11, 0 :: v_dual_add_nc_u32 v24, s2, v0
	v_mad_u32 v20, s2, 3, v0
	v_lshl_add_u32 v22, s2, 1, v0
	s_lshl_b32 s10, s2, 2
	v_dual_mov_b32 v10, v11 :: v_dual_mov_b32 v12, v11
	v_dual_mov_b32 v13, v11 :: v_dual_mov_b32 v14, v11
	;; [unrolled: 1-line block ×3, first 2 shown]
	v_mov_b32_e32 v17, v11
	s_delay_alu instid0(VALU_DEP_4) | instskip(NEXT) | instid1(VALU_DEP_4)
	v_mov_b64_e32 v[2:3], v[10:11]
	v_mov_b64_e32 v[4:5], v[12:13]
	s_delay_alu instid0(VALU_DEP_4) | instskip(NEXT) | instid1(VALU_DEP_4)
	v_mov_b64_e32 v[6:7], v[14:15]
	v_mov_b64_e32 v[8:9], v[16:17]
	s_branch .LBB116_4
.LBB116_3:                              ;   in Loop: Header=BB116_4 Depth=1
	s_or_b32 exec_lo, exec_lo, s2
	s_add_nc_u64 s[12:13], s[12:13], s[10:11]
	s_delay_alu instid0(SALU_CYCLE_1)
	v_cmp_lt_i64_e32 vcc_lo, s[12:13], v[18:19]
	s_cbranch_vccz .LBB116_13
.LBB116_4:                              ; =>This Inner Loop Header: Depth=1
	v_add_nc_u32_e32 v10, s12, v0
	s_delay_alu instid0(VALU_DEP_1) | instskip(SKIP_2) | instid1(SALU_CYCLE_1)
	v_cmp_gt_i64_e32 vcc_lo, s[8:9], v[10:11]
	v_cmp_gt_u32_e64 s2, 0x10000, v10
	s_and_b32 s5, s2, vcc_lo
	s_and_saveexec_b32 s2, s5
	s_cbranch_execz .LBB116_6
; %bb.5:                                ;   in Loop: Header=BB116_4 Depth=1
	v_lshl_add_u64 v[12:13], v[10:11], 1, s[6:7]
	global_load_u16 v1, v[12:13], off
	s_wait_xcnt 0x0
	v_mov_b32_e32 v12, v11
	s_wait_loadcnt 0x0
	v_and_b32_e32 v1, 0x7fff, v1
	s_delay_alu instid0(VALU_DEP_1) | instskip(SKIP_1) | instid1(VALU_DEP_1)
	v_cmp_eq_u16_e32 vcc_lo, 0, v1
	v_cndmask_b32_e64 v13, 0x3ff00000, 0, vcc_lo
	v_add_f64_e32 v[2:3], v[2:3], v[12:13]
.LBB116_6:                              ;   in Loop: Header=BB116_4 Depth=1
	s_or_b32 exec_lo, exec_lo, s2
	v_add_nc_u32_e32 v10, s12, v24
	s_delay_alu instid0(VALU_DEP_1) | instskip(SKIP_2) | instid1(SALU_CYCLE_1)
	v_cmp_gt_i64_e32 vcc_lo, s[8:9], v[10:11]
	v_cmp_gt_u32_e64 s2, 0x10000, v10
	s_and_b32 s5, s2, vcc_lo
	s_and_saveexec_b32 s2, s5
	s_cbranch_execz .LBB116_8
; %bb.7:                                ;   in Loop: Header=BB116_4 Depth=1
	v_lshl_add_u64 v[12:13], v[10:11], 1, s[6:7]
	global_load_u16 v1, v[12:13], off
	s_wait_xcnt 0x0
	v_mov_b32_e32 v12, v11
	s_wait_loadcnt 0x0
	v_and_b32_e32 v1, 0x7fff, v1
	s_delay_alu instid0(VALU_DEP_1) | instskip(SKIP_1) | instid1(VALU_DEP_1)
	v_cmp_eq_u16_e32 vcc_lo, 0, v1
	v_cndmask_b32_e64 v13, 0x3ff00000, 0, vcc_lo
	v_add_f64_e32 v[4:5], v[4:5], v[12:13]
.LBB116_8:                              ;   in Loop: Header=BB116_4 Depth=1
	s_or_b32 exec_lo, exec_lo, s2
	v_add_nc_u32_e32 v10, s12, v22
	s_delay_alu instid0(VALU_DEP_1) | instskip(SKIP_2) | instid1(SALU_CYCLE_1)
	v_cmp_gt_i64_e32 vcc_lo, s[8:9], v[10:11]
	v_cmp_gt_u32_e64 s2, 0x10000, v10
	s_and_b32 s5, s2, vcc_lo
	s_and_saveexec_b32 s2, s5
	s_cbranch_execz .LBB116_10
; %bb.9:                                ;   in Loop: Header=BB116_4 Depth=1
	v_lshl_add_u64 v[12:13], v[10:11], 1, s[6:7]
	global_load_u16 v1, v[12:13], off
	s_wait_xcnt 0x0
	v_mov_b32_e32 v12, v11
	s_wait_loadcnt 0x0
	v_and_b32_e32 v1, 0x7fff, v1
	s_delay_alu instid0(VALU_DEP_1) | instskip(SKIP_1) | instid1(VALU_DEP_1)
	v_cmp_eq_u16_e32 vcc_lo, 0, v1
	v_cndmask_b32_e64 v13, 0x3ff00000, 0, vcc_lo
	v_add_f64_e32 v[6:7], v[6:7], v[12:13]
.LBB116_10:                             ;   in Loop: Header=BB116_4 Depth=1
	s_or_b32 exec_lo, exec_lo, s2
	v_add_nc_u32_e32 v10, s12, v20
	s_delay_alu instid0(VALU_DEP_1) | instskip(SKIP_2) | instid1(SALU_CYCLE_1)
	v_cmp_gt_i64_e32 vcc_lo, s[8:9], v[10:11]
	v_cmp_gt_u32_e64 s2, 0x10000, v10
	s_and_b32 s5, s2, vcc_lo
	s_and_saveexec_b32 s2, s5
	s_cbranch_execz .LBB116_3
; %bb.11:                               ;   in Loop: Header=BB116_4 Depth=1
	v_lshl_add_u64 v[12:13], v[10:11], 1, s[6:7]
	global_load_u16 v1, v[12:13], off
	s_wait_xcnt 0x0
	v_mov_b32_e32 v12, v11
	s_wait_loadcnt 0x0
	v_and_b32_e32 v1, 0x7fff, v1
	s_delay_alu instid0(VALU_DEP_1) | instskip(SKIP_1) | instid1(VALU_DEP_1)
	v_cmp_eq_u16_e32 vcc_lo, 0, v1
	v_cndmask_b32_e64 v13, 0x3ff00000, 0, vcc_lo
	v_add_f64_e32 v[8:9], v[8:9], v[12:13]
	s_branch .LBB116_3
.LBB116_12:
	s_mov_b32 s3, -1
                                        ; implicit-def: $vgpr2_vgpr3_vgpr4_vgpr5_vgpr6_vgpr7_vgpr8_vgpr9
.LBB116_13:
	s_delay_alu instid0(SALU_CYCLE_1)
	s_and_not1_b32 vcc_lo, exec_lo, s3
	s_cbranch_vccnz .LBB116_19
.LBB116_14:
	v_min_i64 v[12:13], 0x10000, s[8:9]
	v_dual_mov_b32 v3, 0 :: v_dual_lshlrev_b32 v2, 2, v0
	s_mov_b32 s3, 0
	s_delay_alu instid0(VALU_DEP_1)
	v_dual_mov_b32 v4, v3 :: v_dual_mov_b32 v5, v3
	v_dual_mov_b32 v6, v3 :: v_dual_mov_b32 v7, v3
	;; [unrolled: 1-line block ×3, first 2 shown]
	v_cmp_lt_i64_e32 vcc_lo, v[2:3], v[12:13]
	v_mov_b32_e32 v2, v3
	s_and_saveexec_b32 s5, vcc_lo
	s_cbranch_execz .LBB116_18
; %bb.15:
	s_load_b32 s2, s[0:1], 0xd4c
	v_dual_mov_b32 v1, v3 :: v_dual_lshlrev_b32 v2, 3, v0
	v_mov_b64_e32 v[4:5], 0
	v_mov_b64_e32 v[6:7], 0
	;; [unrolled: 1-line block ×4, first 2 shown]
	v_add_nc_u64_e32 v[14:15], s[6:7], v[2:3]
	v_mov_b64_e32 v[16:17], v[0:1]
	s_mov_b32 s7, s3
	s_mov_b32 s8, s3
	s_wait_kmcnt 0x0
	s_and_b32 s2, s2, 0xffff
	s_delay_alu instid0(SALU_CYCLE_1)
	s_lshl_b32 s6, s2, 3
.LBB116_16:                             ; =>This Inner Loop Header: Depth=1
	global_load_b64 v[18:19], v[14:15], off
	v_dual_mov_b32 v26, v3 :: v_dual_mov_b32 v28, v3
	v_dual_mov_b32 v30, v3 :: v_dual_mov_b32 v32, v3
	v_dual_mov_b32 v22, v3 :: v_dual_mov_b32 v24, v3
	v_add_nc_u64_e32 v[16:17], s[2:3], v[16:17]
	s_wait_xcnt 0x0
	v_add_nc_u64_e32 v[14:15], s[6:7], v[14:15]
	s_wait_loadcnt 0x0
	v_and_b32_e32 v2, 0x7fff, v18
	v_and_b32_e32 v27, 0x7fff, v19
	;; [unrolled: 1-line block ×3, first 2 shown]
	s_delay_alu instid0(VALU_DEP_3) | instskip(SKIP_4) | instid1(VALU_DEP_2)
	v_cmp_eq_u64_e32 vcc_lo, 0, v[2:3]
	v_and_b32_e32 v2, 0x7fff0000, v18
	v_lshlrev_b64_e32 v[18:19], 2, v[16:17]
	v_cndmask_b32_e64 v23, 0x3ff00000, 0, vcc_lo
	v_cmp_eq_u64_e32 vcc_lo, 0, v[26:27]
	v_add_f64_e32 v[4:5], v[4:5], v[22:23]
	v_cndmask_b32_e64 v29, 0x3ff00000, 0, vcc_lo
	v_cmp_eq_u64_e32 vcc_lo, 0, v[30:31]
	s_delay_alu instid0(VALU_DEP_2) | instskip(SKIP_2) | instid1(VALU_DEP_2)
	v_add_f64_e32 v[8:9], v[8:9], v[28:29]
	v_cndmask_b32_e64 v33, 0x3ff00000, 0, vcc_lo
	v_cmp_eq_u64_e32 vcc_lo, 0, v[2:3]
	v_add_f64_e32 v[10:11], v[10:11], v[32:33]
	v_cndmask_b32_e64 v25, 0x3ff00000, 0, vcc_lo
	v_cmp_ge_i64_e32 vcc_lo, v[18:19], v[12:13]
	s_delay_alu instid0(VALU_DEP_2) | instskip(SKIP_1) | instid1(SALU_CYCLE_1)
	v_add_f64_e32 v[6:7], v[6:7], v[24:25]
	s_or_b32 s8, vcc_lo, s8
	s_and_not1_b32 exec_lo, exec_lo, s8
	s_cbranch_execnz .LBB116_16
; %bb.17:
	s_or_b32 exec_lo, exec_lo, s8
	v_mov_b64_e32 v[2:3], v[4:5]
	s_delay_alu instid0(VALU_DEP_2)
	v_mov_b64_e32 v[4:5], v[6:7]
	v_mov_b64_e32 v[6:7], v[8:9]
	;; [unrolled: 1-line block ×3, first 2 shown]
.LBB116_18:
	s_or_b32 exec_lo, exec_lo, s5
.LBB116_19:
	s_delay_alu instid0(VALU_DEP_1) | instskip(SKIP_3) | instid1(VALU_DEP_1)
	v_add_f64_e32 v[2:3], 0, v[2:3]
	s_mov_b32 s2, exec_lo
	s_barrier_signal -1
	s_barrier_wait -1
	v_dual_add_f64 v[2:3], v[4:5], v[2:3] :: v_dual_bitop2_b32 v10, 31, v0 bitop3:0x40
	s_delay_alu instid0(VALU_DEP_1) | instskip(NEXT) | instid1(VALU_DEP_1)
	v_add_f64_e32 v[2:3], v[6:7], v[2:3]
	v_add_f64_e32 v[2:3], v[8:9], v[2:3]
	v_mbcnt_lo_u32_b32 v9, -1, 0
	s_delay_alu instid0(VALU_DEP_1)
	v_lshl_or_b32 v1, v9, 2, 64
	v_cmp_gt_u32_e32 vcc_lo, 24, v9
	ds_bpermute_b32 v4, v1, v2
	ds_bpermute_b32 v5, v1, v3
	s_wait_dscnt 0x0
	v_add_f64_e32 v[2:3], v[2:3], v[4:5]
	v_cndmask_b32_e64 v4, 0, 8, vcc_lo
	v_cmp_gt_u32_e32 vcc_lo, 28, v9
	s_delay_alu instid0(VALU_DEP_2)
	v_add_lshl_u32 v6, v4, v9, 2
	ds_bpermute_b32 v4, v6, v2
	ds_bpermute_b32 v5, v6, v3
	s_wait_dscnt 0x0
	v_add_f64_e32 v[2:3], v[2:3], v[4:5]
	v_cndmask_b32_e64 v4, 0, 4, vcc_lo
	v_cmp_gt_u32_e32 vcc_lo, 30, v9
	s_delay_alu instid0(VALU_DEP_2)
	v_add_lshl_u32 v7, v4, v9, 2
	ds_bpermute_b32 v4, v7, v2
	ds_bpermute_b32 v5, v7, v3
	s_wait_dscnt 0x0
	v_add_f64_e32 v[2:3], v[2:3], v[4:5]
	v_cndmask_b32_e64 v4, 0, 2, vcc_lo
	v_cmp_ne_u32_e32 vcc_lo, 31, v9
	s_delay_alu instid0(VALU_DEP_2)
	v_add_lshl_u32 v8, v4, v9, 2
	ds_bpermute_b32 v4, v8, v2
	ds_bpermute_b32 v5, v8, v3
	s_wait_dscnt 0x0
	v_add_f64_e32 v[2:3], v[2:3], v[4:5]
	v_add_co_ci_u32_e64 v4, null, 0, v9, vcc_lo
	s_delay_alu instid0(VALU_DEP_1)
	v_lshlrev_b32_e32 v9, 2, v4
	ds_bpermute_b32 v4, v9, v2
	ds_bpermute_b32 v5, v9, v3
	v_cmpx_eq_u32_e32 0, v10
	s_cbranch_execz .LBB116_21
; %bb.20:
	s_wait_dscnt 0x0
	v_add_f64_e32 v[2:3], v[2:3], v[4:5]
	v_lshrrev_b32_e32 v4, 2, v0
	ds_store_b64 v4, v[2:3]
.LBB116_21:
	s_or_b32 exec_lo, exec_lo, s2
	s_wait_dscnt 0x0
	s_barrier_signal -1
	s_barrier_wait -1
	s_load_b32 s2, s[0:1], 0xd4c
	v_mov_b64_e32 v[2:3], 0
	s_wait_kmcnt 0x0
	s_bfe_u32 s2, s2, 0xb0005
	s_delay_alu instid0(SALU_CYCLE_1)
	v_cmp_gt_u32_e32 vcc_lo, s2, v0
	s_and_saveexec_b32 s2, vcc_lo
; %bb.22:
	v_lshlrev_b32_e32 v2, 3, v10
	ds_load_b64 v[2:3], v2
; %bb.23:
	s_or_b32 exec_lo, exec_lo, s2
	s_delay_alu instid0(SALU_CYCLE_1)
	s_mov_b32 s2, exec_lo
	v_cmpx_gt_u32_e32 32, v0
	s_cbranch_execz .LBB116_25
; %bb.24:
	s_wait_dscnt 0x0
	ds_bpermute_b32 v4, v1, v2
	ds_bpermute_b32 v5, v1, v3
	s_wait_dscnt 0x0
	v_add_f64_e32 v[2:3], v[2:3], v[4:5]
	ds_bpermute_b32 v4, v6, v2
	ds_bpermute_b32 v5, v6, v3
	s_wait_dscnt 0x0
	v_add_f64_e32 v[2:3], v[2:3], v[4:5]
	;; [unrolled: 4-line block ×5, first 2 shown]
.LBB116_25:
	s_or_b32 exec_lo, exec_lo, s2
	s_delay_alu instid0(SALU_CYCLE_1)
	s_mov_b32 s2, exec_lo
	v_cmpx_eq_u32_e32 0, v0
	s_cbranch_execz .LBB116_27
; %bb.26:
	s_clause 0x1
	s_load_b32 s2, s[0:1], 0xd20
	s_load_b96 s[8:10], s[0:1], 0xd30
	v_and_b32_e32 v0, 0xff, v21
	s_wait_kmcnt 0x0
	s_delay_alu instid0(VALU_DEP_1) | instskip(NEXT) | instid1(VALU_DEP_1)
	v_add_nc_u32_e32 v0, s2, v0
	v_mul_lo_u32 v0, v0, s10
	s_delay_alu instid0(VALU_DEP_1)
	v_add_nc_u32_e32 v0, s4, v0
	s_wait_dscnt 0x0
	global_store_b64 v0, v[2:3], s[8:9] scale_offset
.LBB116_27:
	s_endpgm
.LBB116_28:
	v_mov_b32_e32 v2, 0
	s_delay_alu instid0(VALU_DEP_1)
	v_dual_mov_b32 v3, v2 :: v_dual_mov_b32 v4, v2
	v_dual_mov_b32 v5, v2 :: v_dual_mov_b32 v6, v2
	;; [unrolled: 1-line block ×3, first 2 shown]
	v_mov_b32_e32 v9, v2
	s_and_not1_b32 vcc_lo, exec_lo, s3
	s_cbranch_vccz .LBB116_14
	s_branch .LBB116_19
	.section	.rodata,"a",@progbits
	.p2align	6, 0x0
	.amdhsa_kernel _ZN2at6native12_GLOBAL__N_125multi_tensor_apply_kernelINS1_18TensorListMetadataILi1EEENS0_13LpNormFunctorIN3c108BFloat16ELNS0_8NormTypeE0EdLi1ELi1ELi0EEEJPdiEEEvT_T0_DpT1_
		.amdhsa_group_segment_fixed_size 4096
		.amdhsa_private_segment_fixed_size 0
		.amdhsa_kernarg_size 3648
		.amdhsa_user_sgpr_count 2
		.amdhsa_user_sgpr_dispatch_ptr 0
		.amdhsa_user_sgpr_queue_ptr 0
		.amdhsa_user_sgpr_kernarg_segment_ptr 1
		.amdhsa_user_sgpr_dispatch_id 0
		.amdhsa_user_sgpr_kernarg_preload_length 0
		.amdhsa_user_sgpr_kernarg_preload_offset 0
		.amdhsa_user_sgpr_private_segment_size 0
		.amdhsa_wavefront_size32 1
		.amdhsa_uses_dynamic_stack 0
		.amdhsa_enable_private_segment 0
		.amdhsa_system_sgpr_workgroup_id_x 1
		.amdhsa_system_sgpr_workgroup_id_y 0
		.amdhsa_system_sgpr_workgroup_id_z 0
		.amdhsa_system_sgpr_workgroup_info 0
		.amdhsa_system_vgpr_workitem_id 0
		.amdhsa_next_free_vgpr 34
		.amdhsa_next_free_sgpr 14
		.amdhsa_named_barrier_count 0
		.amdhsa_reserve_vcc 1
		.amdhsa_float_round_mode_32 0
		.amdhsa_float_round_mode_16_64 0
		.amdhsa_float_denorm_mode_32 3
		.amdhsa_float_denorm_mode_16_64 3
		.amdhsa_fp16_overflow 0
		.amdhsa_memory_ordered 1
		.amdhsa_forward_progress 1
		.amdhsa_inst_pref_size 14
		.amdhsa_round_robin_scheduling 0
		.amdhsa_exception_fp_ieee_invalid_op 0
		.amdhsa_exception_fp_denorm_src 0
		.amdhsa_exception_fp_ieee_div_zero 0
		.amdhsa_exception_fp_ieee_overflow 0
		.amdhsa_exception_fp_ieee_underflow 0
		.amdhsa_exception_fp_ieee_inexact 0
		.amdhsa_exception_int_div_zero 0
	.end_amdhsa_kernel
	.section	.text._ZN2at6native12_GLOBAL__N_125multi_tensor_apply_kernelINS1_18TensorListMetadataILi1EEENS0_13LpNormFunctorIN3c108BFloat16ELNS0_8NormTypeE0EdLi1ELi1ELi0EEEJPdiEEEvT_T0_DpT1_,"axG",@progbits,_ZN2at6native12_GLOBAL__N_125multi_tensor_apply_kernelINS1_18TensorListMetadataILi1EEENS0_13LpNormFunctorIN3c108BFloat16ELNS0_8NormTypeE0EdLi1ELi1ELi0EEEJPdiEEEvT_T0_DpT1_,comdat
.Lfunc_end116:
	.size	_ZN2at6native12_GLOBAL__N_125multi_tensor_apply_kernelINS1_18TensorListMetadataILi1EEENS0_13LpNormFunctorIN3c108BFloat16ELNS0_8NormTypeE0EdLi1ELi1ELi0EEEJPdiEEEvT_T0_DpT1_, .Lfunc_end116-_ZN2at6native12_GLOBAL__N_125multi_tensor_apply_kernelINS1_18TensorListMetadataILi1EEENS0_13LpNormFunctorIN3c108BFloat16ELNS0_8NormTypeE0EdLi1ELi1ELi0EEEJPdiEEEvT_T0_DpT1_
                                        ; -- End function
	.set _ZN2at6native12_GLOBAL__N_125multi_tensor_apply_kernelINS1_18TensorListMetadataILi1EEENS0_13LpNormFunctorIN3c108BFloat16ELNS0_8NormTypeE0EdLi1ELi1ELi0EEEJPdiEEEvT_T0_DpT1_.num_vgpr, 34
	.set _ZN2at6native12_GLOBAL__N_125multi_tensor_apply_kernelINS1_18TensorListMetadataILi1EEENS0_13LpNormFunctorIN3c108BFloat16ELNS0_8NormTypeE0EdLi1ELi1ELi0EEEJPdiEEEvT_T0_DpT1_.num_agpr, 0
	.set _ZN2at6native12_GLOBAL__N_125multi_tensor_apply_kernelINS1_18TensorListMetadataILi1EEENS0_13LpNormFunctorIN3c108BFloat16ELNS0_8NormTypeE0EdLi1ELi1ELi0EEEJPdiEEEvT_T0_DpT1_.numbered_sgpr, 14
	.set _ZN2at6native12_GLOBAL__N_125multi_tensor_apply_kernelINS1_18TensorListMetadataILi1EEENS0_13LpNormFunctorIN3c108BFloat16ELNS0_8NormTypeE0EdLi1ELi1ELi0EEEJPdiEEEvT_T0_DpT1_.num_named_barrier, 0
	.set _ZN2at6native12_GLOBAL__N_125multi_tensor_apply_kernelINS1_18TensorListMetadataILi1EEENS0_13LpNormFunctorIN3c108BFloat16ELNS0_8NormTypeE0EdLi1ELi1ELi0EEEJPdiEEEvT_T0_DpT1_.private_seg_size, 0
	.set _ZN2at6native12_GLOBAL__N_125multi_tensor_apply_kernelINS1_18TensorListMetadataILi1EEENS0_13LpNormFunctorIN3c108BFloat16ELNS0_8NormTypeE0EdLi1ELi1ELi0EEEJPdiEEEvT_T0_DpT1_.uses_vcc, 1
	.set _ZN2at6native12_GLOBAL__N_125multi_tensor_apply_kernelINS1_18TensorListMetadataILi1EEENS0_13LpNormFunctorIN3c108BFloat16ELNS0_8NormTypeE0EdLi1ELi1ELi0EEEJPdiEEEvT_T0_DpT1_.uses_flat_scratch, 0
	.set _ZN2at6native12_GLOBAL__N_125multi_tensor_apply_kernelINS1_18TensorListMetadataILi1EEENS0_13LpNormFunctorIN3c108BFloat16ELNS0_8NormTypeE0EdLi1ELi1ELi0EEEJPdiEEEvT_T0_DpT1_.has_dyn_sized_stack, 0
	.set _ZN2at6native12_GLOBAL__N_125multi_tensor_apply_kernelINS1_18TensorListMetadataILi1EEENS0_13LpNormFunctorIN3c108BFloat16ELNS0_8NormTypeE0EdLi1ELi1ELi0EEEJPdiEEEvT_T0_DpT1_.has_recursion, 0
	.set _ZN2at6native12_GLOBAL__N_125multi_tensor_apply_kernelINS1_18TensorListMetadataILi1EEENS0_13LpNormFunctorIN3c108BFloat16ELNS0_8NormTypeE0EdLi1ELi1ELi0EEEJPdiEEEvT_T0_DpT1_.has_indirect_call, 0
	.section	.AMDGPU.csdata,"",@progbits
; Kernel info:
; codeLenInByte = 1792
; TotalNumSgprs: 16
; NumVgprs: 34
; ScratchSize: 0
; MemoryBound: 0
; FloatMode: 240
; IeeeMode: 1
; LDSByteSize: 4096 bytes/workgroup (compile time only)
; SGPRBlocks: 0
; VGPRBlocks: 2
; NumSGPRsForWavesPerEU: 16
; NumVGPRsForWavesPerEU: 34
; NamedBarCnt: 0
; Occupancy: 16
; WaveLimiterHint : 0
; COMPUTE_PGM_RSRC2:SCRATCH_EN: 0
; COMPUTE_PGM_RSRC2:USER_SGPR: 2
; COMPUTE_PGM_RSRC2:TRAP_HANDLER: 0
; COMPUTE_PGM_RSRC2:TGID_X_EN: 1
; COMPUTE_PGM_RSRC2:TGID_Y_EN: 0
; COMPUTE_PGM_RSRC2:TGID_Z_EN: 0
; COMPUTE_PGM_RSRC2:TIDIG_COMP_CNT: 0
	.section	.text._ZN2at6native12_GLOBAL__N_125multi_tensor_apply_kernelINS1_18TensorListMetadataILi1EEENS0_13LpNormFunctorIN3c108BFloat16ELNS0_8NormTypeE1EdLi1ELi1ELi0EEEJPdiEEEvT_T0_DpT1_,"axG",@progbits,_ZN2at6native12_GLOBAL__N_125multi_tensor_apply_kernelINS1_18TensorListMetadataILi1EEENS0_13LpNormFunctorIN3c108BFloat16ELNS0_8NormTypeE1EdLi1ELi1ELi0EEEJPdiEEEvT_T0_DpT1_,comdat
	.globl	_ZN2at6native12_GLOBAL__N_125multi_tensor_apply_kernelINS1_18TensorListMetadataILi1EEENS0_13LpNormFunctorIN3c108BFloat16ELNS0_8NormTypeE1EdLi1ELi1ELi0EEEJPdiEEEvT_T0_DpT1_ ; -- Begin function _ZN2at6native12_GLOBAL__N_125multi_tensor_apply_kernelINS1_18TensorListMetadataILi1EEENS0_13LpNormFunctorIN3c108BFloat16ELNS0_8NormTypeE1EdLi1ELi1ELi0EEEJPdiEEEvT_T0_DpT1_
	.p2align	8
	.type	_ZN2at6native12_GLOBAL__N_125multi_tensor_apply_kernelINS1_18TensorListMetadataILi1EEENS0_13LpNormFunctorIN3c108BFloat16ELNS0_8NormTypeE1EdLi1ELi1ELi0EEEJPdiEEEvT_T0_DpT1_,@function
_ZN2at6native12_GLOBAL__N_125multi_tensor_apply_kernelINS1_18TensorListMetadataILi1EEENS0_13LpNormFunctorIN3c108BFloat16ELNS0_8NormTypeE1EdLi1ELi1ELi0EEEJPdiEEEvT_T0_DpT1_: ; @_ZN2at6native12_GLOBAL__N_125multi_tensor_apply_kernelINS1_18TensorListMetadataILi1EEENS0_13LpNormFunctorIN3c108BFloat16ELNS0_8NormTypeE1EdLi1ELi1ELi0EEEJPdiEEEvT_T0_DpT1_
; %bb.0:
	s_bfe_u32 s2, ttmp6, 0x4000c
	s_and_b32 s3, ttmp6, 15
	s_add_co_i32 s2, s2, 1
	s_getreg_b32 s4, hwreg(HW_REG_IB_STS2, 6, 4)
	s_mul_i32 s2, ttmp9, s2
	s_delay_alu instid0(SALU_CYCLE_1)
	s_add_co_i32 s3, s3, s2
	s_cmp_eq_u32 s4, 0
	s_cselect_b32 s2, ttmp9, s3
	s_mov_b32 s3, 0
	v_mov_b32_e32 v1, s2
	s_add_nc_u64 s[4:5], s[0:1], s[2:3]
	s_mul_u64 s[6:7], s[2:3], 3
	s_delay_alu instid0(SALU_CYCLE_1) | instskip(SKIP_4) | instid1(SALU_CYCLE_1)
	s_add_nc_u64 s[4:5], s[4:5], s[6:7]
	global_load_u8 v21, v1, s[0:1] offset:1760
	s_load_b32 s4, s[4:5], 0x820
	s_wait_kmcnt 0x0
	s_ashr_i32 s5, s4, 31
	s_lshl_b64 s[10:11], s[4:5], 17
	s_lshl_b64 s[12:13], s[4:5], 16
	s_wait_loadcnt 0x0
	v_readfirstlane_b32 s2, v21
	s_and_b32 s2, s2, 0xff
	s_clause 0x1
	s_load_b64 s[6:7], s[0:1], s2 offset:0x0 scale_offset
	s_load_b64 s[8:9], s[0:1], s2 offset:0x370 scale_offset
	s_wait_kmcnt 0x0
	s_add_nc_u64 s[6:7], s[6:7], s[10:11]
	s_and_b32 s2, s8, 3
	s_and_b64 s[10:11], s[6:7], 7
	s_sub_nc_u64 s[8:9], s[8:9], s[12:13]
	s_or_b64 s[10:11], s[2:3], s[10:11]
	s_delay_alu instid0(SALU_CYCLE_1)
	s_cmp_eq_u64 s[10:11], 0
	s_cbranch_scc1 .LBB117_12
; %bb.1:
	v_cmp_lt_i64_e64 s2, s[8:9], 1
	s_and_b32 vcc_lo, exec_lo, s2
	s_cbranch_vccnz .LBB117_28
; %bb.2:
	s_load_b32 s2, s[0:1], 0xd4c
	v_min_i64 v[18:19], 0x10000, s[8:9]
	s_mov_b32 s11, 0
	s_mov_b64 s[12:13], 0
	s_wait_kmcnt 0x0
	s_and_b32 s2, s2, 0xffff
	s_delay_alu instid0(SALU_CYCLE_1) | instskip(SKIP_3) | instid1(VALU_DEP_3)
	v_dual_mov_b32 v11, 0 :: v_dual_add_nc_u32 v24, s2, v0
	v_mad_u32 v20, s2, 3, v0
	v_lshl_add_u32 v22, s2, 1, v0
	s_lshl_b32 s10, s2, 2
	v_dual_mov_b32 v10, v11 :: v_dual_mov_b32 v12, v11
	v_dual_mov_b32 v13, v11 :: v_dual_mov_b32 v14, v11
	;; [unrolled: 1-line block ×3, first 2 shown]
	v_mov_b32_e32 v17, v11
	s_delay_alu instid0(VALU_DEP_4) | instskip(NEXT) | instid1(VALU_DEP_4)
	v_mov_b64_e32 v[2:3], v[10:11]
	v_mov_b64_e32 v[4:5], v[12:13]
	s_delay_alu instid0(VALU_DEP_4) | instskip(NEXT) | instid1(VALU_DEP_4)
	v_mov_b64_e32 v[6:7], v[14:15]
	v_mov_b64_e32 v[8:9], v[16:17]
	s_branch .LBB117_4
.LBB117_3:                              ;   in Loop: Header=BB117_4 Depth=1
	s_or_b32 exec_lo, exec_lo, s2
	s_add_nc_u64 s[12:13], s[12:13], s[10:11]
	s_delay_alu instid0(SALU_CYCLE_1)
	v_cmp_lt_i64_e32 vcc_lo, s[12:13], v[18:19]
	s_cbranch_vccz .LBB117_13
.LBB117_4:                              ; =>This Inner Loop Header: Depth=1
	v_add_nc_u32_e32 v10, s12, v0
	s_delay_alu instid0(VALU_DEP_1) | instskip(SKIP_2) | instid1(SALU_CYCLE_1)
	v_cmp_gt_i64_e32 vcc_lo, s[8:9], v[10:11]
	v_cmp_gt_u32_e64 s2, 0x10000, v10
	s_and_b32 s5, s2, vcc_lo
	s_and_saveexec_b32 s2, s5
	s_cbranch_execz .LBB117_6
; %bb.5:                                ;   in Loop: Header=BB117_4 Depth=1
	v_lshl_add_u64 v[12:13], v[10:11], 1, s[6:7]
	global_load_u16 v1, v[12:13], off
	s_wait_loadcnt 0x0
	v_lshlrev_b32_e32 v1, 16, v1
	s_delay_alu instid0(VALU_DEP_1) | instskip(NEXT) | instid1(VALU_DEP_1)
	v_cvt_f64_f32_e64 v[12:13], |v1|
	v_add_f64_e32 v[2:3], v[2:3], v[12:13]
.LBB117_6:                              ;   in Loop: Header=BB117_4 Depth=1
	s_or_b32 exec_lo, exec_lo, s2
	v_add_nc_u32_e32 v10, s12, v24
	s_delay_alu instid0(VALU_DEP_1) | instskip(SKIP_2) | instid1(SALU_CYCLE_1)
	v_cmp_gt_i64_e32 vcc_lo, s[8:9], v[10:11]
	v_cmp_gt_u32_e64 s2, 0x10000, v10
	s_and_b32 s5, s2, vcc_lo
	s_and_saveexec_b32 s2, s5
	s_cbranch_execz .LBB117_8
; %bb.7:                                ;   in Loop: Header=BB117_4 Depth=1
	v_lshl_add_u64 v[12:13], v[10:11], 1, s[6:7]
	global_load_u16 v1, v[12:13], off
	s_wait_loadcnt 0x0
	v_lshlrev_b32_e32 v1, 16, v1
	s_delay_alu instid0(VALU_DEP_1) | instskip(NEXT) | instid1(VALU_DEP_1)
	v_cvt_f64_f32_e64 v[12:13], |v1|
	v_add_f64_e32 v[4:5], v[4:5], v[12:13]
.LBB117_8:                              ;   in Loop: Header=BB117_4 Depth=1
	s_or_b32 exec_lo, exec_lo, s2
	v_add_nc_u32_e32 v10, s12, v22
	s_delay_alu instid0(VALU_DEP_1) | instskip(SKIP_2) | instid1(SALU_CYCLE_1)
	v_cmp_gt_i64_e32 vcc_lo, s[8:9], v[10:11]
	v_cmp_gt_u32_e64 s2, 0x10000, v10
	s_and_b32 s5, s2, vcc_lo
	s_and_saveexec_b32 s2, s5
	s_cbranch_execz .LBB117_10
; %bb.9:                                ;   in Loop: Header=BB117_4 Depth=1
	v_lshl_add_u64 v[12:13], v[10:11], 1, s[6:7]
	global_load_u16 v1, v[12:13], off
	s_wait_loadcnt 0x0
	v_lshlrev_b32_e32 v1, 16, v1
	s_delay_alu instid0(VALU_DEP_1) | instskip(NEXT) | instid1(VALU_DEP_1)
	v_cvt_f64_f32_e64 v[12:13], |v1|
	v_add_f64_e32 v[6:7], v[6:7], v[12:13]
.LBB117_10:                             ;   in Loop: Header=BB117_4 Depth=1
	s_or_b32 exec_lo, exec_lo, s2
	v_add_nc_u32_e32 v10, s12, v20
	s_delay_alu instid0(VALU_DEP_1) | instskip(SKIP_2) | instid1(SALU_CYCLE_1)
	v_cmp_gt_i64_e32 vcc_lo, s[8:9], v[10:11]
	v_cmp_gt_u32_e64 s2, 0x10000, v10
	s_and_b32 s5, s2, vcc_lo
	s_and_saveexec_b32 s2, s5
	s_cbranch_execz .LBB117_3
; %bb.11:                               ;   in Loop: Header=BB117_4 Depth=1
	v_lshl_add_u64 v[12:13], v[10:11], 1, s[6:7]
	global_load_u16 v1, v[12:13], off
	s_wait_loadcnt 0x0
	v_lshlrev_b32_e32 v1, 16, v1
	s_delay_alu instid0(VALU_DEP_1) | instskip(NEXT) | instid1(VALU_DEP_1)
	v_cvt_f64_f32_e64 v[12:13], |v1|
	v_add_f64_e32 v[8:9], v[8:9], v[12:13]
	s_branch .LBB117_3
.LBB117_12:
	s_mov_b32 s3, -1
                                        ; implicit-def: $vgpr2_vgpr3_vgpr4_vgpr5_vgpr6_vgpr7_vgpr8_vgpr9
.LBB117_13:
	s_delay_alu instid0(SALU_CYCLE_1)
	s_and_not1_b32 vcc_lo, exec_lo, s3
	s_cbranch_vccnz .LBB117_19
.LBB117_14:
	v_min_i64 v[10:11], 0x10000, s[8:9]
	v_dual_mov_b32 v3, 0 :: v_dual_lshlrev_b32 v2, 2, v0
	s_mov_b32 s3, 0
	s_delay_alu instid0(VALU_DEP_1)
	v_dual_mov_b32 v4, v3 :: v_dual_mov_b32 v5, v3
	v_dual_mov_b32 v6, v3 :: v_dual_mov_b32 v7, v3
	;; [unrolled: 1-line block ×3, first 2 shown]
	v_cmp_lt_i64_e32 vcc_lo, v[2:3], v[10:11]
	v_mov_b32_e32 v2, v3
	s_and_saveexec_b32 s5, vcc_lo
	s_cbranch_execz .LBB117_18
; %bb.15:
	s_load_b32 s2, s[0:1], 0xd4c
	v_dual_mov_b32 v1, v3 :: v_dual_lshlrev_b32 v2, 3, v0
	v_mov_b64_e32 v[4:5], 0
	v_mov_b64_e32 v[6:7], 0
	;; [unrolled: 1-line block ×3, first 2 shown]
	s_delay_alu instid0(VALU_DEP_4)
	v_add_nc_u64_e32 v[12:13], s[6:7], v[2:3]
	v_mov_b64_e32 v[2:3], 0
	v_mov_b64_e32 v[14:15], v[0:1]
	s_mov_b32 s7, s3
	s_mov_b32 s8, s3
	s_wait_kmcnt 0x0
	s_and_b32 s2, s2, 0xffff
	s_delay_alu instid0(SALU_CYCLE_1)
	s_lshl_b32 s6, s2, 3
.LBB117_16:                             ; =>This Inner Loop Header: Depth=1
	global_load_b64 v[16:17], v[12:13], off
	v_add_nc_u64_e32 v[14:15], s[2:3], v[14:15]
	s_wait_xcnt 0x0
	v_add_nc_u64_e32 v[12:13], s[6:7], v[12:13]
	s_wait_loadcnt 0x0
	v_and_b32_e32 v20, 0xffff0000, v17
	v_alignbit_b32 v1, v17, v16, 16
	v_and_b32_e32 v19, 0xffff0000, v16
	s_delay_alu instid0(VALU_DEP_3) | instskip(SKIP_1) | instid1(VALU_DEP_4)
	v_cvt_f64_f32_e64 v[22:23], |v20|
	v_lshlrev_b32_e32 v18, 16, v16
	v_and_b32_e32 v1, 0xffff0000, v1
	s_delay_alu instid0(VALU_DEP_1) | instskip(NEXT) | instid1(VALU_DEP_4)
	v_cvt_f64_f32_e64 v[24:25], |v1|
	v_add_f64_e32 v[8:9], v[8:9], v[22:23]
	s_delay_alu instid0(VALU_DEP_4) | instskip(SKIP_1) | instid1(VALU_DEP_4)
	v_cvt_f64_f32_e64 v[16:17], |v18|
	v_cvt_f64_f32_e64 v[18:19], |v19|
	v_add_f64_e32 v[6:7], v[6:7], v[24:25]
	s_delay_alu instid0(VALU_DEP_3) | instskip(NEXT) | instid1(VALU_DEP_3)
	v_add_f64_e32 v[2:3], v[2:3], v[16:17]
	v_add_f64_e32 v[4:5], v[4:5], v[18:19]
	v_lshlrev_b64_e32 v[16:17], 2, v[14:15]
	s_delay_alu instid0(VALU_DEP_1) | instskip(SKIP_1) | instid1(SALU_CYCLE_1)
	v_cmp_ge_i64_e32 vcc_lo, v[16:17], v[10:11]
	s_or_b32 s8, vcc_lo, s8
	s_and_not1_b32 exec_lo, exec_lo, s8
	s_cbranch_execnz .LBB117_16
; %bb.17:
	s_or_b32 exec_lo, exec_lo, s8
.LBB117_18:
	s_delay_alu instid0(SALU_CYCLE_1)
	s_or_b32 exec_lo, exec_lo, s5
.LBB117_19:
	s_delay_alu instid0(VALU_DEP_1) | instskip(SKIP_3) | instid1(VALU_DEP_1)
	v_add_f64_e32 v[2:3], 0, v[2:3]
	s_mov_b32 s2, exec_lo
	s_barrier_signal -1
	s_barrier_wait -1
	v_dual_add_f64 v[2:3], v[4:5], v[2:3] :: v_dual_bitop2_b32 v10, 31, v0 bitop3:0x40
	s_delay_alu instid0(VALU_DEP_1) | instskip(NEXT) | instid1(VALU_DEP_1)
	v_add_f64_e32 v[2:3], v[6:7], v[2:3]
	v_add_f64_e32 v[2:3], v[8:9], v[2:3]
	v_mbcnt_lo_u32_b32 v9, -1, 0
	s_delay_alu instid0(VALU_DEP_1)
	v_lshl_or_b32 v1, v9, 2, 64
	v_cmp_gt_u32_e32 vcc_lo, 24, v9
	ds_bpermute_b32 v4, v1, v2
	ds_bpermute_b32 v5, v1, v3
	s_wait_dscnt 0x0
	v_add_f64_e32 v[2:3], v[2:3], v[4:5]
	v_cndmask_b32_e64 v4, 0, 8, vcc_lo
	v_cmp_gt_u32_e32 vcc_lo, 28, v9
	s_delay_alu instid0(VALU_DEP_2)
	v_add_lshl_u32 v6, v4, v9, 2
	ds_bpermute_b32 v4, v6, v2
	ds_bpermute_b32 v5, v6, v3
	s_wait_dscnt 0x0
	v_add_f64_e32 v[2:3], v[2:3], v[4:5]
	v_cndmask_b32_e64 v4, 0, 4, vcc_lo
	v_cmp_gt_u32_e32 vcc_lo, 30, v9
	s_delay_alu instid0(VALU_DEP_2)
	v_add_lshl_u32 v7, v4, v9, 2
	ds_bpermute_b32 v4, v7, v2
	ds_bpermute_b32 v5, v7, v3
	s_wait_dscnt 0x0
	v_add_f64_e32 v[2:3], v[2:3], v[4:5]
	v_cndmask_b32_e64 v4, 0, 2, vcc_lo
	v_cmp_ne_u32_e32 vcc_lo, 31, v9
	s_delay_alu instid0(VALU_DEP_2)
	v_add_lshl_u32 v8, v4, v9, 2
	ds_bpermute_b32 v4, v8, v2
	ds_bpermute_b32 v5, v8, v3
	s_wait_dscnt 0x0
	v_add_f64_e32 v[2:3], v[2:3], v[4:5]
	v_add_co_ci_u32_e64 v4, null, 0, v9, vcc_lo
	s_delay_alu instid0(VALU_DEP_1)
	v_lshlrev_b32_e32 v9, 2, v4
	ds_bpermute_b32 v4, v9, v2
	ds_bpermute_b32 v5, v9, v3
	v_cmpx_eq_u32_e32 0, v10
	s_cbranch_execz .LBB117_21
; %bb.20:
	s_wait_dscnt 0x0
	v_add_f64_e32 v[2:3], v[2:3], v[4:5]
	v_lshrrev_b32_e32 v4, 2, v0
	ds_store_b64 v4, v[2:3]
.LBB117_21:
	s_or_b32 exec_lo, exec_lo, s2
	s_wait_dscnt 0x0
	s_barrier_signal -1
	s_barrier_wait -1
	s_load_b32 s2, s[0:1], 0xd4c
	v_mov_b64_e32 v[2:3], 0
	s_wait_kmcnt 0x0
	s_bfe_u32 s2, s2, 0xb0005
	s_delay_alu instid0(SALU_CYCLE_1)
	v_cmp_gt_u32_e32 vcc_lo, s2, v0
	s_and_saveexec_b32 s2, vcc_lo
; %bb.22:
	v_lshlrev_b32_e32 v2, 3, v10
	ds_load_b64 v[2:3], v2
; %bb.23:
	s_or_b32 exec_lo, exec_lo, s2
	s_delay_alu instid0(SALU_CYCLE_1)
	s_mov_b32 s2, exec_lo
	v_cmpx_gt_u32_e32 32, v0
	s_cbranch_execz .LBB117_25
; %bb.24:
	s_wait_dscnt 0x0
	ds_bpermute_b32 v4, v1, v2
	ds_bpermute_b32 v5, v1, v3
	s_wait_dscnt 0x0
	v_add_f64_e32 v[2:3], v[2:3], v[4:5]
	ds_bpermute_b32 v4, v6, v2
	ds_bpermute_b32 v5, v6, v3
	s_wait_dscnt 0x0
	v_add_f64_e32 v[2:3], v[2:3], v[4:5]
	;; [unrolled: 4-line block ×5, first 2 shown]
.LBB117_25:
	s_or_b32 exec_lo, exec_lo, s2
	s_delay_alu instid0(SALU_CYCLE_1)
	s_mov_b32 s2, exec_lo
	v_cmpx_eq_u32_e32 0, v0
	s_cbranch_execz .LBB117_27
; %bb.26:
	s_clause 0x1
	s_load_b32 s2, s[0:1], 0xd20
	s_load_b96 s[8:10], s[0:1], 0xd30
	v_and_b32_e32 v0, 0xff, v21
	s_wait_kmcnt 0x0
	s_delay_alu instid0(VALU_DEP_1) | instskip(NEXT) | instid1(VALU_DEP_1)
	v_add_nc_u32_e32 v0, s2, v0
	v_mul_lo_u32 v0, v0, s10
	s_delay_alu instid0(VALU_DEP_1)
	v_add_nc_u32_e32 v0, s4, v0
	s_wait_dscnt 0x0
	global_store_b64 v0, v[2:3], s[8:9] scale_offset
.LBB117_27:
	s_endpgm
.LBB117_28:
	v_mov_b32_e32 v2, 0
	s_delay_alu instid0(VALU_DEP_1)
	v_dual_mov_b32 v3, v2 :: v_dual_mov_b32 v4, v2
	v_dual_mov_b32 v5, v2 :: v_dual_mov_b32 v6, v2
	;; [unrolled: 1-line block ×3, first 2 shown]
	v_mov_b32_e32 v9, v2
	s_and_not1_b32 vcc_lo, exec_lo, s3
	s_cbranch_vccz .LBB117_14
	s_branch .LBB117_19
	.section	.rodata,"a",@progbits
	.p2align	6, 0x0
	.amdhsa_kernel _ZN2at6native12_GLOBAL__N_125multi_tensor_apply_kernelINS1_18TensorListMetadataILi1EEENS0_13LpNormFunctorIN3c108BFloat16ELNS0_8NormTypeE1EdLi1ELi1ELi0EEEJPdiEEEvT_T0_DpT1_
		.amdhsa_group_segment_fixed_size 4096
		.amdhsa_private_segment_fixed_size 0
		.amdhsa_kernarg_size 3648
		.amdhsa_user_sgpr_count 2
		.amdhsa_user_sgpr_dispatch_ptr 0
		.amdhsa_user_sgpr_queue_ptr 0
		.amdhsa_user_sgpr_kernarg_segment_ptr 1
		.amdhsa_user_sgpr_dispatch_id 0
		.amdhsa_user_sgpr_kernarg_preload_length 0
		.amdhsa_user_sgpr_kernarg_preload_offset 0
		.amdhsa_user_sgpr_private_segment_size 0
		.amdhsa_wavefront_size32 1
		.amdhsa_uses_dynamic_stack 0
		.amdhsa_enable_private_segment 0
		.amdhsa_system_sgpr_workgroup_id_x 1
		.amdhsa_system_sgpr_workgroup_id_y 0
		.amdhsa_system_sgpr_workgroup_id_z 0
		.amdhsa_system_sgpr_workgroup_info 0
		.amdhsa_system_vgpr_workitem_id 0
		.amdhsa_next_free_vgpr 26
		.amdhsa_next_free_sgpr 14
		.amdhsa_named_barrier_count 0
		.amdhsa_reserve_vcc 1
		.amdhsa_float_round_mode_32 0
		.amdhsa_float_round_mode_16_64 0
		.amdhsa_float_denorm_mode_32 3
		.amdhsa_float_denorm_mode_16_64 3
		.amdhsa_fp16_overflow 0
		.amdhsa_memory_ordered 1
		.amdhsa_forward_progress 1
		.amdhsa_inst_pref_size 13
		.amdhsa_round_robin_scheduling 0
		.amdhsa_exception_fp_ieee_invalid_op 0
		.amdhsa_exception_fp_denorm_src 0
		.amdhsa_exception_fp_ieee_div_zero 0
		.amdhsa_exception_fp_ieee_overflow 0
		.amdhsa_exception_fp_ieee_underflow 0
		.amdhsa_exception_fp_ieee_inexact 0
		.amdhsa_exception_int_div_zero 0
	.end_amdhsa_kernel
	.section	.text._ZN2at6native12_GLOBAL__N_125multi_tensor_apply_kernelINS1_18TensorListMetadataILi1EEENS0_13LpNormFunctorIN3c108BFloat16ELNS0_8NormTypeE1EdLi1ELi1ELi0EEEJPdiEEEvT_T0_DpT1_,"axG",@progbits,_ZN2at6native12_GLOBAL__N_125multi_tensor_apply_kernelINS1_18TensorListMetadataILi1EEENS0_13LpNormFunctorIN3c108BFloat16ELNS0_8NormTypeE1EdLi1ELi1ELi0EEEJPdiEEEvT_T0_DpT1_,comdat
.Lfunc_end117:
	.size	_ZN2at6native12_GLOBAL__N_125multi_tensor_apply_kernelINS1_18TensorListMetadataILi1EEENS0_13LpNormFunctorIN3c108BFloat16ELNS0_8NormTypeE1EdLi1ELi1ELi0EEEJPdiEEEvT_T0_DpT1_, .Lfunc_end117-_ZN2at6native12_GLOBAL__N_125multi_tensor_apply_kernelINS1_18TensorListMetadataILi1EEENS0_13LpNormFunctorIN3c108BFloat16ELNS0_8NormTypeE1EdLi1ELi1ELi0EEEJPdiEEEvT_T0_DpT1_
                                        ; -- End function
	.set _ZN2at6native12_GLOBAL__N_125multi_tensor_apply_kernelINS1_18TensorListMetadataILi1EEENS0_13LpNormFunctorIN3c108BFloat16ELNS0_8NormTypeE1EdLi1ELi1ELi0EEEJPdiEEEvT_T0_DpT1_.num_vgpr, 26
	.set _ZN2at6native12_GLOBAL__N_125multi_tensor_apply_kernelINS1_18TensorListMetadataILi1EEENS0_13LpNormFunctorIN3c108BFloat16ELNS0_8NormTypeE1EdLi1ELi1ELi0EEEJPdiEEEvT_T0_DpT1_.num_agpr, 0
	.set _ZN2at6native12_GLOBAL__N_125multi_tensor_apply_kernelINS1_18TensorListMetadataILi1EEENS0_13LpNormFunctorIN3c108BFloat16ELNS0_8NormTypeE1EdLi1ELi1ELi0EEEJPdiEEEvT_T0_DpT1_.numbered_sgpr, 14
	.set _ZN2at6native12_GLOBAL__N_125multi_tensor_apply_kernelINS1_18TensorListMetadataILi1EEENS0_13LpNormFunctorIN3c108BFloat16ELNS0_8NormTypeE1EdLi1ELi1ELi0EEEJPdiEEEvT_T0_DpT1_.num_named_barrier, 0
	.set _ZN2at6native12_GLOBAL__N_125multi_tensor_apply_kernelINS1_18TensorListMetadataILi1EEENS0_13LpNormFunctorIN3c108BFloat16ELNS0_8NormTypeE1EdLi1ELi1ELi0EEEJPdiEEEvT_T0_DpT1_.private_seg_size, 0
	.set _ZN2at6native12_GLOBAL__N_125multi_tensor_apply_kernelINS1_18TensorListMetadataILi1EEENS0_13LpNormFunctorIN3c108BFloat16ELNS0_8NormTypeE1EdLi1ELi1ELi0EEEJPdiEEEvT_T0_DpT1_.uses_vcc, 1
	.set _ZN2at6native12_GLOBAL__N_125multi_tensor_apply_kernelINS1_18TensorListMetadataILi1EEENS0_13LpNormFunctorIN3c108BFloat16ELNS0_8NormTypeE1EdLi1ELi1ELi0EEEJPdiEEEvT_T0_DpT1_.uses_flat_scratch, 0
	.set _ZN2at6native12_GLOBAL__N_125multi_tensor_apply_kernelINS1_18TensorListMetadataILi1EEENS0_13LpNormFunctorIN3c108BFloat16ELNS0_8NormTypeE1EdLi1ELi1ELi0EEEJPdiEEEvT_T0_DpT1_.has_dyn_sized_stack, 0
	.set _ZN2at6native12_GLOBAL__N_125multi_tensor_apply_kernelINS1_18TensorListMetadataILi1EEENS0_13LpNormFunctorIN3c108BFloat16ELNS0_8NormTypeE1EdLi1ELi1ELi0EEEJPdiEEEvT_T0_DpT1_.has_recursion, 0
	.set _ZN2at6native12_GLOBAL__N_125multi_tensor_apply_kernelINS1_18TensorListMetadataILi1EEENS0_13LpNormFunctorIN3c108BFloat16ELNS0_8NormTypeE1EdLi1ELi1ELi0EEEJPdiEEEvT_T0_DpT1_.has_indirect_call, 0
	.section	.AMDGPU.csdata,"",@progbits
; Kernel info:
; codeLenInByte = 1644
; TotalNumSgprs: 16
; NumVgprs: 26
; ScratchSize: 0
; MemoryBound: 0
; FloatMode: 240
; IeeeMode: 1
; LDSByteSize: 4096 bytes/workgroup (compile time only)
; SGPRBlocks: 0
; VGPRBlocks: 1
; NumSGPRsForWavesPerEU: 16
; NumVGPRsForWavesPerEU: 26
; NamedBarCnt: 0
; Occupancy: 16
; WaveLimiterHint : 0
; COMPUTE_PGM_RSRC2:SCRATCH_EN: 0
; COMPUTE_PGM_RSRC2:USER_SGPR: 2
; COMPUTE_PGM_RSRC2:TRAP_HANDLER: 0
; COMPUTE_PGM_RSRC2:TGID_X_EN: 1
; COMPUTE_PGM_RSRC2:TGID_Y_EN: 0
; COMPUTE_PGM_RSRC2:TGID_Z_EN: 0
; COMPUTE_PGM_RSRC2:TIDIG_COMP_CNT: 0
	.section	.text._ZN2at6native12_GLOBAL__N_125multi_tensor_apply_kernelINS1_18TensorListMetadataILi1EEENS0_13LpNormFunctorIN3c108BFloat16ELNS0_8NormTypeE2EdLi1ELi1ELi0EEEJPdiEEEvT_T0_DpT1_,"axG",@progbits,_ZN2at6native12_GLOBAL__N_125multi_tensor_apply_kernelINS1_18TensorListMetadataILi1EEENS0_13LpNormFunctorIN3c108BFloat16ELNS0_8NormTypeE2EdLi1ELi1ELi0EEEJPdiEEEvT_T0_DpT1_,comdat
	.globl	_ZN2at6native12_GLOBAL__N_125multi_tensor_apply_kernelINS1_18TensorListMetadataILi1EEENS0_13LpNormFunctorIN3c108BFloat16ELNS0_8NormTypeE2EdLi1ELi1ELi0EEEJPdiEEEvT_T0_DpT1_ ; -- Begin function _ZN2at6native12_GLOBAL__N_125multi_tensor_apply_kernelINS1_18TensorListMetadataILi1EEENS0_13LpNormFunctorIN3c108BFloat16ELNS0_8NormTypeE2EdLi1ELi1ELi0EEEJPdiEEEvT_T0_DpT1_
	.p2align	8
	.type	_ZN2at6native12_GLOBAL__N_125multi_tensor_apply_kernelINS1_18TensorListMetadataILi1EEENS0_13LpNormFunctorIN3c108BFloat16ELNS0_8NormTypeE2EdLi1ELi1ELi0EEEJPdiEEEvT_T0_DpT1_,@function
_ZN2at6native12_GLOBAL__N_125multi_tensor_apply_kernelINS1_18TensorListMetadataILi1EEENS0_13LpNormFunctorIN3c108BFloat16ELNS0_8NormTypeE2EdLi1ELi1ELi0EEEJPdiEEEvT_T0_DpT1_: ; @_ZN2at6native12_GLOBAL__N_125multi_tensor_apply_kernelINS1_18TensorListMetadataILi1EEENS0_13LpNormFunctorIN3c108BFloat16ELNS0_8NormTypeE2EdLi1ELi1ELi0EEEJPdiEEEvT_T0_DpT1_
; %bb.0:
	s_bfe_u32 s2, ttmp6, 0x4000c
	s_and_b32 s3, ttmp6, 15
	s_add_co_i32 s2, s2, 1
	s_getreg_b32 s4, hwreg(HW_REG_IB_STS2, 6, 4)
	s_mul_i32 s2, ttmp9, s2
	s_delay_alu instid0(SALU_CYCLE_1)
	s_add_co_i32 s3, s3, s2
	s_cmp_eq_u32 s4, 0
	s_cselect_b32 s2, ttmp9, s3
	s_mov_b32 s3, 0
	v_mov_b32_e32 v1, s2
	s_add_nc_u64 s[4:5], s[0:1], s[2:3]
	s_mul_u64 s[6:7], s[2:3], 3
	s_delay_alu instid0(SALU_CYCLE_1) | instskip(SKIP_4) | instid1(SALU_CYCLE_1)
	s_add_nc_u64 s[4:5], s[4:5], s[6:7]
	global_load_u8 v21, v1, s[0:1] offset:1760
	s_load_b32 s4, s[4:5], 0x820
	s_wait_kmcnt 0x0
	s_ashr_i32 s5, s4, 31
	s_lshl_b64 s[10:11], s[4:5], 17
	s_lshl_b64 s[12:13], s[4:5], 16
	s_wait_loadcnt 0x0
	v_readfirstlane_b32 s2, v21
	s_and_b32 s2, s2, 0xff
	s_clause 0x1
	s_load_b64 s[6:7], s[0:1], s2 offset:0x0 scale_offset
	s_load_b64 s[8:9], s[0:1], s2 offset:0x370 scale_offset
	s_wait_kmcnt 0x0
	s_add_nc_u64 s[6:7], s[6:7], s[10:11]
	s_and_b32 s2, s8, 3
	s_and_b64 s[10:11], s[6:7], 7
	s_sub_nc_u64 s[8:9], s[8:9], s[12:13]
	s_or_b64 s[10:11], s[2:3], s[10:11]
	s_delay_alu instid0(SALU_CYCLE_1)
	s_cmp_eq_u64 s[10:11], 0
	s_cbranch_scc1 .LBB118_12
; %bb.1:
	v_cmp_lt_i64_e64 s2, s[8:9], 1
	s_and_b32 vcc_lo, exec_lo, s2
	s_cbranch_vccnz .LBB118_28
; %bb.2:
	s_load_b32 s2, s[0:1], 0xd4c
	v_min_i64 v[18:19], 0x10000, s[8:9]
	s_mov_b32 s11, 0
	s_mov_b64 s[12:13], 0
	s_wait_kmcnt 0x0
	s_and_b32 s2, s2, 0xffff
	s_delay_alu instid0(SALU_CYCLE_1) | instskip(SKIP_3) | instid1(VALU_DEP_3)
	v_dual_mov_b32 v11, 0 :: v_dual_add_nc_u32 v24, s2, v0
	v_mad_u32 v20, s2, 3, v0
	v_lshl_add_u32 v22, s2, 1, v0
	s_lshl_b32 s10, s2, 2
	v_dual_mov_b32 v10, v11 :: v_dual_mov_b32 v12, v11
	v_dual_mov_b32 v13, v11 :: v_dual_mov_b32 v14, v11
	;; [unrolled: 1-line block ×3, first 2 shown]
	v_mov_b32_e32 v17, v11
	s_delay_alu instid0(VALU_DEP_4) | instskip(NEXT) | instid1(VALU_DEP_4)
	v_mov_b64_e32 v[2:3], v[10:11]
	v_mov_b64_e32 v[4:5], v[12:13]
	s_delay_alu instid0(VALU_DEP_4) | instskip(NEXT) | instid1(VALU_DEP_4)
	v_mov_b64_e32 v[6:7], v[14:15]
	v_mov_b64_e32 v[8:9], v[16:17]
	s_branch .LBB118_4
.LBB118_3:                              ;   in Loop: Header=BB118_4 Depth=1
	s_or_b32 exec_lo, exec_lo, s2
	s_add_nc_u64 s[12:13], s[12:13], s[10:11]
	s_delay_alu instid0(SALU_CYCLE_1)
	v_cmp_lt_i64_e32 vcc_lo, s[12:13], v[18:19]
	s_cbranch_vccz .LBB118_13
.LBB118_4:                              ; =>This Inner Loop Header: Depth=1
	v_add_nc_u32_e32 v10, s12, v0
	s_delay_alu instid0(VALU_DEP_1) | instskip(SKIP_2) | instid1(SALU_CYCLE_1)
	v_cmp_gt_i64_e32 vcc_lo, s[8:9], v[10:11]
	v_cmp_gt_u32_e64 s2, 0x10000, v10
	s_and_b32 s5, s2, vcc_lo
	s_and_saveexec_b32 s2, s5
	s_cbranch_execz .LBB118_6
; %bb.5:                                ;   in Loop: Header=BB118_4 Depth=1
	v_lshl_add_u64 v[12:13], v[10:11], 1, s[6:7]
	global_load_u16 v1, v[12:13], off
	s_wait_loadcnt 0x0
	v_lshlrev_b32_e32 v1, 16, v1
	s_delay_alu instid0(VALU_DEP_1) | instskip(NEXT) | instid1(VALU_DEP_1)
	v_cvt_f64_f32_e32 v[12:13], v1
	v_fmac_f64_e32 v[2:3], v[12:13], v[12:13]
.LBB118_6:                              ;   in Loop: Header=BB118_4 Depth=1
	s_or_b32 exec_lo, exec_lo, s2
	v_add_nc_u32_e32 v10, s12, v24
	s_delay_alu instid0(VALU_DEP_1) | instskip(SKIP_2) | instid1(SALU_CYCLE_1)
	v_cmp_gt_i64_e32 vcc_lo, s[8:9], v[10:11]
	v_cmp_gt_u32_e64 s2, 0x10000, v10
	s_and_b32 s5, s2, vcc_lo
	s_and_saveexec_b32 s2, s5
	s_cbranch_execz .LBB118_8
; %bb.7:                                ;   in Loop: Header=BB118_4 Depth=1
	v_lshl_add_u64 v[12:13], v[10:11], 1, s[6:7]
	global_load_u16 v1, v[12:13], off
	s_wait_loadcnt 0x0
	v_lshlrev_b32_e32 v1, 16, v1
	s_delay_alu instid0(VALU_DEP_1) | instskip(NEXT) | instid1(VALU_DEP_1)
	v_cvt_f64_f32_e32 v[12:13], v1
	v_fmac_f64_e32 v[4:5], v[12:13], v[12:13]
.LBB118_8:                              ;   in Loop: Header=BB118_4 Depth=1
	s_or_b32 exec_lo, exec_lo, s2
	v_add_nc_u32_e32 v10, s12, v22
	s_delay_alu instid0(VALU_DEP_1) | instskip(SKIP_2) | instid1(SALU_CYCLE_1)
	v_cmp_gt_i64_e32 vcc_lo, s[8:9], v[10:11]
	v_cmp_gt_u32_e64 s2, 0x10000, v10
	s_and_b32 s5, s2, vcc_lo
	s_and_saveexec_b32 s2, s5
	s_cbranch_execz .LBB118_10
; %bb.9:                                ;   in Loop: Header=BB118_4 Depth=1
	v_lshl_add_u64 v[12:13], v[10:11], 1, s[6:7]
	global_load_u16 v1, v[12:13], off
	s_wait_loadcnt 0x0
	v_lshlrev_b32_e32 v1, 16, v1
	s_delay_alu instid0(VALU_DEP_1) | instskip(NEXT) | instid1(VALU_DEP_1)
	v_cvt_f64_f32_e32 v[12:13], v1
	v_fmac_f64_e32 v[6:7], v[12:13], v[12:13]
.LBB118_10:                             ;   in Loop: Header=BB118_4 Depth=1
	s_or_b32 exec_lo, exec_lo, s2
	v_add_nc_u32_e32 v10, s12, v20
	s_delay_alu instid0(VALU_DEP_1) | instskip(SKIP_2) | instid1(SALU_CYCLE_1)
	v_cmp_gt_i64_e32 vcc_lo, s[8:9], v[10:11]
	v_cmp_gt_u32_e64 s2, 0x10000, v10
	s_and_b32 s5, s2, vcc_lo
	s_and_saveexec_b32 s2, s5
	s_cbranch_execz .LBB118_3
; %bb.11:                               ;   in Loop: Header=BB118_4 Depth=1
	v_lshl_add_u64 v[12:13], v[10:11], 1, s[6:7]
	global_load_u16 v1, v[12:13], off
	s_wait_loadcnt 0x0
	v_lshlrev_b32_e32 v1, 16, v1
	s_delay_alu instid0(VALU_DEP_1) | instskip(NEXT) | instid1(VALU_DEP_1)
	v_cvt_f64_f32_e32 v[12:13], v1
	v_fmac_f64_e32 v[8:9], v[12:13], v[12:13]
	s_branch .LBB118_3
.LBB118_12:
	s_mov_b32 s3, -1
                                        ; implicit-def: $vgpr2_vgpr3_vgpr4_vgpr5_vgpr6_vgpr7_vgpr8_vgpr9
.LBB118_13:
	s_delay_alu instid0(SALU_CYCLE_1)
	s_and_not1_b32 vcc_lo, exec_lo, s3
	s_cbranch_vccnz .LBB118_19
.LBB118_14:
	v_min_i64 v[10:11], 0x10000, s[8:9]
	v_dual_mov_b32 v3, 0 :: v_dual_lshlrev_b32 v2, 2, v0
	s_mov_b32 s3, 0
	s_delay_alu instid0(VALU_DEP_1)
	v_dual_mov_b32 v4, v3 :: v_dual_mov_b32 v5, v3
	v_dual_mov_b32 v6, v3 :: v_dual_mov_b32 v7, v3
	;; [unrolled: 1-line block ×3, first 2 shown]
	v_cmp_lt_i64_e32 vcc_lo, v[2:3], v[10:11]
	v_mov_b32_e32 v2, v3
	s_and_saveexec_b32 s5, vcc_lo
	s_cbranch_execz .LBB118_18
; %bb.15:
	s_load_b32 s2, s[0:1], 0xd4c
	v_dual_mov_b32 v1, v3 :: v_dual_lshlrev_b32 v2, 3, v0
	v_mov_b64_e32 v[4:5], 0
	v_mov_b64_e32 v[6:7], 0
	;; [unrolled: 1-line block ×3, first 2 shown]
	s_delay_alu instid0(VALU_DEP_4)
	v_add_nc_u64_e32 v[12:13], s[6:7], v[2:3]
	v_mov_b64_e32 v[2:3], 0
	v_mov_b64_e32 v[14:15], v[0:1]
	s_mov_b32 s7, s3
	s_mov_b32 s8, s3
	s_wait_kmcnt 0x0
	s_and_b32 s2, s2, 0xffff
	s_delay_alu instid0(SALU_CYCLE_1)
	s_lshl_b32 s6, s2, 3
.LBB118_16:                             ; =>This Inner Loop Header: Depth=1
	global_load_b64 v[16:17], v[12:13], off
	v_add_nc_u64_e32 v[14:15], s[2:3], v[14:15]
	s_wait_xcnt 0x0
	v_add_nc_u64_e32 v[12:13], s[6:7], v[12:13]
	s_wait_loadcnt 0x0
	v_alignbit_b32 v1, v17, v16, 16
	v_lshlrev_b32_e32 v18, 16, v16
	v_and_b32_e32 v19, 0xffff0000, v16
	v_and_b32_e32 v20, 0xffff0000, v17
	s_delay_alu instid0(VALU_DEP_4) | instskip(NEXT) | instid1(VALU_DEP_4)
	v_and_b32_e32 v1, 0xffff0000, v1
	v_cvt_f64_f32_e32 v[16:17], v18
	s_delay_alu instid0(VALU_DEP_4) | instskip(NEXT) | instid1(VALU_DEP_4)
	v_cvt_f64_f32_e32 v[18:19], v19
	v_cvt_f64_f32_e32 v[22:23], v20
	s_delay_alu instid0(VALU_DEP_4) | instskip(NEXT) | instid1(VALU_DEP_4)
	v_cvt_f64_f32_e32 v[24:25], v1
	v_fmac_f64_e32 v[2:3], v[16:17], v[16:17]
	s_delay_alu instid0(VALU_DEP_4) | instskip(NEXT) | instid1(VALU_DEP_4)
	v_fmac_f64_e32 v[4:5], v[18:19], v[18:19]
	v_fmac_f64_e32 v[8:9], v[22:23], v[22:23]
	v_lshlrev_b64_e32 v[16:17], 2, v[14:15]
	v_fmac_f64_e32 v[6:7], v[24:25], v[24:25]
	s_delay_alu instid0(VALU_DEP_2) | instskip(SKIP_1) | instid1(SALU_CYCLE_1)
	v_cmp_ge_i64_e32 vcc_lo, v[16:17], v[10:11]
	s_or_b32 s8, vcc_lo, s8
	s_and_not1_b32 exec_lo, exec_lo, s8
	s_cbranch_execnz .LBB118_16
; %bb.17:
	s_or_b32 exec_lo, exec_lo, s8
.LBB118_18:
	s_delay_alu instid0(SALU_CYCLE_1)
	s_or_b32 exec_lo, exec_lo, s5
.LBB118_19:
	s_delay_alu instid0(VALU_DEP_1) | instskip(SKIP_3) | instid1(VALU_DEP_1)
	v_add_f64_e32 v[2:3], 0, v[2:3]
	s_mov_b32 s2, exec_lo
	s_barrier_signal -1
	s_barrier_wait -1
	v_dual_add_f64 v[2:3], v[4:5], v[2:3] :: v_dual_bitop2_b32 v10, 31, v0 bitop3:0x40
	s_delay_alu instid0(VALU_DEP_1) | instskip(NEXT) | instid1(VALU_DEP_1)
	v_add_f64_e32 v[2:3], v[6:7], v[2:3]
	v_add_f64_e32 v[2:3], v[8:9], v[2:3]
	v_mbcnt_lo_u32_b32 v9, -1, 0
	s_delay_alu instid0(VALU_DEP_1)
	v_lshl_or_b32 v1, v9, 2, 64
	v_cmp_gt_u32_e32 vcc_lo, 24, v9
	ds_bpermute_b32 v4, v1, v2
	ds_bpermute_b32 v5, v1, v3
	s_wait_dscnt 0x0
	v_add_f64_e32 v[2:3], v[2:3], v[4:5]
	v_cndmask_b32_e64 v4, 0, 8, vcc_lo
	v_cmp_gt_u32_e32 vcc_lo, 28, v9
	s_delay_alu instid0(VALU_DEP_2)
	v_add_lshl_u32 v6, v4, v9, 2
	ds_bpermute_b32 v4, v6, v2
	ds_bpermute_b32 v5, v6, v3
	s_wait_dscnt 0x0
	v_add_f64_e32 v[2:3], v[2:3], v[4:5]
	v_cndmask_b32_e64 v4, 0, 4, vcc_lo
	v_cmp_gt_u32_e32 vcc_lo, 30, v9
	s_delay_alu instid0(VALU_DEP_2)
	v_add_lshl_u32 v7, v4, v9, 2
	ds_bpermute_b32 v4, v7, v2
	ds_bpermute_b32 v5, v7, v3
	s_wait_dscnt 0x0
	v_add_f64_e32 v[2:3], v[2:3], v[4:5]
	v_cndmask_b32_e64 v4, 0, 2, vcc_lo
	v_cmp_ne_u32_e32 vcc_lo, 31, v9
	s_delay_alu instid0(VALU_DEP_2)
	v_add_lshl_u32 v8, v4, v9, 2
	ds_bpermute_b32 v4, v8, v2
	ds_bpermute_b32 v5, v8, v3
	s_wait_dscnt 0x0
	v_add_f64_e32 v[2:3], v[2:3], v[4:5]
	v_add_co_ci_u32_e64 v4, null, 0, v9, vcc_lo
	s_delay_alu instid0(VALU_DEP_1)
	v_lshlrev_b32_e32 v9, 2, v4
	ds_bpermute_b32 v4, v9, v2
	ds_bpermute_b32 v5, v9, v3
	v_cmpx_eq_u32_e32 0, v10
	s_cbranch_execz .LBB118_21
; %bb.20:
	s_wait_dscnt 0x0
	v_add_f64_e32 v[2:3], v[2:3], v[4:5]
	v_lshrrev_b32_e32 v4, 2, v0
	ds_store_b64 v4, v[2:3]
.LBB118_21:
	s_or_b32 exec_lo, exec_lo, s2
	s_wait_dscnt 0x0
	s_barrier_signal -1
	s_barrier_wait -1
	s_load_b32 s2, s[0:1], 0xd4c
	v_mov_b64_e32 v[2:3], 0
	s_wait_kmcnt 0x0
	s_bfe_u32 s2, s2, 0xb0005
	s_delay_alu instid0(SALU_CYCLE_1)
	v_cmp_gt_u32_e32 vcc_lo, s2, v0
	s_and_saveexec_b32 s2, vcc_lo
; %bb.22:
	v_lshlrev_b32_e32 v2, 3, v10
	ds_load_b64 v[2:3], v2
; %bb.23:
	s_or_b32 exec_lo, exec_lo, s2
	s_delay_alu instid0(SALU_CYCLE_1)
	s_mov_b32 s2, exec_lo
	v_cmpx_gt_u32_e32 32, v0
	s_cbranch_execz .LBB118_25
; %bb.24:
	s_wait_dscnt 0x0
	ds_bpermute_b32 v4, v1, v2
	ds_bpermute_b32 v5, v1, v3
	s_wait_dscnt 0x0
	v_add_f64_e32 v[2:3], v[2:3], v[4:5]
	ds_bpermute_b32 v4, v6, v2
	ds_bpermute_b32 v5, v6, v3
	s_wait_dscnt 0x0
	v_add_f64_e32 v[2:3], v[2:3], v[4:5]
	;; [unrolled: 4-line block ×5, first 2 shown]
.LBB118_25:
	s_or_b32 exec_lo, exec_lo, s2
	s_delay_alu instid0(SALU_CYCLE_1)
	s_mov_b32 s2, exec_lo
	v_cmpx_eq_u32_e32 0, v0
	s_cbranch_execz .LBB118_27
; %bb.26:
	s_clause 0x1
	s_load_b32 s2, s[0:1], 0xd20
	s_load_b96 s[8:10], s[0:1], 0xd30
	v_and_b32_e32 v0, 0xff, v21
	s_wait_kmcnt 0x0
	s_delay_alu instid0(VALU_DEP_1) | instskip(NEXT) | instid1(VALU_DEP_1)
	v_add_nc_u32_e32 v0, s2, v0
	v_mul_lo_u32 v0, v0, s10
	s_delay_alu instid0(VALU_DEP_1)
	v_add_nc_u32_e32 v0, s4, v0
	s_wait_dscnt 0x0
	global_store_b64 v0, v[2:3], s[8:9] scale_offset
.LBB118_27:
	s_endpgm
.LBB118_28:
	v_mov_b32_e32 v2, 0
	s_delay_alu instid0(VALU_DEP_1)
	v_dual_mov_b32 v3, v2 :: v_dual_mov_b32 v4, v2
	v_dual_mov_b32 v5, v2 :: v_dual_mov_b32 v6, v2
	;; [unrolled: 1-line block ×3, first 2 shown]
	v_mov_b32_e32 v9, v2
	s_and_not1_b32 vcc_lo, exec_lo, s3
	s_cbranch_vccz .LBB118_14
	s_branch .LBB118_19
	.section	.rodata,"a",@progbits
	.p2align	6, 0x0
	.amdhsa_kernel _ZN2at6native12_GLOBAL__N_125multi_tensor_apply_kernelINS1_18TensorListMetadataILi1EEENS0_13LpNormFunctorIN3c108BFloat16ELNS0_8NormTypeE2EdLi1ELi1ELi0EEEJPdiEEEvT_T0_DpT1_
		.amdhsa_group_segment_fixed_size 4096
		.amdhsa_private_segment_fixed_size 0
		.amdhsa_kernarg_size 3648
		.amdhsa_user_sgpr_count 2
		.amdhsa_user_sgpr_dispatch_ptr 0
		.amdhsa_user_sgpr_queue_ptr 0
		.amdhsa_user_sgpr_kernarg_segment_ptr 1
		.amdhsa_user_sgpr_dispatch_id 0
		.amdhsa_user_sgpr_kernarg_preload_length 0
		.amdhsa_user_sgpr_kernarg_preload_offset 0
		.amdhsa_user_sgpr_private_segment_size 0
		.amdhsa_wavefront_size32 1
		.amdhsa_uses_dynamic_stack 0
		.amdhsa_enable_private_segment 0
		.amdhsa_system_sgpr_workgroup_id_x 1
		.amdhsa_system_sgpr_workgroup_id_y 0
		.amdhsa_system_sgpr_workgroup_id_z 0
		.amdhsa_system_sgpr_workgroup_info 0
		.amdhsa_system_vgpr_workitem_id 0
		.amdhsa_next_free_vgpr 26
		.amdhsa_next_free_sgpr 14
		.amdhsa_named_barrier_count 0
		.amdhsa_reserve_vcc 1
		.amdhsa_float_round_mode_32 0
		.amdhsa_float_round_mode_16_64 0
		.amdhsa_float_denorm_mode_32 3
		.amdhsa_float_denorm_mode_16_64 3
		.amdhsa_fp16_overflow 0
		.amdhsa_memory_ordered 1
		.amdhsa_forward_progress 1
		.amdhsa_inst_pref_size 13
		.amdhsa_round_robin_scheduling 0
		.amdhsa_exception_fp_ieee_invalid_op 0
		.amdhsa_exception_fp_denorm_src 0
		.amdhsa_exception_fp_ieee_div_zero 0
		.amdhsa_exception_fp_ieee_overflow 0
		.amdhsa_exception_fp_ieee_underflow 0
		.amdhsa_exception_fp_ieee_inexact 0
		.amdhsa_exception_int_div_zero 0
	.end_amdhsa_kernel
	.section	.text._ZN2at6native12_GLOBAL__N_125multi_tensor_apply_kernelINS1_18TensorListMetadataILi1EEENS0_13LpNormFunctorIN3c108BFloat16ELNS0_8NormTypeE2EdLi1ELi1ELi0EEEJPdiEEEvT_T0_DpT1_,"axG",@progbits,_ZN2at6native12_GLOBAL__N_125multi_tensor_apply_kernelINS1_18TensorListMetadataILi1EEENS0_13LpNormFunctorIN3c108BFloat16ELNS0_8NormTypeE2EdLi1ELi1ELi0EEEJPdiEEEvT_T0_DpT1_,comdat
.Lfunc_end118:
	.size	_ZN2at6native12_GLOBAL__N_125multi_tensor_apply_kernelINS1_18TensorListMetadataILi1EEENS0_13LpNormFunctorIN3c108BFloat16ELNS0_8NormTypeE2EdLi1ELi1ELi0EEEJPdiEEEvT_T0_DpT1_, .Lfunc_end118-_ZN2at6native12_GLOBAL__N_125multi_tensor_apply_kernelINS1_18TensorListMetadataILi1EEENS0_13LpNormFunctorIN3c108BFloat16ELNS0_8NormTypeE2EdLi1ELi1ELi0EEEJPdiEEEvT_T0_DpT1_
                                        ; -- End function
	.set _ZN2at6native12_GLOBAL__N_125multi_tensor_apply_kernelINS1_18TensorListMetadataILi1EEENS0_13LpNormFunctorIN3c108BFloat16ELNS0_8NormTypeE2EdLi1ELi1ELi0EEEJPdiEEEvT_T0_DpT1_.num_vgpr, 26
	.set _ZN2at6native12_GLOBAL__N_125multi_tensor_apply_kernelINS1_18TensorListMetadataILi1EEENS0_13LpNormFunctorIN3c108BFloat16ELNS0_8NormTypeE2EdLi1ELi1ELi0EEEJPdiEEEvT_T0_DpT1_.num_agpr, 0
	.set _ZN2at6native12_GLOBAL__N_125multi_tensor_apply_kernelINS1_18TensorListMetadataILi1EEENS0_13LpNormFunctorIN3c108BFloat16ELNS0_8NormTypeE2EdLi1ELi1ELi0EEEJPdiEEEvT_T0_DpT1_.numbered_sgpr, 14
	.set _ZN2at6native12_GLOBAL__N_125multi_tensor_apply_kernelINS1_18TensorListMetadataILi1EEENS0_13LpNormFunctorIN3c108BFloat16ELNS0_8NormTypeE2EdLi1ELi1ELi0EEEJPdiEEEvT_T0_DpT1_.num_named_barrier, 0
	.set _ZN2at6native12_GLOBAL__N_125multi_tensor_apply_kernelINS1_18TensorListMetadataILi1EEENS0_13LpNormFunctorIN3c108BFloat16ELNS0_8NormTypeE2EdLi1ELi1ELi0EEEJPdiEEEvT_T0_DpT1_.private_seg_size, 0
	.set _ZN2at6native12_GLOBAL__N_125multi_tensor_apply_kernelINS1_18TensorListMetadataILi1EEENS0_13LpNormFunctorIN3c108BFloat16ELNS0_8NormTypeE2EdLi1ELi1ELi0EEEJPdiEEEvT_T0_DpT1_.uses_vcc, 1
	.set _ZN2at6native12_GLOBAL__N_125multi_tensor_apply_kernelINS1_18TensorListMetadataILi1EEENS0_13LpNormFunctorIN3c108BFloat16ELNS0_8NormTypeE2EdLi1ELi1ELi0EEEJPdiEEEvT_T0_DpT1_.uses_flat_scratch, 0
	.set _ZN2at6native12_GLOBAL__N_125multi_tensor_apply_kernelINS1_18TensorListMetadataILi1EEENS0_13LpNormFunctorIN3c108BFloat16ELNS0_8NormTypeE2EdLi1ELi1ELi0EEEJPdiEEEvT_T0_DpT1_.has_dyn_sized_stack, 0
	.set _ZN2at6native12_GLOBAL__N_125multi_tensor_apply_kernelINS1_18TensorListMetadataILi1EEENS0_13LpNormFunctorIN3c108BFloat16ELNS0_8NormTypeE2EdLi1ELi1ELi0EEEJPdiEEEvT_T0_DpT1_.has_recursion, 0
	.set _ZN2at6native12_GLOBAL__N_125multi_tensor_apply_kernelINS1_18TensorListMetadataILi1EEENS0_13LpNormFunctorIN3c108BFloat16ELNS0_8NormTypeE2EdLi1ELi1ELi0EEEJPdiEEEvT_T0_DpT1_.has_indirect_call, 0
	.section	.AMDGPU.csdata,"",@progbits
; Kernel info:
; codeLenInByte = 1612
; TotalNumSgprs: 16
; NumVgprs: 26
; ScratchSize: 0
; MemoryBound: 0
; FloatMode: 240
; IeeeMode: 1
; LDSByteSize: 4096 bytes/workgroup (compile time only)
; SGPRBlocks: 0
; VGPRBlocks: 1
; NumSGPRsForWavesPerEU: 16
; NumVGPRsForWavesPerEU: 26
; NamedBarCnt: 0
; Occupancy: 16
; WaveLimiterHint : 0
; COMPUTE_PGM_RSRC2:SCRATCH_EN: 0
; COMPUTE_PGM_RSRC2:USER_SGPR: 2
; COMPUTE_PGM_RSRC2:TRAP_HANDLER: 0
; COMPUTE_PGM_RSRC2:TGID_X_EN: 1
; COMPUTE_PGM_RSRC2:TGID_Y_EN: 0
; COMPUTE_PGM_RSRC2:TGID_Z_EN: 0
; COMPUTE_PGM_RSRC2:TIDIG_COMP_CNT: 0
	.section	.text._ZN2at6native12_GLOBAL__N_125multi_tensor_apply_kernelINS1_18TensorListMetadataILi1EEENS0_13LpNormFunctorIN3c108BFloat16ELNS0_8NormTypeE3EdLi1ELi1ELi0EEEJPdiEEEvT_T0_DpT1_,"axG",@progbits,_ZN2at6native12_GLOBAL__N_125multi_tensor_apply_kernelINS1_18TensorListMetadataILi1EEENS0_13LpNormFunctorIN3c108BFloat16ELNS0_8NormTypeE3EdLi1ELi1ELi0EEEJPdiEEEvT_T0_DpT1_,comdat
	.globl	_ZN2at6native12_GLOBAL__N_125multi_tensor_apply_kernelINS1_18TensorListMetadataILi1EEENS0_13LpNormFunctorIN3c108BFloat16ELNS0_8NormTypeE3EdLi1ELi1ELi0EEEJPdiEEEvT_T0_DpT1_ ; -- Begin function _ZN2at6native12_GLOBAL__N_125multi_tensor_apply_kernelINS1_18TensorListMetadataILi1EEENS0_13LpNormFunctorIN3c108BFloat16ELNS0_8NormTypeE3EdLi1ELi1ELi0EEEJPdiEEEvT_T0_DpT1_
	.p2align	8
	.type	_ZN2at6native12_GLOBAL__N_125multi_tensor_apply_kernelINS1_18TensorListMetadataILi1EEENS0_13LpNormFunctorIN3c108BFloat16ELNS0_8NormTypeE3EdLi1ELi1ELi0EEEJPdiEEEvT_T0_DpT1_,@function
_ZN2at6native12_GLOBAL__N_125multi_tensor_apply_kernelINS1_18TensorListMetadataILi1EEENS0_13LpNormFunctorIN3c108BFloat16ELNS0_8NormTypeE3EdLi1ELi1ELi0EEEJPdiEEEvT_T0_DpT1_: ; @_ZN2at6native12_GLOBAL__N_125multi_tensor_apply_kernelINS1_18TensorListMetadataILi1EEENS0_13LpNormFunctorIN3c108BFloat16ELNS0_8NormTypeE3EdLi1ELi1ELi0EEEJPdiEEEvT_T0_DpT1_
; %bb.0:
	s_bfe_u32 s2, ttmp6, 0x4000c
	s_and_b32 s3, ttmp6, 15
	s_add_co_i32 s2, s2, 1
	s_getreg_b32 s4, hwreg(HW_REG_IB_STS2, 6, 4)
	s_mul_i32 s2, ttmp9, s2
	s_delay_alu instid0(SALU_CYCLE_1)
	s_add_co_i32 s3, s3, s2
	s_cmp_eq_u32 s4, 0
	s_cselect_b32 s2, ttmp9, s3
	s_mov_b32 s3, 0
	v_mov_b32_e32 v1, s2
	s_add_nc_u64 s[4:5], s[0:1], s[2:3]
	s_mul_u64 s[6:7], s[2:3], 3
	s_delay_alu instid0(SALU_CYCLE_1) | instskip(SKIP_4) | instid1(SALU_CYCLE_1)
	s_add_nc_u64 s[4:5], s[4:5], s[6:7]
	global_load_u8 v21, v1, s[0:1] offset:1760
	s_load_b32 s10, s[4:5], 0x820
	s_wait_kmcnt 0x0
	s_ashr_i32 s11, s10, 31
	s_lshl_b64 s[8:9], s[10:11], 17
	s_lshl_b64 s[12:13], s[10:11], 16
	s_wait_loadcnt 0x0
	v_readfirstlane_b32 s2, v21
	s_and_b32 s2, s2, 0xff
	s_clause 0x1
	s_load_b64 s[4:5], s[0:1], s2 offset:0x0 scale_offset
	s_load_b64 s[6:7], s[0:1], s2 offset:0x370 scale_offset
	s_wait_kmcnt 0x0
	s_add_nc_u64 s[4:5], s[4:5], s[8:9]
	s_and_b32 s2, s6, 3
	s_and_b64 s[8:9], s[4:5], 7
	s_sub_nc_u64 s[6:7], s[6:7], s[12:13]
	s_or_b64 s[8:9], s[2:3], s[8:9]
	s_delay_alu instid0(SALU_CYCLE_1)
	s_cmp_eq_u64 s[8:9], 0
	s_cbranch_scc1 .LBB119_12
; %bb.1:
	v_cmp_lt_i64_e64 s2, s[6:7], 1
	s_and_b32 vcc_lo, exec_lo, s2
	s_cbranch_vccnz .LBB119_28
; %bb.2:
	s_load_b32 s2, s[0:1], 0xd4c
	v_min_i64 v[18:19], 0x10000, s[6:7]
	s_mov_b32 s9, 0
	s_mov_b64 s[12:13], 0
	s_wait_kmcnt 0x0
	s_and_b32 s2, s2, 0xffff
	s_delay_alu instid0(SALU_CYCLE_1) | instskip(SKIP_3) | instid1(VALU_DEP_3)
	v_dual_mov_b32 v11, 0 :: v_dual_add_nc_u32 v24, s2, v0
	v_mad_u32 v20, s2, 3, v0
	v_lshl_add_u32 v22, s2, 1, v0
	s_lshl_b32 s8, s2, 2
	v_dual_mov_b32 v10, v11 :: v_dual_mov_b32 v12, v11
	v_dual_mov_b32 v13, v11 :: v_dual_mov_b32 v14, v11
	;; [unrolled: 1-line block ×3, first 2 shown]
	v_mov_b32_e32 v17, v11
	s_delay_alu instid0(VALU_DEP_4) | instskip(NEXT) | instid1(VALU_DEP_4)
	v_mov_b64_e32 v[2:3], v[10:11]
	v_mov_b64_e32 v[4:5], v[12:13]
	s_delay_alu instid0(VALU_DEP_4) | instskip(NEXT) | instid1(VALU_DEP_4)
	v_mov_b64_e32 v[6:7], v[14:15]
	v_mov_b64_e32 v[8:9], v[16:17]
	s_branch .LBB119_4
.LBB119_3:                              ;   in Loop: Header=BB119_4 Depth=1
	s_or_b32 exec_lo, exec_lo, s11
	s_add_nc_u64 s[12:13], s[12:13], s[8:9]
	s_delay_alu instid0(SALU_CYCLE_1)
	v_cmp_lt_i64_e32 vcc_lo, s[12:13], v[18:19]
	s_cbranch_vccz .LBB119_13
.LBB119_4:                              ; =>This Inner Loop Header: Depth=1
	v_add_nc_u32_e32 v10, s12, v0
	s_delay_alu instid0(VALU_DEP_1) | instskip(SKIP_2) | instid1(SALU_CYCLE_1)
	v_cmp_gt_i64_e32 vcc_lo, s[6:7], v[10:11]
	v_cmp_gt_u32_e64 s2, 0x10000, v10
	s_and_b32 s2, s2, vcc_lo
	s_and_saveexec_b32 s11, s2
	s_cbranch_execz .LBB119_6
; %bb.5:                                ;   in Loop: Header=BB119_4 Depth=1
	v_lshl_add_u64 v[12:13], v[10:11], 1, s[4:5]
	global_load_u16 v1, v[12:13], off
	s_wait_loadcnt 0x0
	v_lshlrev_b32_e32 v1, 16, v1
	s_delay_alu instid0(VALU_DEP_1) | instskip(SKIP_1) | instid1(VALU_DEP_2)
	v_cvt_f64_f32_e64 v[12:13], |v1|
	v_cmp_u_f32_e64 s2, v1, v1
	v_cmp_lt_f64_e32 vcc_lo, v[2:3], v[12:13]
	s_or_b32 vcc_lo, s2, vcc_lo
	v_dual_cndmask_b32 v3, v3, v13 :: v_dual_cndmask_b32 v2, v2, v12
.LBB119_6:                              ;   in Loop: Header=BB119_4 Depth=1
	s_or_b32 exec_lo, exec_lo, s11
	v_add_nc_u32_e32 v10, s12, v24
	s_delay_alu instid0(VALU_DEP_1) | instskip(SKIP_2) | instid1(SALU_CYCLE_1)
	v_cmp_gt_i64_e32 vcc_lo, s[6:7], v[10:11]
	v_cmp_gt_u32_e64 s2, 0x10000, v10
	s_and_b32 s2, s2, vcc_lo
	s_and_saveexec_b32 s11, s2
	s_cbranch_execz .LBB119_8
; %bb.7:                                ;   in Loop: Header=BB119_4 Depth=1
	v_lshl_add_u64 v[12:13], v[10:11], 1, s[4:5]
	global_load_u16 v1, v[12:13], off
	s_wait_loadcnt 0x0
	v_lshlrev_b32_e32 v1, 16, v1
	s_delay_alu instid0(VALU_DEP_1) | instskip(SKIP_1) | instid1(VALU_DEP_2)
	v_cvt_f64_f32_e64 v[12:13], |v1|
	v_cmp_u_f32_e64 s2, v1, v1
	v_cmp_lt_f64_e32 vcc_lo, v[4:5], v[12:13]
	s_or_b32 vcc_lo, s2, vcc_lo
	v_dual_cndmask_b32 v5, v5, v13 :: v_dual_cndmask_b32 v4, v4, v12
.LBB119_8:                              ;   in Loop: Header=BB119_4 Depth=1
	s_or_b32 exec_lo, exec_lo, s11
	v_add_nc_u32_e32 v10, s12, v22
	s_delay_alu instid0(VALU_DEP_1) | instskip(SKIP_2) | instid1(SALU_CYCLE_1)
	v_cmp_gt_i64_e32 vcc_lo, s[6:7], v[10:11]
	v_cmp_gt_u32_e64 s2, 0x10000, v10
	s_and_b32 s2, s2, vcc_lo
	s_and_saveexec_b32 s11, s2
	s_cbranch_execz .LBB119_10
; %bb.9:                                ;   in Loop: Header=BB119_4 Depth=1
	v_lshl_add_u64 v[12:13], v[10:11], 1, s[4:5]
	global_load_u16 v1, v[12:13], off
	s_wait_loadcnt 0x0
	v_lshlrev_b32_e32 v1, 16, v1
	s_delay_alu instid0(VALU_DEP_1) | instskip(SKIP_1) | instid1(VALU_DEP_2)
	v_cvt_f64_f32_e64 v[12:13], |v1|
	v_cmp_u_f32_e64 s2, v1, v1
	v_cmp_lt_f64_e32 vcc_lo, v[6:7], v[12:13]
	s_or_b32 vcc_lo, s2, vcc_lo
	v_dual_cndmask_b32 v7, v7, v13 :: v_dual_cndmask_b32 v6, v6, v12
.LBB119_10:                             ;   in Loop: Header=BB119_4 Depth=1
	s_or_b32 exec_lo, exec_lo, s11
	v_add_nc_u32_e32 v10, s12, v20
	s_delay_alu instid0(VALU_DEP_1) | instskip(SKIP_2) | instid1(SALU_CYCLE_1)
	v_cmp_gt_i64_e32 vcc_lo, s[6:7], v[10:11]
	v_cmp_gt_u32_e64 s2, 0x10000, v10
	s_and_b32 s2, s2, vcc_lo
	s_and_saveexec_b32 s11, s2
	s_cbranch_execz .LBB119_3
; %bb.11:                               ;   in Loop: Header=BB119_4 Depth=1
	v_lshl_add_u64 v[12:13], v[10:11], 1, s[4:5]
	global_load_u16 v1, v[12:13], off
	s_wait_loadcnt 0x0
	v_lshlrev_b32_e32 v1, 16, v1
	s_delay_alu instid0(VALU_DEP_1) | instskip(SKIP_1) | instid1(VALU_DEP_2)
	v_cvt_f64_f32_e64 v[12:13], |v1|
	v_cmp_u_f32_e64 s2, v1, v1
	v_cmp_lt_f64_e32 vcc_lo, v[8:9], v[12:13]
	s_or_b32 vcc_lo, s2, vcc_lo
	v_dual_cndmask_b32 v9, v9, v13 :: v_dual_cndmask_b32 v8, v8, v12
	s_branch .LBB119_3
.LBB119_12:
	s_mov_b32 s3, -1
                                        ; implicit-def: $vgpr2_vgpr3_vgpr4_vgpr5_vgpr6_vgpr7_vgpr8_vgpr9
.LBB119_13:
	s_delay_alu instid0(SALU_CYCLE_1)
	s_and_not1_b32 vcc_lo, exec_lo, s3
	s_cbranch_vccnz .LBB119_19
.LBB119_14:
	v_min_i64 v[10:11], 0x10000, s[6:7]
	v_dual_mov_b32 v3, 0 :: v_dual_lshlrev_b32 v2, 2, v0
	s_mov_b32 s13, 0
	s_delay_alu instid0(VALU_DEP_1)
	v_dual_mov_b32 v4, v3 :: v_dual_mov_b32 v5, v3
	v_dual_mov_b32 v6, v3 :: v_dual_mov_b32 v7, v3
	;; [unrolled: 1-line block ×3, first 2 shown]
	v_cmp_lt_i64_e32 vcc_lo, v[2:3], v[10:11]
	v_mov_b32_e32 v2, v3
	s_and_saveexec_b32 s11, vcc_lo
	s_cbranch_execz .LBB119_18
; %bb.15:
	s_load_b32 s2, s[0:1], 0xd4c
	v_dual_mov_b32 v1, v3 :: v_dual_lshlrev_b32 v2, 3, v0
	v_mov_b64_e32 v[4:5], 0
	v_mov_b64_e32 v[6:7], 0
	;; [unrolled: 1-line block ×3, first 2 shown]
	s_delay_alu instid0(VALU_DEP_4)
	v_add_nc_u64_e32 v[12:13], s[4:5], v[2:3]
	v_mov_b64_e32 v[2:3], 0
	v_mov_b64_e32 v[14:15], v[0:1]
	s_mov_b32 s15, s13
	s_mov_b32 s16, s13
	s_wait_kmcnt 0x0
	s_and_b32 s12, s2, 0xffff
	s_delay_alu instid0(SALU_CYCLE_1)
	s_lshl_b32 s14, s12, 3
.LBB119_16:                             ; =>This Inner Loop Header: Depth=1
	global_load_b64 v[16:17], v[12:13], off
	v_add_nc_u64_e32 v[14:15], s[12:13], v[14:15]
	s_wait_xcnt 0x0
	v_add_nc_u64_e32 v[12:13], s[14:15], v[12:13]
	s_delay_alu instid0(VALU_DEP_2) | instskip(NEXT) | instid1(VALU_DEP_1)
	v_lshlrev_b64_e32 v[26:27], 2, v[14:15]
	v_cmp_ge_i64_e64 s5, v[26:27], v[10:11]
	s_wait_loadcnt 0x0
	v_alignbit_b32 v22, v17, v16, 16
	v_lshlrev_b32_e32 v1, 16, v16
	v_and_b32_e32 v20, 0xffff0000, v16
	v_and_b32_e32 v28, 0xffff0000, v17
	s_delay_alu instid0(VALU_DEP_4) | instskip(NEXT) | instid1(VALU_DEP_4)
	v_and_b32_e32 v29, 0xffff0000, v22
	v_cvt_f64_f32_e64 v[16:17], |v1|
	s_delay_alu instid0(VALU_DEP_4) | instskip(NEXT) | instid1(VALU_DEP_4)
	v_cvt_f64_f32_e64 v[18:19], |v20|
	v_cvt_f64_f32_e64 v[22:23], |v28|
	v_cmp_u_f32_e64 s6, v1, v1
	v_cvt_f64_f32_e64 v[24:25], |v29|
	v_cmp_u_f32_e64 s7, v20, v20
	v_cmp_u_f32_e64 s8, v28, v28
	v_cmp_u_f32_e64 s9, v29, v29
	v_cmp_lt_f64_e32 vcc_lo, v[2:3], v[16:17]
	v_cmp_lt_f64_e64 s2, v[4:5], v[18:19]
	v_cmp_lt_f64_e64 s3, v[8:9], v[22:23]
	;; [unrolled: 1-line block ×3, first 2 shown]
	s_or_b32 vcc_lo, s6, vcc_lo
	s_or_b32 s2, s7, s2
	s_delay_alu instid0(SALU_CYCLE_1)
	v_dual_cndmask_b32 v3, v3, v17, vcc_lo :: v_dual_cndmask_b32 v5, v5, v19, s2
	v_cndmask_b32_e32 v2, v2, v16, vcc_lo
	s_or_b32 s3, s8, s3
	s_or_b32 vcc_lo, s9, s4
	v_dual_cndmask_b32 v9, v9, v23, s3 :: v_dual_cndmask_b32 v4, v4, v18, s2
	v_dual_cndmask_b32 v8, v8, v22, s3 :: v_dual_cndmask_b32 v7, v7, v25, vcc_lo
	v_cndmask_b32_e32 v6, v6, v24, vcc_lo
	s_or_b32 s16, s5, s16
	s_delay_alu instid0(SALU_CYCLE_1)
	s_and_not1_b32 exec_lo, exec_lo, s16
	s_cbranch_execnz .LBB119_16
; %bb.17:
	s_or_b32 exec_lo, exec_lo, s16
.LBB119_18:
	s_delay_alu instid0(SALU_CYCLE_1)
	s_or_b32 exec_lo, exec_lo, s11
.LBB119_19:
	s_delay_alu instid0(VALU_DEP_1) | instskip(SKIP_3) | instid1(VALU_DEP_1)
	v_cmp_nge_f64_e32 vcc_lo, 0, v[2:3]
	v_mbcnt_lo_u32_b32 v10, -1, 0
	s_barrier_signal -1
	s_barrier_wait -1
	v_lshl_or_b32 v1, v10, 2, 64
	v_cmp_gt_u32_e64 s3, 24, v10
	v_dual_cndmask_b32 v3, 0, v3 :: v_dual_cndmask_b32 v2, 0, v2
	v_cmp_u_f64_e32 vcc_lo, v[4:5], v[4:5]
	s_delay_alu instid0(VALU_DEP_2) | instskip(SKIP_3) | instid1(VALU_DEP_2)
	v_cmp_lt_f64_e64 s2, v[2:3], v[4:5]
	s_or_b32 vcc_lo, vcc_lo, s2
	v_dual_cndmask_b32 v3, v3, v5 :: v_dual_cndmask_b32 v2, v2, v4
	v_cmp_u_f64_e32 vcc_lo, v[6:7], v[6:7]
	v_cmp_lt_f64_e64 s2, v[2:3], v[6:7]
	s_or_b32 vcc_lo, vcc_lo, s2
	v_dual_cndmask_b32 v3, v3, v7 :: v_dual_cndmask_b32 v2, v2, v6
	v_cmp_u_f64_e32 vcc_lo, v[8:9], v[8:9]
	v_cndmask_b32_e64 v6, 0, 8, s3
	v_cmp_gt_u32_e64 s3, 28, v10
	s_delay_alu instid0(VALU_DEP_4) | instskip(NEXT) | instid1(VALU_DEP_3)
	v_cmp_lt_f64_e64 s2, v[2:3], v[8:9]
	v_add_lshl_u32 v6, v6, v10, 2
	s_delay_alu instid0(VALU_DEP_3) | instskip(SKIP_1) | instid1(VALU_DEP_2)
	v_cndmask_b32_e64 v7, 0, 4, s3
	v_cmp_gt_u32_e64 s3, 30, v10
	v_add_lshl_u32 v7, v7, v10, 2
	s_or_b32 vcc_lo, vcc_lo, s2
	v_dual_cndmask_b32 v3, v3, v9 :: v_dual_cndmask_b32 v2, v2, v8
	v_cndmask_b32_e64 v8, 0, 2, s3
	v_cmp_ne_u32_e64 s3, 31, v10
	ds_bpermute_b32 v5, v1, v3
	ds_bpermute_b32 v4, v1, v2
	v_add_lshl_u32 v8, v8, v10, 2
	v_add_co_ci_u32_e64 v9, null, 0, v10, s3
	s_mov_b32 s3, exec_lo
	v_and_b32_e32 v10, 31, v0
	s_wait_dscnt 0x0
	v_cmp_u_f64_e32 vcc_lo, v[4:5], v[4:5]
	v_cmp_lt_f64_e64 s2, v[2:3], v[4:5]
	s_or_b32 vcc_lo, vcc_lo, s2
	v_dual_cndmask_b32 v3, v3, v5 :: v_dual_cndmask_b32 v2, v2, v4
	ds_bpermute_b32 v5, v6, v3
	ds_bpermute_b32 v4, v6, v2
	s_wait_dscnt 0x0
	v_cmp_u_f64_e32 vcc_lo, v[4:5], v[4:5]
	v_cmp_lt_f64_e64 s2, v[2:3], v[4:5]
	s_or_b32 vcc_lo, vcc_lo, s2
	v_dual_cndmask_b32 v3, v3, v5 :: v_dual_cndmask_b32 v2, v2, v4
	ds_bpermute_b32 v5, v7, v3
	ds_bpermute_b32 v4, v7, v2
	;; [unrolled: 7-line block ×3, first 2 shown]
	s_wait_dscnt 0x0
	v_cmp_u_f64_e32 vcc_lo, v[4:5], v[4:5]
	v_cmp_lt_f64_e64 s2, v[2:3], v[4:5]
	s_or_b32 vcc_lo, vcc_lo, s2
	v_dual_cndmask_b32 v2, v2, v4 :: v_dual_lshlrev_b32 v9, 2, v9
	v_cndmask_b32_e32 v3, v3, v5, vcc_lo
	ds_bpermute_b32 v4, v9, v2
	ds_bpermute_b32 v5, v9, v3
	v_cmpx_eq_u32_e32 0, v10
	s_cbranch_execz .LBB119_21
; %bb.20:
	s_wait_dscnt 0x0
	v_cmp_u_f64_e32 vcc_lo, v[4:5], v[4:5]
	v_cmp_lt_f64_e64 s2, v[2:3], v[4:5]
	s_or_b32 vcc_lo, vcc_lo, s2
	s_delay_alu instid0(SALU_CYCLE_1)
	v_dual_lshrrev_b32 v11, 2, v0 :: v_dual_cndmask_b32 v3, v3, v5, vcc_lo
	v_cndmask_b32_e32 v2, v2, v4, vcc_lo
	ds_store_b64 v11, v[2:3]
.LBB119_21:
	s_or_b32 exec_lo, exec_lo, s3
	s_wait_dscnt 0x0
	s_barrier_signal -1
	s_barrier_wait -1
	s_load_b32 s2, s[0:1], 0xd4c
	v_mov_b64_e32 v[2:3], 0xffefffffffffffff
	s_wait_kmcnt 0x0
	s_bfe_u32 s2, s2, 0xb0005
	s_delay_alu instid0(SALU_CYCLE_1)
	v_cmp_gt_u32_e32 vcc_lo, s2, v0
	s_and_saveexec_b32 s2, vcc_lo
; %bb.22:
	v_lshlrev_b32_e32 v2, 3, v10
	ds_load_b64 v[2:3], v2
; %bb.23:
	s_or_b32 exec_lo, exec_lo, s2
	s_delay_alu instid0(SALU_CYCLE_1)
	s_mov_b32 s3, exec_lo
	v_cmpx_gt_u32_e32 32, v0
	s_cbranch_execz .LBB119_25
; %bb.24:
	s_wait_dscnt 0x0
	ds_bpermute_b32 v4, v1, v2
	ds_bpermute_b32 v5, v1, v3
	s_wait_dscnt 0x0
	v_cmp_u_f64_e32 vcc_lo, v[4:5], v[4:5]
	v_cmp_lt_f64_e64 s2, v[2:3], v[4:5]
	s_or_b32 vcc_lo, vcc_lo, s2
	v_dual_cndmask_b32 v3, v3, v5 :: v_dual_cndmask_b32 v2, v2, v4
	ds_bpermute_b32 v5, v6, v3
	ds_bpermute_b32 v4, v6, v2
	s_wait_dscnt 0x0
	v_cmp_u_f64_e32 vcc_lo, v[4:5], v[4:5]
	v_cmp_lt_f64_e64 s2, v[2:3], v[4:5]
	s_or_b32 vcc_lo, vcc_lo, s2
	v_dual_cndmask_b32 v3, v3, v5 :: v_dual_cndmask_b32 v2, v2, v4
	;; [unrolled: 7-line block ×5, first 2 shown]
.LBB119_25:
	s_or_b32 exec_lo, exec_lo, s3
	s_delay_alu instid0(SALU_CYCLE_1)
	s_mov_b32 s2, exec_lo
	v_cmpx_eq_u32_e32 0, v0
	s_cbranch_execz .LBB119_27
; %bb.26:
	s_clause 0x1
	s_load_b32 s2, s[0:1], 0xd20
	s_load_b96 s[4:6], s[0:1], 0xd30
	v_and_b32_e32 v0, 0xff, v21
	s_wait_kmcnt 0x0
	s_delay_alu instid0(VALU_DEP_1) | instskip(NEXT) | instid1(VALU_DEP_1)
	v_add_nc_u32_e32 v0, s2, v0
	v_mul_lo_u32 v0, v0, s6
	s_delay_alu instid0(VALU_DEP_1)
	v_add_nc_u32_e32 v0, s10, v0
	s_wait_dscnt 0x0
	global_store_b64 v0, v[2:3], s[4:5] scale_offset
.LBB119_27:
	s_endpgm
.LBB119_28:
	v_mov_b32_e32 v2, 0
	s_delay_alu instid0(VALU_DEP_1)
	v_dual_mov_b32 v3, v2 :: v_dual_mov_b32 v4, v2
	v_dual_mov_b32 v5, v2 :: v_dual_mov_b32 v6, v2
	;; [unrolled: 1-line block ×3, first 2 shown]
	v_mov_b32_e32 v9, v2
	s_and_not1_b32 vcc_lo, exec_lo, s3
	s_cbranch_vccz .LBB119_14
	s_branch .LBB119_19
	.section	.rodata,"a",@progbits
	.p2align	6, 0x0
	.amdhsa_kernel _ZN2at6native12_GLOBAL__N_125multi_tensor_apply_kernelINS1_18TensorListMetadataILi1EEENS0_13LpNormFunctorIN3c108BFloat16ELNS0_8NormTypeE3EdLi1ELi1ELi0EEEJPdiEEEvT_T0_DpT1_
		.amdhsa_group_segment_fixed_size 4096
		.amdhsa_private_segment_fixed_size 0
		.amdhsa_kernarg_size 3648
		.amdhsa_user_sgpr_count 2
		.amdhsa_user_sgpr_dispatch_ptr 0
		.amdhsa_user_sgpr_queue_ptr 0
		.amdhsa_user_sgpr_kernarg_segment_ptr 1
		.amdhsa_user_sgpr_dispatch_id 0
		.amdhsa_user_sgpr_kernarg_preload_length 0
		.amdhsa_user_sgpr_kernarg_preload_offset 0
		.amdhsa_user_sgpr_private_segment_size 0
		.amdhsa_wavefront_size32 1
		.amdhsa_uses_dynamic_stack 0
		.amdhsa_enable_private_segment 0
		.amdhsa_system_sgpr_workgroup_id_x 1
		.amdhsa_system_sgpr_workgroup_id_y 0
		.amdhsa_system_sgpr_workgroup_id_z 0
		.amdhsa_system_sgpr_workgroup_info 0
		.amdhsa_system_vgpr_workitem_id 0
		.amdhsa_next_free_vgpr 30
		.amdhsa_next_free_sgpr 17
		.amdhsa_named_barrier_count 0
		.amdhsa_reserve_vcc 1
		.amdhsa_float_round_mode_32 0
		.amdhsa_float_round_mode_16_64 0
		.amdhsa_float_denorm_mode_32 3
		.amdhsa_float_denorm_mode_16_64 3
		.amdhsa_fp16_overflow 0
		.amdhsa_memory_ordered 1
		.amdhsa_forward_progress 1
		.amdhsa_inst_pref_size 17
		.amdhsa_round_robin_scheduling 0
		.amdhsa_exception_fp_ieee_invalid_op 0
		.amdhsa_exception_fp_denorm_src 0
		.amdhsa_exception_fp_ieee_div_zero 0
		.amdhsa_exception_fp_ieee_overflow 0
		.amdhsa_exception_fp_ieee_underflow 0
		.amdhsa_exception_fp_ieee_inexact 0
		.amdhsa_exception_int_div_zero 0
	.end_amdhsa_kernel
	.section	.text._ZN2at6native12_GLOBAL__N_125multi_tensor_apply_kernelINS1_18TensorListMetadataILi1EEENS0_13LpNormFunctorIN3c108BFloat16ELNS0_8NormTypeE3EdLi1ELi1ELi0EEEJPdiEEEvT_T0_DpT1_,"axG",@progbits,_ZN2at6native12_GLOBAL__N_125multi_tensor_apply_kernelINS1_18TensorListMetadataILi1EEENS0_13LpNormFunctorIN3c108BFloat16ELNS0_8NormTypeE3EdLi1ELi1ELi0EEEJPdiEEEvT_T0_DpT1_,comdat
.Lfunc_end119:
	.size	_ZN2at6native12_GLOBAL__N_125multi_tensor_apply_kernelINS1_18TensorListMetadataILi1EEENS0_13LpNormFunctorIN3c108BFloat16ELNS0_8NormTypeE3EdLi1ELi1ELi0EEEJPdiEEEvT_T0_DpT1_, .Lfunc_end119-_ZN2at6native12_GLOBAL__N_125multi_tensor_apply_kernelINS1_18TensorListMetadataILi1EEENS0_13LpNormFunctorIN3c108BFloat16ELNS0_8NormTypeE3EdLi1ELi1ELi0EEEJPdiEEEvT_T0_DpT1_
                                        ; -- End function
	.set _ZN2at6native12_GLOBAL__N_125multi_tensor_apply_kernelINS1_18TensorListMetadataILi1EEENS0_13LpNormFunctorIN3c108BFloat16ELNS0_8NormTypeE3EdLi1ELi1ELi0EEEJPdiEEEvT_T0_DpT1_.num_vgpr, 30
	.set _ZN2at6native12_GLOBAL__N_125multi_tensor_apply_kernelINS1_18TensorListMetadataILi1EEENS0_13LpNormFunctorIN3c108BFloat16ELNS0_8NormTypeE3EdLi1ELi1ELi0EEEJPdiEEEvT_T0_DpT1_.num_agpr, 0
	.set _ZN2at6native12_GLOBAL__N_125multi_tensor_apply_kernelINS1_18TensorListMetadataILi1EEENS0_13LpNormFunctorIN3c108BFloat16ELNS0_8NormTypeE3EdLi1ELi1ELi0EEEJPdiEEEvT_T0_DpT1_.numbered_sgpr, 17
	.set _ZN2at6native12_GLOBAL__N_125multi_tensor_apply_kernelINS1_18TensorListMetadataILi1EEENS0_13LpNormFunctorIN3c108BFloat16ELNS0_8NormTypeE3EdLi1ELi1ELi0EEEJPdiEEEvT_T0_DpT1_.num_named_barrier, 0
	.set _ZN2at6native12_GLOBAL__N_125multi_tensor_apply_kernelINS1_18TensorListMetadataILi1EEENS0_13LpNormFunctorIN3c108BFloat16ELNS0_8NormTypeE3EdLi1ELi1ELi0EEEJPdiEEEvT_T0_DpT1_.private_seg_size, 0
	.set _ZN2at6native12_GLOBAL__N_125multi_tensor_apply_kernelINS1_18TensorListMetadataILi1EEENS0_13LpNormFunctorIN3c108BFloat16ELNS0_8NormTypeE3EdLi1ELi1ELi0EEEJPdiEEEvT_T0_DpT1_.uses_vcc, 1
	.set _ZN2at6native12_GLOBAL__N_125multi_tensor_apply_kernelINS1_18TensorListMetadataILi1EEENS0_13LpNormFunctorIN3c108BFloat16ELNS0_8NormTypeE3EdLi1ELi1ELi0EEEJPdiEEEvT_T0_DpT1_.uses_flat_scratch, 0
	.set _ZN2at6native12_GLOBAL__N_125multi_tensor_apply_kernelINS1_18TensorListMetadataILi1EEENS0_13LpNormFunctorIN3c108BFloat16ELNS0_8NormTypeE3EdLi1ELi1ELi0EEEJPdiEEEvT_T0_DpT1_.has_dyn_sized_stack, 0
	.set _ZN2at6native12_GLOBAL__N_125multi_tensor_apply_kernelINS1_18TensorListMetadataILi1EEENS0_13LpNormFunctorIN3c108BFloat16ELNS0_8NormTypeE3EdLi1ELi1ELi0EEEJPdiEEEvT_T0_DpT1_.has_recursion, 0
	.set _ZN2at6native12_GLOBAL__N_125multi_tensor_apply_kernelINS1_18TensorListMetadataILi1EEENS0_13LpNormFunctorIN3c108BFloat16ELNS0_8NormTypeE3EdLi1ELi1ELi0EEEJPdiEEEvT_T0_DpT1_.has_indirect_call, 0
	.section	.AMDGPU.csdata,"",@progbits
; Kernel info:
; codeLenInByte = 2116
; TotalNumSgprs: 19
; NumVgprs: 30
; ScratchSize: 0
; MemoryBound: 0
; FloatMode: 240
; IeeeMode: 1
; LDSByteSize: 4096 bytes/workgroup (compile time only)
; SGPRBlocks: 0
; VGPRBlocks: 1
; NumSGPRsForWavesPerEU: 19
; NumVGPRsForWavesPerEU: 30
; NamedBarCnt: 0
; Occupancy: 16
; WaveLimiterHint : 0
; COMPUTE_PGM_RSRC2:SCRATCH_EN: 0
; COMPUTE_PGM_RSRC2:USER_SGPR: 2
; COMPUTE_PGM_RSRC2:TRAP_HANDLER: 0
; COMPUTE_PGM_RSRC2:TGID_X_EN: 1
; COMPUTE_PGM_RSRC2:TGID_Y_EN: 0
; COMPUTE_PGM_RSRC2:TGID_Z_EN: 0
; COMPUTE_PGM_RSRC2:TIDIG_COMP_CNT: 0
	.section	.text._ZN2at6native14lpnorm_cleanupIN3c108BFloat16ELNS0_8NormTypeE0EdLb1EdEEvPKT3_NS0_19TensorListAddressesEi,"axG",@progbits,_ZN2at6native14lpnorm_cleanupIN3c108BFloat16ELNS0_8NormTypeE0EdLb1EdEEvPKT3_NS0_19TensorListAddressesEi,comdat
	.protected	_ZN2at6native14lpnorm_cleanupIN3c108BFloat16ELNS0_8NormTypeE0EdLb1EdEEvPKT3_NS0_19TensorListAddressesEi ; -- Begin function _ZN2at6native14lpnorm_cleanupIN3c108BFloat16ELNS0_8NormTypeE0EdLb1EdEEvPKT3_NS0_19TensorListAddressesEi
	.globl	_ZN2at6native14lpnorm_cleanupIN3c108BFloat16ELNS0_8NormTypeE0EdLb1EdEEvPKT3_NS0_19TensorListAddressesEi
	.p2align	8
	.type	_ZN2at6native14lpnorm_cleanupIN3c108BFloat16ELNS0_8NormTypeE0EdLb1EdEEvPKT3_NS0_19TensorListAddressesEi,@function
_ZN2at6native14lpnorm_cleanupIN3c108BFloat16ELNS0_8NormTypeE0EdLb1EdEEvPKT3_NS0_19TensorListAddressesEi: ; @_ZN2at6native14lpnorm_cleanupIN3c108BFloat16ELNS0_8NormTypeE0EdLb1EdEEvPKT3_NS0_19TensorListAddressesEi
; %bb.0:
	s_load_b32 s2, s[0:1], 0xc88
	s_bfe_u32 s3, ttmp6, 0x4000c
	s_and_b32 s4, ttmp6, 15
	s_add_co_i32 s3, s3, 1
	v_mov_b64_e32 v[2:3], 0
	s_mul_i32 s3, ttmp9, s3
	s_mov_b32 s5, 0
	s_add_co_i32 s4, s4, s3
	s_getreg_b32 s3, hwreg(HW_REG_IB_STS2, 6, 4)
	s_mov_b32 s9, exec_lo
	s_cmp_eq_u32 s3, 0
	s_cselect_b32 s8, ttmp9, s4
	s_wait_kmcnt 0x0
	v_cmpx_gt_u32_e64 s2, v0
	s_cbranch_execz .LBB120_4
; %bb.1:
	s_clause 0x1
	s_load_b64 s[6:7], s[0:1], 0x0
	s_load_b32 s4, s[0:1], 0xc9c
	v_dual_mov_b32 v1, 0 :: v_dual_lshlrev_b32 v2, 3, v0
	s_mul_i32 s10, s2, s8
	s_mov_b32 s11, s5
	s_ashr_i32 s3, s2, 31
	s_delay_alu instid0(VALU_DEP_1)
	v_mov_b32_e32 v3, v1
	s_lshl_b64 s[10:11], s[10:11], 3
	v_mov_b64_e32 v[6:7], v[0:1]
	s_wait_kmcnt 0x0
	s_add_nc_u64 s[6:7], s[6:7], s[10:11]
	s_and_b32 s4, s4, 0xffff
	v_add_nc_u64_e32 v[4:5], s[6:7], v[2:3]
	v_mov_b64_e32 v[2:3], 0
	s_lshl_b32 s6, s4, 3
	s_mov_b32 s7, s5
	s_mov_b32 s10, s5
.LBB120_2:                              ; =>This Inner Loop Header: Depth=1
	global_load_b64 v[8:9], v[4:5], off
	v_add_nc_u64_e32 v[6:7], s[4:5], v[6:7]
	s_wait_xcnt 0x0
	v_add_nc_u64_e32 v[4:5], s[6:7], v[4:5]
	s_delay_alu instid0(VALU_DEP_2)
	v_cmp_le_u64_e32 vcc_lo, s[2:3], v[6:7]
	s_or_b32 s10, vcc_lo, s10
	s_wait_loadcnt 0x0
	v_add_f64_e32 v[2:3], v[2:3], v[8:9]
	s_and_not1_b32 exec_lo, exec_lo, s10
	s_cbranch_execnz .LBB120_2
; %bb.3:
	s_or_b32 exec_lo, exec_lo, s10
.LBB120_4:
	s_delay_alu instid0(SALU_CYCLE_1) | instskip(SKIP_4) | instid1(VALU_DEP_2)
	s_or_b32 exec_lo, exec_lo, s9
	v_mbcnt_lo_u32_b32 v9, -1, 0
	v_and_b32_e32 v10, 31, v0
	s_mov_b32 s2, exec_lo
	s_barrier_signal -1
	v_lshl_or_b32 v1, v9, 2, 64
	v_cmp_gt_u32_e32 vcc_lo, 24, v9
	s_barrier_wait -1
	ds_bpermute_b32 v4, v1, v2
	ds_bpermute_b32 v5, v1, v3
	s_wait_dscnt 0x0
	v_add_f64_e32 v[2:3], v[2:3], v[4:5]
	v_cndmask_b32_e64 v4, 0, 8, vcc_lo
	v_cmp_gt_u32_e32 vcc_lo, 28, v9
	s_delay_alu instid0(VALU_DEP_2)
	v_add_lshl_u32 v6, v4, v9, 2
	ds_bpermute_b32 v4, v6, v2
	ds_bpermute_b32 v5, v6, v3
	s_wait_dscnt 0x0
	v_add_f64_e32 v[2:3], v[2:3], v[4:5]
	v_cndmask_b32_e64 v4, 0, 4, vcc_lo
	v_cmp_gt_u32_e32 vcc_lo, 30, v9
	s_delay_alu instid0(VALU_DEP_2)
	v_add_lshl_u32 v7, v4, v9, 2
	ds_bpermute_b32 v4, v7, v2
	ds_bpermute_b32 v5, v7, v3
	s_wait_dscnt 0x0
	v_add_f64_e32 v[2:3], v[2:3], v[4:5]
	v_cndmask_b32_e64 v4, 0, 2, vcc_lo
	v_cmp_ne_u32_e32 vcc_lo, 31, v9
	s_delay_alu instid0(VALU_DEP_2)
	v_add_lshl_u32 v8, v4, v9, 2
	ds_bpermute_b32 v4, v8, v2
	ds_bpermute_b32 v5, v8, v3
	s_wait_dscnt 0x0
	v_add_f64_e32 v[2:3], v[2:3], v[4:5]
	v_add_co_ci_u32_e64 v4, null, 0, v9, vcc_lo
	s_delay_alu instid0(VALU_DEP_1)
	v_lshlrev_b32_e32 v9, 2, v4
	ds_bpermute_b32 v4, v9, v2
	ds_bpermute_b32 v5, v9, v3
	v_cmpx_eq_u32_e32 0, v10
	s_cbranch_execz .LBB120_6
; %bb.5:
	s_wait_dscnt 0x0
	v_add_f64_e32 v[2:3], v[2:3], v[4:5]
	v_lshrrev_b32_e32 v4, 2, v0
	ds_store_b64 v4, v[2:3]
.LBB120_6:
	s_or_b32 exec_lo, exec_lo, s2
	s_wait_dscnt 0x0
	s_barrier_signal -1
	s_barrier_wait -1
	s_load_b32 s2, s[0:1], 0xc9c
	v_mov_b64_e32 v[2:3], 0
	s_wait_kmcnt 0x0
	s_bfe_u32 s2, s2, 0xb0005
	s_delay_alu instid0(SALU_CYCLE_1)
	v_cmp_gt_u32_e32 vcc_lo, s2, v0
	s_and_saveexec_b32 s2, vcc_lo
; %bb.7:
	v_lshlrev_b32_e32 v2, 3, v10
	ds_load_b64 v[2:3], v2
; %bb.8:
	s_or_b32 exec_lo, exec_lo, s2
	s_delay_alu instid0(SALU_CYCLE_1)
	s_mov_b32 s2, exec_lo
	v_cmpx_gt_u32_e32 32, v0
	s_cbranch_execz .LBB120_10
; %bb.9:
	s_wait_dscnt 0x0
	ds_bpermute_b32 v4, v1, v2
	ds_bpermute_b32 v5, v1, v3
	s_wait_dscnt 0x0
	v_add_f64_e32 v[2:3], v[2:3], v[4:5]
	ds_bpermute_b32 v4, v6, v2
	ds_bpermute_b32 v5, v6, v3
	s_wait_dscnt 0x0
	v_add_f64_e32 v[2:3], v[2:3], v[4:5]
	;; [unrolled: 4-line block ×5, first 2 shown]
.LBB120_10:
	s_or_b32 exec_lo, exec_lo, s2
	s_delay_alu instid0(SALU_CYCLE_1)
	s_mov_b32 s2, exec_lo
	v_cmpx_eq_u32_e32 0, v0
	s_cbranch_execz .LBB120_12
; %bb.11:
	s_load_b64 s[0:1], s[0:1], s8 offset:0x8 scale_offset
	v_mov_b32_e32 v0, 0
	s_wait_dscnt 0x0
	s_wait_kmcnt 0x0
	global_store_b64 v0, v[2:3], s[0:1]
.LBB120_12:
	s_endpgm
	.section	.rodata,"a",@progbits
	.p2align	6, 0x0
	.amdhsa_kernel _ZN2at6native14lpnorm_cleanupIN3c108BFloat16ELNS0_8NormTypeE0EdLb1EdEEvPKT3_NS0_19TensorListAddressesEi
		.amdhsa_group_segment_fixed_size 4096
		.amdhsa_private_segment_fixed_size 0
		.amdhsa_kernarg_size 3472
		.amdhsa_user_sgpr_count 2
		.amdhsa_user_sgpr_dispatch_ptr 0
		.amdhsa_user_sgpr_queue_ptr 0
		.amdhsa_user_sgpr_kernarg_segment_ptr 1
		.amdhsa_user_sgpr_dispatch_id 0
		.amdhsa_user_sgpr_kernarg_preload_length 0
		.amdhsa_user_sgpr_kernarg_preload_offset 0
		.amdhsa_user_sgpr_private_segment_size 0
		.amdhsa_wavefront_size32 1
		.amdhsa_uses_dynamic_stack 0
		.amdhsa_enable_private_segment 0
		.amdhsa_system_sgpr_workgroup_id_x 1
		.amdhsa_system_sgpr_workgroup_id_y 0
		.amdhsa_system_sgpr_workgroup_id_z 0
		.amdhsa_system_sgpr_workgroup_info 0
		.amdhsa_system_vgpr_workitem_id 0
		.amdhsa_next_free_vgpr 11
		.amdhsa_next_free_sgpr 12
		.amdhsa_named_barrier_count 0
		.amdhsa_reserve_vcc 1
		.amdhsa_float_round_mode_32 0
		.amdhsa_float_round_mode_16_64 0
		.amdhsa_float_denorm_mode_32 3
		.amdhsa_float_denorm_mode_16_64 3
		.amdhsa_fp16_overflow 0
		.amdhsa_memory_ordered 1
		.amdhsa_forward_progress 1
		.amdhsa_inst_pref_size 6
		.amdhsa_round_robin_scheduling 0
		.amdhsa_exception_fp_ieee_invalid_op 0
		.amdhsa_exception_fp_denorm_src 0
		.amdhsa_exception_fp_ieee_div_zero 0
		.amdhsa_exception_fp_ieee_overflow 0
		.amdhsa_exception_fp_ieee_underflow 0
		.amdhsa_exception_fp_ieee_inexact 0
		.amdhsa_exception_int_div_zero 0
	.end_amdhsa_kernel
	.section	.text._ZN2at6native14lpnorm_cleanupIN3c108BFloat16ELNS0_8NormTypeE0EdLb1EdEEvPKT3_NS0_19TensorListAddressesEi,"axG",@progbits,_ZN2at6native14lpnorm_cleanupIN3c108BFloat16ELNS0_8NormTypeE0EdLb1EdEEvPKT3_NS0_19TensorListAddressesEi,comdat
.Lfunc_end120:
	.size	_ZN2at6native14lpnorm_cleanupIN3c108BFloat16ELNS0_8NormTypeE0EdLb1EdEEvPKT3_NS0_19TensorListAddressesEi, .Lfunc_end120-_ZN2at6native14lpnorm_cleanupIN3c108BFloat16ELNS0_8NormTypeE0EdLb1EdEEvPKT3_NS0_19TensorListAddressesEi
                                        ; -- End function
	.set _ZN2at6native14lpnorm_cleanupIN3c108BFloat16ELNS0_8NormTypeE0EdLb1EdEEvPKT3_NS0_19TensorListAddressesEi.num_vgpr, 11
	.set _ZN2at6native14lpnorm_cleanupIN3c108BFloat16ELNS0_8NormTypeE0EdLb1EdEEvPKT3_NS0_19TensorListAddressesEi.num_agpr, 0
	.set _ZN2at6native14lpnorm_cleanupIN3c108BFloat16ELNS0_8NormTypeE0EdLb1EdEEvPKT3_NS0_19TensorListAddressesEi.numbered_sgpr, 12
	.set _ZN2at6native14lpnorm_cleanupIN3c108BFloat16ELNS0_8NormTypeE0EdLb1EdEEvPKT3_NS0_19TensorListAddressesEi.num_named_barrier, 0
	.set _ZN2at6native14lpnorm_cleanupIN3c108BFloat16ELNS0_8NormTypeE0EdLb1EdEEvPKT3_NS0_19TensorListAddressesEi.private_seg_size, 0
	.set _ZN2at6native14lpnorm_cleanupIN3c108BFloat16ELNS0_8NormTypeE0EdLb1EdEEvPKT3_NS0_19TensorListAddressesEi.uses_vcc, 1
	.set _ZN2at6native14lpnorm_cleanupIN3c108BFloat16ELNS0_8NormTypeE0EdLb1EdEEvPKT3_NS0_19TensorListAddressesEi.uses_flat_scratch, 0
	.set _ZN2at6native14lpnorm_cleanupIN3c108BFloat16ELNS0_8NormTypeE0EdLb1EdEEvPKT3_NS0_19TensorListAddressesEi.has_dyn_sized_stack, 0
	.set _ZN2at6native14lpnorm_cleanupIN3c108BFloat16ELNS0_8NormTypeE0EdLb1EdEEvPKT3_NS0_19TensorListAddressesEi.has_recursion, 0
	.set _ZN2at6native14lpnorm_cleanupIN3c108BFloat16ELNS0_8NormTypeE0EdLb1EdEEvPKT3_NS0_19TensorListAddressesEi.has_indirect_call, 0
	.section	.AMDGPU.csdata,"",@progbits
; Kernel info:
; codeLenInByte = 756
; TotalNumSgprs: 14
; NumVgprs: 11
; ScratchSize: 0
; MemoryBound: 0
; FloatMode: 240
; IeeeMode: 1
; LDSByteSize: 4096 bytes/workgroup (compile time only)
; SGPRBlocks: 0
; VGPRBlocks: 0
; NumSGPRsForWavesPerEU: 14
; NumVGPRsForWavesPerEU: 11
; NamedBarCnt: 0
; Occupancy: 16
; WaveLimiterHint : 0
; COMPUTE_PGM_RSRC2:SCRATCH_EN: 0
; COMPUTE_PGM_RSRC2:USER_SGPR: 2
; COMPUTE_PGM_RSRC2:TRAP_HANDLER: 0
; COMPUTE_PGM_RSRC2:TGID_X_EN: 1
; COMPUTE_PGM_RSRC2:TGID_Y_EN: 0
; COMPUTE_PGM_RSRC2:TGID_Z_EN: 0
; COMPUTE_PGM_RSRC2:TIDIG_COMP_CNT: 0
	.section	.text._ZN2at6native14lpnorm_cleanupIN3c108BFloat16ELNS0_8NormTypeE1EdLb1EdEEvPKT3_NS0_19TensorListAddressesEi,"axG",@progbits,_ZN2at6native14lpnorm_cleanupIN3c108BFloat16ELNS0_8NormTypeE1EdLb1EdEEvPKT3_NS0_19TensorListAddressesEi,comdat
	.protected	_ZN2at6native14lpnorm_cleanupIN3c108BFloat16ELNS0_8NormTypeE1EdLb1EdEEvPKT3_NS0_19TensorListAddressesEi ; -- Begin function _ZN2at6native14lpnorm_cleanupIN3c108BFloat16ELNS0_8NormTypeE1EdLb1EdEEvPKT3_NS0_19TensorListAddressesEi
	.globl	_ZN2at6native14lpnorm_cleanupIN3c108BFloat16ELNS0_8NormTypeE1EdLb1EdEEvPKT3_NS0_19TensorListAddressesEi
	.p2align	8
	.type	_ZN2at6native14lpnorm_cleanupIN3c108BFloat16ELNS0_8NormTypeE1EdLb1EdEEvPKT3_NS0_19TensorListAddressesEi,@function
_ZN2at6native14lpnorm_cleanupIN3c108BFloat16ELNS0_8NormTypeE1EdLb1EdEEvPKT3_NS0_19TensorListAddressesEi: ; @_ZN2at6native14lpnorm_cleanupIN3c108BFloat16ELNS0_8NormTypeE1EdLb1EdEEvPKT3_NS0_19TensorListAddressesEi
; %bb.0:
	s_load_b32 s2, s[0:1], 0xc88
	s_bfe_u32 s3, ttmp6, 0x4000c
	s_and_b32 s4, ttmp6, 15
	s_add_co_i32 s3, s3, 1
	v_mov_b64_e32 v[2:3], 0
	s_mul_i32 s3, ttmp9, s3
	s_mov_b32 s5, 0
	s_add_co_i32 s4, s4, s3
	s_getreg_b32 s3, hwreg(HW_REG_IB_STS2, 6, 4)
	s_mov_b32 s9, exec_lo
	s_cmp_eq_u32 s3, 0
	s_cselect_b32 s8, ttmp9, s4
	s_wait_kmcnt 0x0
	v_cmpx_gt_u32_e64 s2, v0
	s_cbranch_execz .LBB121_4
; %bb.1:
	s_clause 0x1
	s_load_b64 s[6:7], s[0:1], 0x0
	s_load_b32 s4, s[0:1], 0xc9c
	v_dual_mov_b32 v1, 0 :: v_dual_lshlrev_b32 v2, 3, v0
	s_mul_i32 s10, s2, s8
	s_mov_b32 s11, s5
	s_ashr_i32 s3, s2, 31
	s_delay_alu instid0(VALU_DEP_1)
	v_mov_b32_e32 v3, v1
	s_lshl_b64 s[10:11], s[10:11], 3
	v_mov_b64_e32 v[6:7], v[0:1]
	s_wait_kmcnt 0x0
	s_add_nc_u64 s[6:7], s[6:7], s[10:11]
	s_and_b32 s4, s4, 0xffff
	v_add_nc_u64_e32 v[4:5], s[6:7], v[2:3]
	v_mov_b64_e32 v[2:3], 0
	s_lshl_b32 s6, s4, 3
	s_mov_b32 s7, s5
	s_mov_b32 s10, s5
.LBB121_2:                              ; =>This Inner Loop Header: Depth=1
	global_load_b64 v[8:9], v[4:5], off
	v_add_nc_u64_e32 v[6:7], s[4:5], v[6:7]
	s_wait_xcnt 0x0
	v_add_nc_u64_e32 v[4:5], s[6:7], v[4:5]
	s_delay_alu instid0(VALU_DEP_2)
	v_cmp_le_u64_e32 vcc_lo, s[2:3], v[6:7]
	s_or_b32 s10, vcc_lo, s10
	s_wait_loadcnt 0x0
	v_add_f64_e32 v[2:3], v[2:3], v[8:9]
	s_and_not1_b32 exec_lo, exec_lo, s10
	s_cbranch_execnz .LBB121_2
; %bb.3:
	s_or_b32 exec_lo, exec_lo, s10
.LBB121_4:
	s_delay_alu instid0(SALU_CYCLE_1) | instskip(SKIP_4) | instid1(VALU_DEP_2)
	s_or_b32 exec_lo, exec_lo, s9
	v_mbcnt_lo_u32_b32 v9, -1, 0
	v_and_b32_e32 v10, 31, v0
	s_mov_b32 s2, exec_lo
	s_barrier_signal -1
	v_lshl_or_b32 v1, v9, 2, 64
	v_cmp_gt_u32_e32 vcc_lo, 24, v9
	s_barrier_wait -1
	ds_bpermute_b32 v4, v1, v2
	ds_bpermute_b32 v5, v1, v3
	s_wait_dscnt 0x0
	v_add_f64_e32 v[2:3], v[2:3], v[4:5]
	v_cndmask_b32_e64 v4, 0, 8, vcc_lo
	v_cmp_gt_u32_e32 vcc_lo, 28, v9
	s_delay_alu instid0(VALU_DEP_2)
	v_add_lshl_u32 v6, v4, v9, 2
	ds_bpermute_b32 v4, v6, v2
	ds_bpermute_b32 v5, v6, v3
	s_wait_dscnt 0x0
	v_add_f64_e32 v[2:3], v[2:3], v[4:5]
	v_cndmask_b32_e64 v4, 0, 4, vcc_lo
	v_cmp_gt_u32_e32 vcc_lo, 30, v9
	s_delay_alu instid0(VALU_DEP_2)
	v_add_lshl_u32 v7, v4, v9, 2
	ds_bpermute_b32 v4, v7, v2
	ds_bpermute_b32 v5, v7, v3
	s_wait_dscnt 0x0
	v_add_f64_e32 v[2:3], v[2:3], v[4:5]
	v_cndmask_b32_e64 v4, 0, 2, vcc_lo
	v_cmp_ne_u32_e32 vcc_lo, 31, v9
	s_delay_alu instid0(VALU_DEP_2)
	v_add_lshl_u32 v8, v4, v9, 2
	ds_bpermute_b32 v4, v8, v2
	ds_bpermute_b32 v5, v8, v3
	s_wait_dscnt 0x0
	v_add_f64_e32 v[2:3], v[2:3], v[4:5]
	v_add_co_ci_u32_e64 v4, null, 0, v9, vcc_lo
	s_delay_alu instid0(VALU_DEP_1)
	v_lshlrev_b32_e32 v9, 2, v4
	ds_bpermute_b32 v4, v9, v2
	ds_bpermute_b32 v5, v9, v3
	v_cmpx_eq_u32_e32 0, v10
	s_cbranch_execz .LBB121_6
; %bb.5:
	s_wait_dscnt 0x0
	v_add_f64_e32 v[2:3], v[2:3], v[4:5]
	v_lshrrev_b32_e32 v4, 2, v0
	ds_store_b64 v4, v[2:3]
.LBB121_6:
	s_or_b32 exec_lo, exec_lo, s2
	s_wait_dscnt 0x0
	s_barrier_signal -1
	s_barrier_wait -1
	s_load_b32 s2, s[0:1], 0xc9c
	v_mov_b64_e32 v[2:3], 0
	s_wait_kmcnt 0x0
	s_bfe_u32 s2, s2, 0xb0005
	s_delay_alu instid0(SALU_CYCLE_1)
	v_cmp_gt_u32_e32 vcc_lo, s2, v0
	s_and_saveexec_b32 s2, vcc_lo
; %bb.7:
	v_lshlrev_b32_e32 v2, 3, v10
	ds_load_b64 v[2:3], v2
; %bb.8:
	s_or_b32 exec_lo, exec_lo, s2
	s_delay_alu instid0(SALU_CYCLE_1)
	s_mov_b32 s2, exec_lo
	v_cmpx_gt_u32_e32 32, v0
	s_cbranch_execz .LBB121_10
; %bb.9:
	s_wait_dscnt 0x0
	ds_bpermute_b32 v4, v1, v2
	ds_bpermute_b32 v5, v1, v3
	s_wait_dscnt 0x0
	v_add_f64_e32 v[2:3], v[2:3], v[4:5]
	ds_bpermute_b32 v4, v6, v2
	ds_bpermute_b32 v5, v6, v3
	s_wait_dscnt 0x0
	v_add_f64_e32 v[2:3], v[2:3], v[4:5]
	;; [unrolled: 4-line block ×5, first 2 shown]
.LBB121_10:
	s_or_b32 exec_lo, exec_lo, s2
	s_delay_alu instid0(SALU_CYCLE_1)
	s_mov_b32 s2, exec_lo
	v_cmpx_eq_u32_e32 0, v0
	s_cbranch_execz .LBB121_12
; %bb.11:
	s_load_b64 s[0:1], s[0:1], s8 offset:0x8 scale_offset
	v_mov_b32_e32 v0, 0
	s_wait_dscnt 0x0
	s_wait_kmcnt 0x0
	global_store_b64 v0, v[2:3], s[0:1]
.LBB121_12:
	s_endpgm
	.section	.rodata,"a",@progbits
	.p2align	6, 0x0
	.amdhsa_kernel _ZN2at6native14lpnorm_cleanupIN3c108BFloat16ELNS0_8NormTypeE1EdLb1EdEEvPKT3_NS0_19TensorListAddressesEi
		.amdhsa_group_segment_fixed_size 4096
		.amdhsa_private_segment_fixed_size 0
		.amdhsa_kernarg_size 3472
		.amdhsa_user_sgpr_count 2
		.amdhsa_user_sgpr_dispatch_ptr 0
		.amdhsa_user_sgpr_queue_ptr 0
		.amdhsa_user_sgpr_kernarg_segment_ptr 1
		.amdhsa_user_sgpr_dispatch_id 0
		.amdhsa_user_sgpr_kernarg_preload_length 0
		.amdhsa_user_sgpr_kernarg_preload_offset 0
		.amdhsa_user_sgpr_private_segment_size 0
		.amdhsa_wavefront_size32 1
		.amdhsa_uses_dynamic_stack 0
		.amdhsa_enable_private_segment 0
		.amdhsa_system_sgpr_workgroup_id_x 1
		.amdhsa_system_sgpr_workgroup_id_y 0
		.amdhsa_system_sgpr_workgroup_id_z 0
		.amdhsa_system_sgpr_workgroup_info 0
		.amdhsa_system_vgpr_workitem_id 0
		.amdhsa_next_free_vgpr 11
		.amdhsa_next_free_sgpr 12
		.amdhsa_named_barrier_count 0
		.amdhsa_reserve_vcc 1
		.amdhsa_float_round_mode_32 0
		.amdhsa_float_round_mode_16_64 0
		.amdhsa_float_denorm_mode_32 3
		.amdhsa_float_denorm_mode_16_64 3
		.amdhsa_fp16_overflow 0
		.amdhsa_memory_ordered 1
		.amdhsa_forward_progress 1
		.amdhsa_inst_pref_size 6
		.amdhsa_round_robin_scheduling 0
		.amdhsa_exception_fp_ieee_invalid_op 0
		.amdhsa_exception_fp_denorm_src 0
		.amdhsa_exception_fp_ieee_div_zero 0
		.amdhsa_exception_fp_ieee_overflow 0
		.amdhsa_exception_fp_ieee_underflow 0
		.amdhsa_exception_fp_ieee_inexact 0
		.amdhsa_exception_int_div_zero 0
	.end_amdhsa_kernel
	.section	.text._ZN2at6native14lpnorm_cleanupIN3c108BFloat16ELNS0_8NormTypeE1EdLb1EdEEvPKT3_NS0_19TensorListAddressesEi,"axG",@progbits,_ZN2at6native14lpnorm_cleanupIN3c108BFloat16ELNS0_8NormTypeE1EdLb1EdEEvPKT3_NS0_19TensorListAddressesEi,comdat
.Lfunc_end121:
	.size	_ZN2at6native14lpnorm_cleanupIN3c108BFloat16ELNS0_8NormTypeE1EdLb1EdEEvPKT3_NS0_19TensorListAddressesEi, .Lfunc_end121-_ZN2at6native14lpnorm_cleanupIN3c108BFloat16ELNS0_8NormTypeE1EdLb1EdEEvPKT3_NS0_19TensorListAddressesEi
                                        ; -- End function
	.set _ZN2at6native14lpnorm_cleanupIN3c108BFloat16ELNS0_8NormTypeE1EdLb1EdEEvPKT3_NS0_19TensorListAddressesEi.num_vgpr, 11
	.set _ZN2at6native14lpnorm_cleanupIN3c108BFloat16ELNS0_8NormTypeE1EdLb1EdEEvPKT3_NS0_19TensorListAddressesEi.num_agpr, 0
	.set _ZN2at6native14lpnorm_cleanupIN3c108BFloat16ELNS0_8NormTypeE1EdLb1EdEEvPKT3_NS0_19TensorListAddressesEi.numbered_sgpr, 12
	.set _ZN2at6native14lpnorm_cleanupIN3c108BFloat16ELNS0_8NormTypeE1EdLb1EdEEvPKT3_NS0_19TensorListAddressesEi.num_named_barrier, 0
	.set _ZN2at6native14lpnorm_cleanupIN3c108BFloat16ELNS0_8NormTypeE1EdLb1EdEEvPKT3_NS0_19TensorListAddressesEi.private_seg_size, 0
	.set _ZN2at6native14lpnorm_cleanupIN3c108BFloat16ELNS0_8NormTypeE1EdLb1EdEEvPKT3_NS0_19TensorListAddressesEi.uses_vcc, 1
	.set _ZN2at6native14lpnorm_cleanupIN3c108BFloat16ELNS0_8NormTypeE1EdLb1EdEEvPKT3_NS0_19TensorListAddressesEi.uses_flat_scratch, 0
	.set _ZN2at6native14lpnorm_cleanupIN3c108BFloat16ELNS0_8NormTypeE1EdLb1EdEEvPKT3_NS0_19TensorListAddressesEi.has_dyn_sized_stack, 0
	.set _ZN2at6native14lpnorm_cleanupIN3c108BFloat16ELNS0_8NormTypeE1EdLb1EdEEvPKT3_NS0_19TensorListAddressesEi.has_recursion, 0
	.set _ZN2at6native14lpnorm_cleanupIN3c108BFloat16ELNS0_8NormTypeE1EdLb1EdEEvPKT3_NS0_19TensorListAddressesEi.has_indirect_call, 0
	.section	.AMDGPU.csdata,"",@progbits
; Kernel info:
; codeLenInByte = 756
; TotalNumSgprs: 14
; NumVgprs: 11
; ScratchSize: 0
; MemoryBound: 0
; FloatMode: 240
; IeeeMode: 1
; LDSByteSize: 4096 bytes/workgroup (compile time only)
; SGPRBlocks: 0
; VGPRBlocks: 0
; NumSGPRsForWavesPerEU: 14
; NumVGPRsForWavesPerEU: 11
; NamedBarCnt: 0
; Occupancy: 16
; WaveLimiterHint : 0
; COMPUTE_PGM_RSRC2:SCRATCH_EN: 0
; COMPUTE_PGM_RSRC2:USER_SGPR: 2
; COMPUTE_PGM_RSRC2:TRAP_HANDLER: 0
; COMPUTE_PGM_RSRC2:TGID_X_EN: 1
; COMPUTE_PGM_RSRC2:TGID_Y_EN: 0
; COMPUTE_PGM_RSRC2:TGID_Z_EN: 0
; COMPUTE_PGM_RSRC2:TIDIG_COMP_CNT: 0
	.section	.text._ZN2at6native14lpnorm_cleanupIN3c108BFloat16ELNS0_8NormTypeE2EdLb1EdEEvPKT3_NS0_19TensorListAddressesEi,"axG",@progbits,_ZN2at6native14lpnorm_cleanupIN3c108BFloat16ELNS0_8NormTypeE2EdLb1EdEEvPKT3_NS0_19TensorListAddressesEi,comdat
	.protected	_ZN2at6native14lpnorm_cleanupIN3c108BFloat16ELNS0_8NormTypeE2EdLb1EdEEvPKT3_NS0_19TensorListAddressesEi ; -- Begin function _ZN2at6native14lpnorm_cleanupIN3c108BFloat16ELNS0_8NormTypeE2EdLb1EdEEvPKT3_NS0_19TensorListAddressesEi
	.globl	_ZN2at6native14lpnorm_cleanupIN3c108BFloat16ELNS0_8NormTypeE2EdLb1EdEEvPKT3_NS0_19TensorListAddressesEi
	.p2align	8
	.type	_ZN2at6native14lpnorm_cleanupIN3c108BFloat16ELNS0_8NormTypeE2EdLb1EdEEvPKT3_NS0_19TensorListAddressesEi,@function
_ZN2at6native14lpnorm_cleanupIN3c108BFloat16ELNS0_8NormTypeE2EdLb1EdEEvPKT3_NS0_19TensorListAddressesEi: ; @_ZN2at6native14lpnorm_cleanupIN3c108BFloat16ELNS0_8NormTypeE2EdLb1EdEEvPKT3_NS0_19TensorListAddressesEi
; %bb.0:
	s_load_b32 s2, s[0:1], 0xc88
	s_bfe_u32 s3, ttmp6, 0x4000c
	s_and_b32 s4, ttmp6, 15
	s_add_co_i32 s3, s3, 1
	v_mov_b64_e32 v[2:3], 0
	s_mul_i32 s3, ttmp9, s3
	s_mov_b32 s5, 0
	s_add_co_i32 s4, s4, s3
	s_getreg_b32 s3, hwreg(HW_REG_IB_STS2, 6, 4)
	s_mov_b32 s9, exec_lo
	s_cmp_eq_u32 s3, 0
	s_cselect_b32 s8, ttmp9, s4
	s_wait_kmcnt 0x0
	v_cmpx_gt_u32_e64 s2, v0
	s_cbranch_execz .LBB122_4
; %bb.1:
	s_clause 0x1
	s_load_b64 s[6:7], s[0:1], 0x0
	s_load_b32 s4, s[0:1], 0xc9c
	v_dual_mov_b32 v1, 0 :: v_dual_lshlrev_b32 v2, 3, v0
	s_mul_i32 s10, s2, s8
	s_mov_b32 s11, s5
	s_ashr_i32 s3, s2, 31
	s_delay_alu instid0(VALU_DEP_1)
	v_mov_b32_e32 v3, v1
	s_lshl_b64 s[10:11], s[10:11], 3
	v_mov_b64_e32 v[6:7], v[0:1]
	s_wait_kmcnt 0x0
	s_add_nc_u64 s[6:7], s[6:7], s[10:11]
	s_and_b32 s4, s4, 0xffff
	v_add_nc_u64_e32 v[4:5], s[6:7], v[2:3]
	v_mov_b64_e32 v[2:3], 0
	s_lshl_b32 s6, s4, 3
	s_mov_b32 s7, s5
	s_mov_b32 s10, s5
.LBB122_2:                              ; =>This Inner Loop Header: Depth=1
	global_load_b64 v[8:9], v[4:5], off
	v_add_nc_u64_e32 v[6:7], s[4:5], v[6:7]
	s_wait_xcnt 0x0
	v_add_nc_u64_e32 v[4:5], s[6:7], v[4:5]
	s_delay_alu instid0(VALU_DEP_2)
	v_cmp_le_u64_e32 vcc_lo, s[2:3], v[6:7]
	s_or_b32 s10, vcc_lo, s10
	s_wait_loadcnt 0x0
	v_add_f64_e32 v[2:3], v[2:3], v[8:9]
	s_and_not1_b32 exec_lo, exec_lo, s10
	s_cbranch_execnz .LBB122_2
; %bb.3:
	s_or_b32 exec_lo, exec_lo, s10
.LBB122_4:
	s_delay_alu instid0(SALU_CYCLE_1) | instskip(SKIP_4) | instid1(VALU_DEP_2)
	s_or_b32 exec_lo, exec_lo, s9
	v_mbcnt_lo_u32_b32 v9, -1, 0
	v_and_b32_e32 v10, 31, v0
	s_mov_b32 s2, exec_lo
	s_barrier_signal -1
	v_lshl_or_b32 v1, v9, 2, 64
	v_cmp_gt_u32_e32 vcc_lo, 24, v9
	s_barrier_wait -1
	ds_bpermute_b32 v4, v1, v2
	ds_bpermute_b32 v5, v1, v3
	s_wait_dscnt 0x0
	v_add_f64_e32 v[2:3], v[2:3], v[4:5]
	v_cndmask_b32_e64 v4, 0, 8, vcc_lo
	v_cmp_gt_u32_e32 vcc_lo, 28, v9
	s_delay_alu instid0(VALU_DEP_2)
	v_add_lshl_u32 v6, v4, v9, 2
	ds_bpermute_b32 v4, v6, v2
	ds_bpermute_b32 v5, v6, v3
	s_wait_dscnt 0x0
	v_add_f64_e32 v[2:3], v[2:3], v[4:5]
	v_cndmask_b32_e64 v4, 0, 4, vcc_lo
	v_cmp_gt_u32_e32 vcc_lo, 30, v9
	s_delay_alu instid0(VALU_DEP_2)
	v_add_lshl_u32 v7, v4, v9, 2
	ds_bpermute_b32 v4, v7, v2
	ds_bpermute_b32 v5, v7, v3
	s_wait_dscnt 0x0
	v_add_f64_e32 v[2:3], v[2:3], v[4:5]
	v_cndmask_b32_e64 v4, 0, 2, vcc_lo
	v_cmp_ne_u32_e32 vcc_lo, 31, v9
	s_delay_alu instid0(VALU_DEP_2)
	v_add_lshl_u32 v8, v4, v9, 2
	ds_bpermute_b32 v4, v8, v2
	ds_bpermute_b32 v5, v8, v3
	s_wait_dscnt 0x0
	v_add_f64_e32 v[2:3], v[2:3], v[4:5]
	v_add_co_ci_u32_e64 v4, null, 0, v9, vcc_lo
	s_delay_alu instid0(VALU_DEP_1)
	v_lshlrev_b32_e32 v9, 2, v4
	ds_bpermute_b32 v4, v9, v2
	ds_bpermute_b32 v5, v9, v3
	v_cmpx_eq_u32_e32 0, v10
	s_cbranch_execz .LBB122_6
; %bb.5:
	s_wait_dscnt 0x0
	v_add_f64_e32 v[2:3], v[2:3], v[4:5]
	v_lshrrev_b32_e32 v4, 2, v0
	ds_store_b64 v4, v[2:3]
.LBB122_6:
	s_or_b32 exec_lo, exec_lo, s2
	s_wait_dscnt 0x0
	s_barrier_signal -1
	s_barrier_wait -1
	s_load_b32 s2, s[0:1], 0xc9c
	v_mov_b64_e32 v[2:3], 0
	s_wait_kmcnt 0x0
	s_bfe_u32 s2, s2, 0xb0005
	s_delay_alu instid0(SALU_CYCLE_1)
	v_cmp_gt_u32_e32 vcc_lo, s2, v0
	s_and_saveexec_b32 s2, vcc_lo
; %bb.7:
	v_lshlrev_b32_e32 v2, 3, v10
	ds_load_b64 v[2:3], v2
; %bb.8:
	s_or_b32 exec_lo, exec_lo, s2
	s_delay_alu instid0(SALU_CYCLE_1)
	s_mov_b32 s2, exec_lo
	v_cmpx_gt_u32_e32 32, v0
	s_cbranch_execz .LBB122_10
; %bb.9:
	s_wait_dscnt 0x0
	ds_bpermute_b32 v4, v1, v2
	ds_bpermute_b32 v5, v1, v3
	s_wait_dscnt 0x0
	v_add_f64_e32 v[2:3], v[2:3], v[4:5]
	ds_bpermute_b32 v4, v6, v2
	ds_bpermute_b32 v5, v6, v3
	s_wait_dscnt 0x0
	v_add_f64_e32 v[2:3], v[2:3], v[4:5]
	;; [unrolled: 4-line block ×5, first 2 shown]
.LBB122_10:
	s_or_b32 exec_lo, exec_lo, s2
	s_delay_alu instid0(SALU_CYCLE_1)
	s_mov_b32 s2, exec_lo
	v_cmpx_eq_u32_e32 0, v0
	s_cbranch_execz .LBB122_12
; %bb.11:
	s_wait_dscnt 0x0
	s_delay_alu instid0(VALU_DEP_2) | instskip(SKIP_2) | instid1(VALU_DEP_1)
	v_cmp_gt_f64_e32 vcc_lo, 0x10000000, v[2:3]
	s_load_b64 s[0:1], s[0:1], s8 offset:0x8 scale_offset
	v_cndmask_b32_e64 v0, 0, 0x100, vcc_lo
	v_ldexp_f64 v[0:1], v[2:3], v0
	s_delay_alu instid0(VALU_DEP_1) | instskip(SKIP_1) | instid1(TRANS32_DEP_1)
	v_rsq_f64_e32 v[2:3], v[0:1]
	v_nop
	v_mul_f64_e32 v[4:5], v[0:1], v[2:3]
	v_mul_f64_e32 v[2:3], 0.5, v[2:3]
	s_delay_alu instid0(VALU_DEP_1) | instskip(NEXT) | instid1(VALU_DEP_1)
	v_fma_f64 v[6:7], -v[2:3], v[4:5], 0.5
	v_fmac_f64_e32 v[4:5], v[4:5], v[6:7]
	v_fmac_f64_e32 v[2:3], v[2:3], v[6:7]
	s_delay_alu instid0(VALU_DEP_2) | instskip(NEXT) | instid1(VALU_DEP_1)
	v_fma_f64 v[6:7], -v[4:5], v[4:5], v[0:1]
	v_fmac_f64_e32 v[4:5], v[6:7], v[2:3]
	s_delay_alu instid0(VALU_DEP_1) | instskip(NEXT) | instid1(VALU_DEP_1)
	v_fma_f64 v[6:7], -v[4:5], v[4:5], v[0:1]
	v_fmac_f64_e32 v[4:5], v[6:7], v[2:3]
	v_cndmask_b32_e64 v2, 0, 0xffffff80, vcc_lo
	v_cmp_class_f64_e64 vcc_lo, v[0:1], 0x260
	s_delay_alu instid0(VALU_DEP_2) | instskip(NEXT) | instid1(VALU_DEP_1)
	v_ldexp_f64 v[2:3], v[4:5], v2
	v_dual_cndmask_b32 v1, v3, v1 :: v_dual_cndmask_b32 v0, v2, v0
	v_mov_b32_e32 v2, 0
	s_wait_kmcnt 0x0
	global_store_b64 v2, v[0:1], s[0:1]
.LBB122_12:
	s_endpgm
	.section	.rodata,"a",@progbits
	.p2align	6, 0x0
	.amdhsa_kernel _ZN2at6native14lpnorm_cleanupIN3c108BFloat16ELNS0_8NormTypeE2EdLb1EdEEvPKT3_NS0_19TensorListAddressesEi
		.amdhsa_group_segment_fixed_size 4096
		.amdhsa_private_segment_fixed_size 0
		.amdhsa_kernarg_size 3472
		.amdhsa_user_sgpr_count 2
		.amdhsa_user_sgpr_dispatch_ptr 0
		.amdhsa_user_sgpr_queue_ptr 0
		.amdhsa_user_sgpr_kernarg_segment_ptr 1
		.amdhsa_user_sgpr_dispatch_id 0
		.amdhsa_user_sgpr_kernarg_preload_length 0
		.amdhsa_user_sgpr_kernarg_preload_offset 0
		.amdhsa_user_sgpr_private_segment_size 0
		.amdhsa_wavefront_size32 1
		.amdhsa_uses_dynamic_stack 0
		.amdhsa_enable_private_segment 0
		.amdhsa_system_sgpr_workgroup_id_x 1
		.amdhsa_system_sgpr_workgroup_id_y 0
		.amdhsa_system_sgpr_workgroup_id_z 0
		.amdhsa_system_sgpr_workgroup_info 0
		.amdhsa_system_vgpr_workitem_id 0
		.amdhsa_next_free_vgpr 11
		.amdhsa_next_free_sgpr 12
		.amdhsa_named_barrier_count 0
		.amdhsa_reserve_vcc 1
		.amdhsa_float_round_mode_32 0
		.amdhsa_float_round_mode_16_64 0
		.amdhsa_float_denorm_mode_32 3
		.amdhsa_float_denorm_mode_16_64 3
		.amdhsa_fp16_overflow 0
		.amdhsa_memory_ordered 1
		.amdhsa_forward_progress 1
		.amdhsa_inst_pref_size 8
		.amdhsa_round_robin_scheduling 0
		.amdhsa_exception_fp_ieee_invalid_op 0
		.amdhsa_exception_fp_denorm_src 0
		.amdhsa_exception_fp_ieee_div_zero 0
		.amdhsa_exception_fp_ieee_overflow 0
		.amdhsa_exception_fp_ieee_underflow 0
		.amdhsa_exception_fp_ieee_inexact 0
		.amdhsa_exception_int_div_zero 0
	.end_amdhsa_kernel
	.section	.text._ZN2at6native14lpnorm_cleanupIN3c108BFloat16ELNS0_8NormTypeE2EdLb1EdEEvPKT3_NS0_19TensorListAddressesEi,"axG",@progbits,_ZN2at6native14lpnorm_cleanupIN3c108BFloat16ELNS0_8NormTypeE2EdLb1EdEEvPKT3_NS0_19TensorListAddressesEi,comdat
.Lfunc_end122:
	.size	_ZN2at6native14lpnorm_cleanupIN3c108BFloat16ELNS0_8NormTypeE2EdLb1EdEEvPKT3_NS0_19TensorListAddressesEi, .Lfunc_end122-_ZN2at6native14lpnorm_cleanupIN3c108BFloat16ELNS0_8NormTypeE2EdLb1EdEEvPKT3_NS0_19TensorListAddressesEi
                                        ; -- End function
	.set _ZN2at6native14lpnorm_cleanupIN3c108BFloat16ELNS0_8NormTypeE2EdLb1EdEEvPKT3_NS0_19TensorListAddressesEi.num_vgpr, 11
	.set _ZN2at6native14lpnorm_cleanupIN3c108BFloat16ELNS0_8NormTypeE2EdLb1EdEEvPKT3_NS0_19TensorListAddressesEi.num_agpr, 0
	.set _ZN2at6native14lpnorm_cleanupIN3c108BFloat16ELNS0_8NormTypeE2EdLb1EdEEvPKT3_NS0_19TensorListAddressesEi.numbered_sgpr, 12
	.set _ZN2at6native14lpnorm_cleanupIN3c108BFloat16ELNS0_8NormTypeE2EdLb1EdEEvPKT3_NS0_19TensorListAddressesEi.num_named_barrier, 0
	.set _ZN2at6native14lpnorm_cleanupIN3c108BFloat16ELNS0_8NormTypeE2EdLb1EdEEvPKT3_NS0_19TensorListAddressesEi.private_seg_size, 0
	.set _ZN2at6native14lpnorm_cleanupIN3c108BFloat16ELNS0_8NormTypeE2EdLb1EdEEvPKT3_NS0_19TensorListAddressesEi.uses_vcc, 1
	.set _ZN2at6native14lpnorm_cleanupIN3c108BFloat16ELNS0_8NormTypeE2EdLb1EdEEvPKT3_NS0_19TensorListAddressesEi.uses_flat_scratch, 0
	.set _ZN2at6native14lpnorm_cleanupIN3c108BFloat16ELNS0_8NormTypeE2EdLb1EdEEvPKT3_NS0_19TensorListAddressesEi.has_dyn_sized_stack, 0
	.set _ZN2at6native14lpnorm_cleanupIN3c108BFloat16ELNS0_8NormTypeE2EdLb1EdEEvPKT3_NS0_19TensorListAddressesEi.has_recursion, 0
	.set _ZN2at6native14lpnorm_cleanupIN3c108BFloat16ELNS0_8NormTypeE2EdLb1EdEEvPKT3_NS0_19TensorListAddressesEi.has_indirect_call, 0
	.section	.AMDGPU.csdata,"",@progbits
; Kernel info:
; codeLenInByte = 904
; TotalNumSgprs: 14
; NumVgprs: 11
; ScratchSize: 0
; MemoryBound: 0
; FloatMode: 240
; IeeeMode: 1
; LDSByteSize: 4096 bytes/workgroup (compile time only)
; SGPRBlocks: 0
; VGPRBlocks: 0
; NumSGPRsForWavesPerEU: 14
; NumVGPRsForWavesPerEU: 11
; NamedBarCnt: 0
; Occupancy: 16
; WaveLimiterHint : 0
; COMPUTE_PGM_RSRC2:SCRATCH_EN: 0
; COMPUTE_PGM_RSRC2:USER_SGPR: 2
; COMPUTE_PGM_RSRC2:TRAP_HANDLER: 0
; COMPUTE_PGM_RSRC2:TGID_X_EN: 1
; COMPUTE_PGM_RSRC2:TGID_Y_EN: 0
; COMPUTE_PGM_RSRC2:TGID_Z_EN: 0
; COMPUTE_PGM_RSRC2:TIDIG_COMP_CNT: 0
	.section	.text._ZN2at6native14lpnorm_cleanupIN3c108BFloat16ELNS0_8NormTypeE3EdLb1EdEEvPKT3_NS0_19TensorListAddressesEi,"axG",@progbits,_ZN2at6native14lpnorm_cleanupIN3c108BFloat16ELNS0_8NormTypeE3EdLb1EdEEvPKT3_NS0_19TensorListAddressesEi,comdat
	.protected	_ZN2at6native14lpnorm_cleanupIN3c108BFloat16ELNS0_8NormTypeE3EdLb1EdEEvPKT3_NS0_19TensorListAddressesEi ; -- Begin function _ZN2at6native14lpnorm_cleanupIN3c108BFloat16ELNS0_8NormTypeE3EdLb1EdEEvPKT3_NS0_19TensorListAddressesEi
	.globl	_ZN2at6native14lpnorm_cleanupIN3c108BFloat16ELNS0_8NormTypeE3EdLb1EdEEvPKT3_NS0_19TensorListAddressesEi
	.p2align	8
	.type	_ZN2at6native14lpnorm_cleanupIN3c108BFloat16ELNS0_8NormTypeE3EdLb1EdEEvPKT3_NS0_19TensorListAddressesEi,@function
_ZN2at6native14lpnorm_cleanupIN3c108BFloat16ELNS0_8NormTypeE3EdLb1EdEEvPKT3_NS0_19TensorListAddressesEi: ; @_ZN2at6native14lpnorm_cleanupIN3c108BFloat16ELNS0_8NormTypeE3EdLb1EdEEvPKT3_NS0_19TensorListAddressesEi
; %bb.0:
	s_load_b32 s4, s[0:1], 0xc88
	s_bfe_u32 s2, ttmp6, 0x4000c
	s_and_b32 s3, ttmp6, 15
	s_add_co_i32 s2, s2, 1
	v_mov_b64_e32 v[2:3], 0
	s_mul_i32 s2, ttmp9, s2
	s_mov_b32 s7, 0
	s_add_co_i32 s3, s3, s2
	s_getreg_b32 s2, hwreg(HW_REG_IB_STS2, 6, 4)
	s_mov_b32 s11, exec_lo
	s_cmp_eq_u32 s2, 0
	s_cselect_b32 s10, ttmp9, s3
	s_wait_kmcnt 0x0
	v_cmpx_gt_u32_e64 s4, v0
	s_cbranch_execz .LBB123_4
; %bb.1:
	s_clause 0x1
	s_load_b64 s[2:3], s[0:1], 0x0
	s_load_b32 s6, s[0:1], 0xc9c
	v_dual_mov_b32 v1, 0 :: v_dual_lshlrev_b32 v2, 3, v0
	s_mul_i32 s8, s4, s10
	s_mov_b32 s9, s7
	s_ashr_i32 s5, s4, 31
	s_delay_alu instid0(VALU_DEP_1)
	v_mov_b32_e32 v3, v1
	s_lshl_b64 s[8:9], s[8:9], 3
	v_mov_b64_e32 v[6:7], v[0:1]
	s_mov_b32 s12, s7
	s_wait_kmcnt 0x0
	s_add_nc_u64 s[2:3], s[2:3], s[8:9]
	s_and_b32 s6, s6, 0xffff
	v_add_nc_u64_e32 v[4:5], s[2:3], v[2:3]
	v_mov_b64_e32 v[2:3], 0
	s_lshl_b32 s8, s6, 3
	s_mov_b32 s9, s7
.LBB123_2:                              ; =>This Inner Loop Header: Depth=1
	global_load_b64 v[8:9], v[4:5], off
	v_add_nc_u64_e32 v[6:7], s[6:7], v[6:7]
	s_wait_xcnt 0x0
	v_add_nc_u64_e32 v[4:5], s[8:9], v[4:5]
	s_delay_alu instid0(VALU_DEP_2)
	v_cmp_le_u64_e64 s3, s[4:5], v[6:7]
	s_wait_loadcnt 0x0
	v_cmp_u_f64_e32 vcc_lo, v[8:9], v[8:9]
	v_cmp_lt_f64_e64 s2, v[2:3], v[8:9]
	s_or_b32 vcc_lo, vcc_lo, s2
	s_or_b32 s12, s3, s12
	v_dual_cndmask_b32 v3, v3, v9 :: v_dual_cndmask_b32 v2, v2, v8
	s_and_not1_b32 exec_lo, exec_lo, s12
	s_cbranch_execnz .LBB123_2
; %bb.3:
	s_or_b32 exec_lo, exec_lo, s12
.LBB123_4:
	s_delay_alu instid0(SALU_CYCLE_1) | instskip(SKIP_3) | instid1(VALU_DEP_1)
	s_or_b32 exec_lo, exec_lo, s11
	v_mbcnt_lo_u32_b32 v9, -1, 0
	s_barrier_signal -1
	s_barrier_wait -1
	v_lshl_or_b32 v1, v9, 2, 64
	v_cmp_gt_u32_e64 s3, 24, v9
	v_and_b32_e32 v10, 31, v0
	ds_bpermute_b32 v4, v1, v2
	ds_bpermute_b32 v5, v1, v3
	v_cndmask_b32_e64 v6, 0, 8, s3
	v_cmp_gt_u32_e64 s3, 28, v9
	s_delay_alu instid0(VALU_DEP_2) | instskip(NEXT) | instid1(VALU_DEP_2)
	v_add_lshl_u32 v6, v6, v9, 2
	v_cndmask_b32_e64 v7, 0, 4, s3
	v_cmp_gt_u32_e64 s3, 30, v9
	s_delay_alu instid0(VALU_DEP_2) | instskip(NEXT) | instid1(VALU_DEP_2)
	v_add_lshl_u32 v7, v7, v9, 2
	v_cndmask_b32_e64 v8, 0, 2, s3
	v_cmp_ne_u32_e64 s3, 31, v9
	s_delay_alu instid0(VALU_DEP_2) | instskip(NEXT) | instid1(VALU_DEP_2)
	v_add_lshl_u32 v8, v8, v9, 2
	v_add_co_ci_u32_e64 v9, null, 0, v9, s3
	s_wait_dscnt 0x0
	v_cmp_u_f64_e32 vcc_lo, v[4:5], v[4:5]
	v_cmp_lt_f64_e64 s2, v[2:3], v[4:5]
	s_mov_b32 s3, exec_lo
	s_or_b32 vcc_lo, vcc_lo, s2
	v_dual_cndmask_b32 v3, v3, v5 :: v_dual_cndmask_b32 v2, v2, v4
	ds_bpermute_b32 v5, v6, v3
	ds_bpermute_b32 v4, v6, v2
	s_wait_dscnt 0x0
	v_cmp_u_f64_e32 vcc_lo, v[4:5], v[4:5]
	v_cmp_lt_f64_e64 s2, v[2:3], v[4:5]
	s_or_b32 vcc_lo, vcc_lo, s2
	v_dual_cndmask_b32 v3, v3, v5 :: v_dual_cndmask_b32 v2, v2, v4
	ds_bpermute_b32 v5, v7, v3
	ds_bpermute_b32 v4, v7, v2
	s_wait_dscnt 0x0
	v_cmp_u_f64_e32 vcc_lo, v[4:5], v[4:5]
	v_cmp_lt_f64_e64 s2, v[2:3], v[4:5]
	;; [unrolled: 7-line block ×3, first 2 shown]
	s_or_b32 vcc_lo, vcc_lo, s2
	v_dual_cndmask_b32 v2, v2, v4 :: v_dual_lshlrev_b32 v9, 2, v9
	v_cndmask_b32_e32 v3, v3, v5, vcc_lo
	ds_bpermute_b32 v4, v9, v2
	ds_bpermute_b32 v5, v9, v3
	v_cmpx_eq_u32_e32 0, v10
	s_cbranch_execz .LBB123_6
; %bb.5:
	s_wait_dscnt 0x0
	v_cmp_u_f64_e32 vcc_lo, v[4:5], v[4:5]
	v_cmp_lt_f64_e64 s2, v[2:3], v[4:5]
	s_or_b32 vcc_lo, vcc_lo, s2
	s_delay_alu instid0(SALU_CYCLE_1)
	v_dual_lshrrev_b32 v11, 2, v0 :: v_dual_cndmask_b32 v3, v3, v5, vcc_lo
	v_cndmask_b32_e32 v2, v2, v4, vcc_lo
	ds_store_b64 v11, v[2:3]
.LBB123_6:
	s_or_b32 exec_lo, exec_lo, s3
	s_wait_dscnt 0x0
	s_barrier_signal -1
	s_barrier_wait -1
	s_load_b32 s2, s[0:1], 0xc9c
	v_mov_b64_e32 v[2:3], 0xffefffffffffffff
	s_wait_kmcnt 0x0
	s_bfe_u32 s2, s2, 0xb0005
	s_delay_alu instid0(SALU_CYCLE_1)
	v_cmp_gt_u32_e32 vcc_lo, s2, v0
	s_and_saveexec_b32 s2, vcc_lo
; %bb.7:
	v_lshlrev_b32_e32 v2, 3, v10
	ds_load_b64 v[2:3], v2
; %bb.8:
	s_or_b32 exec_lo, exec_lo, s2
	s_delay_alu instid0(SALU_CYCLE_1)
	s_mov_b32 s3, exec_lo
	v_cmpx_gt_u32_e32 32, v0
	s_cbranch_execz .LBB123_10
; %bb.9:
	s_wait_dscnt 0x0
	ds_bpermute_b32 v4, v1, v2
	ds_bpermute_b32 v5, v1, v3
	s_wait_dscnt 0x0
	v_cmp_u_f64_e32 vcc_lo, v[4:5], v[4:5]
	v_cmp_lt_f64_e64 s2, v[2:3], v[4:5]
	s_or_b32 vcc_lo, vcc_lo, s2
	v_dual_cndmask_b32 v3, v3, v5 :: v_dual_cndmask_b32 v2, v2, v4
	ds_bpermute_b32 v5, v6, v3
	ds_bpermute_b32 v4, v6, v2
	s_wait_dscnt 0x0
	v_cmp_u_f64_e32 vcc_lo, v[4:5], v[4:5]
	v_cmp_lt_f64_e64 s2, v[2:3], v[4:5]
	s_or_b32 vcc_lo, vcc_lo, s2
	v_dual_cndmask_b32 v3, v3, v5 :: v_dual_cndmask_b32 v2, v2, v4
	;; [unrolled: 7-line block ×5, first 2 shown]
.LBB123_10:
	s_or_b32 exec_lo, exec_lo, s3
	s_delay_alu instid0(SALU_CYCLE_1)
	s_mov_b32 s2, exec_lo
	v_cmpx_eq_u32_e32 0, v0
	s_cbranch_execz .LBB123_12
; %bb.11:
	s_load_b64 s[0:1], s[0:1], s10 offset:0x8 scale_offset
	v_mov_b32_e32 v0, 0
	s_wait_dscnt 0x0
	s_wait_kmcnt 0x0
	global_store_b64 v0, v[2:3], s[0:1]
.LBB123_12:
	s_endpgm
	.section	.rodata,"a",@progbits
	.p2align	6, 0x0
	.amdhsa_kernel _ZN2at6native14lpnorm_cleanupIN3c108BFloat16ELNS0_8NormTypeE3EdLb1EdEEvPKT3_NS0_19TensorListAddressesEi
		.amdhsa_group_segment_fixed_size 4096
		.amdhsa_private_segment_fixed_size 0
		.amdhsa_kernarg_size 3472
		.amdhsa_user_sgpr_count 2
		.amdhsa_user_sgpr_dispatch_ptr 0
		.amdhsa_user_sgpr_queue_ptr 0
		.amdhsa_user_sgpr_kernarg_segment_ptr 1
		.amdhsa_user_sgpr_dispatch_id 0
		.amdhsa_user_sgpr_kernarg_preload_length 0
		.amdhsa_user_sgpr_kernarg_preload_offset 0
		.amdhsa_user_sgpr_private_segment_size 0
		.amdhsa_wavefront_size32 1
		.amdhsa_uses_dynamic_stack 0
		.amdhsa_enable_private_segment 0
		.amdhsa_system_sgpr_workgroup_id_x 1
		.amdhsa_system_sgpr_workgroup_id_y 0
		.amdhsa_system_sgpr_workgroup_id_z 0
		.amdhsa_system_sgpr_workgroup_info 0
		.amdhsa_system_vgpr_workitem_id 0
		.amdhsa_next_free_vgpr 12
		.amdhsa_next_free_sgpr 13
		.amdhsa_named_barrier_count 0
		.amdhsa_reserve_vcc 1
		.amdhsa_float_round_mode_32 0
		.amdhsa_float_round_mode_16_64 0
		.amdhsa_float_denorm_mode_32 3
		.amdhsa_float_denorm_mode_16_64 3
		.amdhsa_fp16_overflow 0
		.amdhsa_memory_ordered 1
		.amdhsa_forward_progress 1
		.amdhsa_inst_pref_size 8
		.amdhsa_round_robin_scheduling 0
		.amdhsa_exception_fp_ieee_invalid_op 0
		.amdhsa_exception_fp_denorm_src 0
		.amdhsa_exception_fp_ieee_div_zero 0
		.amdhsa_exception_fp_ieee_overflow 0
		.amdhsa_exception_fp_ieee_underflow 0
		.amdhsa_exception_fp_ieee_inexact 0
		.amdhsa_exception_int_div_zero 0
	.end_amdhsa_kernel
	.section	.text._ZN2at6native14lpnorm_cleanupIN3c108BFloat16ELNS0_8NormTypeE3EdLb1EdEEvPKT3_NS0_19TensorListAddressesEi,"axG",@progbits,_ZN2at6native14lpnorm_cleanupIN3c108BFloat16ELNS0_8NormTypeE3EdLb1EdEEvPKT3_NS0_19TensorListAddressesEi,comdat
.Lfunc_end123:
	.size	_ZN2at6native14lpnorm_cleanupIN3c108BFloat16ELNS0_8NormTypeE3EdLb1EdEEvPKT3_NS0_19TensorListAddressesEi, .Lfunc_end123-_ZN2at6native14lpnorm_cleanupIN3c108BFloat16ELNS0_8NormTypeE3EdLb1EdEEvPKT3_NS0_19TensorListAddressesEi
                                        ; -- End function
	.set _ZN2at6native14lpnorm_cleanupIN3c108BFloat16ELNS0_8NormTypeE3EdLb1EdEEvPKT3_NS0_19TensorListAddressesEi.num_vgpr, 12
	.set _ZN2at6native14lpnorm_cleanupIN3c108BFloat16ELNS0_8NormTypeE3EdLb1EdEEvPKT3_NS0_19TensorListAddressesEi.num_agpr, 0
	.set _ZN2at6native14lpnorm_cleanupIN3c108BFloat16ELNS0_8NormTypeE3EdLb1EdEEvPKT3_NS0_19TensorListAddressesEi.numbered_sgpr, 13
	.set _ZN2at6native14lpnorm_cleanupIN3c108BFloat16ELNS0_8NormTypeE3EdLb1EdEEvPKT3_NS0_19TensorListAddressesEi.num_named_barrier, 0
	.set _ZN2at6native14lpnorm_cleanupIN3c108BFloat16ELNS0_8NormTypeE3EdLb1EdEEvPKT3_NS0_19TensorListAddressesEi.private_seg_size, 0
	.set _ZN2at6native14lpnorm_cleanupIN3c108BFloat16ELNS0_8NormTypeE3EdLb1EdEEvPKT3_NS0_19TensorListAddressesEi.uses_vcc, 1
	.set _ZN2at6native14lpnorm_cleanupIN3c108BFloat16ELNS0_8NormTypeE3EdLb1EdEEvPKT3_NS0_19TensorListAddressesEi.uses_flat_scratch, 0
	.set _ZN2at6native14lpnorm_cleanupIN3c108BFloat16ELNS0_8NormTypeE3EdLb1EdEEvPKT3_NS0_19TensorListAddressesEi.has_dyn_sized_stack, 0
	.set _ZN2at6native14lpnorm_cleanupIN3c108BFloat16ELNS0_8NormTypeE3EdLb1EdEEvPKT3_NS0_19TensorListAddressesEi.has_recursion, 0
	.set _ZN2at6native14lpnorm_cleanupIN3c108BFloat16ELNS0_8NormTypeE3EdLb1EdEEvPKT3_NS0_19TensorListAddressesEi.has_indirect_call, 0
	.section	.AMDGPU.csdata,"",@progbits
; Kernel info:
; codeLenInByte = 1008
; TotalNumSgprs: 15
; NumVgprs: 12
; ScratchSize: 0
; MemoryBound: 0
; FloatMode: 240
; IeeeMode: 1
; LDSByteSize: 4096 bytes/workgroup (compile time only)
; SGPRBlocks: 0
; VGPRBlocks: 0
; NumSGPRsForWavesPerEU: 15
; NumVGPRsForWavesPerEU: 12
; NamedBarCnt: 0
; Occupancy: 16
; WaveLimiterHint : 0
; COMPUTE_PGM_RSRC2:SCRATCH_EN: 0
; COMPUTE_PGM_RSRC2:USER_SGPR: 2
; COMPUTE_PGM_RSRC2:TRAP_HANDLER: 0
; COMPUTE_PGM_RSRC2:TGID_X_EN: 1
; COMPUTE_PGM_RSRC2:TGID_Y_EN: 0
; COMPUTE_PGM_RSRC2:TGID_Z_EN: 0
; COMPUTE_PGM_RSRC2:TIDIG_COMP_CNT: 0
	.section	.text._ZN2at6native12_GLOBAL__N_125multi_tensor_apply_kernelINS1_18TensorListMetadataILi1EEENS0_13LpNormFunctorIN3c108BFloat16ELNS0_8NormTypeE0EfLi1ELi1ELi0EEEJPfiEEEvT_T0_DpT1_,"axG",@progbits,_ZN2at6native12_GLOBAL__N_125multi_tensor_apply_kernelINS1_18TensorListMetadataILi1EEENS0_13LpNormFunctorIN3c108BFloat16ELNS0_8NormTypeE0EfLi1ELi1ELi0EEEJPfiEEEvT_T0_DpT1_,comdat
	.globl	_ZN2at6native12_GLOBAL__N_125multi_tensor_apply_kernelINS1_18TensorListMetadataILi1EEENS0_13LpNormFunctorIN3c108BFloat16ELNS0_8NormTypeE0EfLi1ELi1ELi0EEEJPfiEEEvT_T0_DpT1_ ; -- Begin function _ZN2at6native12_GLOBAL__N_125multi_tensor_apply_kernelINS1_18TensorListMetadataILi1EEENS0_13LpNormFunctorIN3c108BFloat16ELNS0_8NormTypeE0EfLi1ELi1ELi0EEEJPfiEEEvT_T0_DpT1_
	.p2align	8
	.type	_ZN2at6native12_GLOBAL__N_125multi_tensor_apply_kernelINS1_18TensorListMetadataILi1EEENS0_13LpNormFunctorIN3c108BFloat16ELNS0_8NormTypeE0EfLi1ELi1ELi0EEEJPfiEEEvT_T0_DpT1_,@function
_ZN2at6native12_GLOBAL__N_125multi_tensor_apply_kernelINS1_18TensorListMetadataILi1EEENS0_13LpNormFunctorIN3c108BFloat16ELNS0_8NormTypeE0EfLi1ELi1ELi0EEEJPfiEEEvT_T0_DpT1_: ; @_ZN2at6native12_GLOBAL__N_125multi_tensor_apply_kernelINS1_18TensorListMetadataILi1EEENS0_13LpNormFunctorIN3c108BFloat16ELNS0_8NormTypeE0EfLi1ELi1ELi0EEEJPfiEEEvT_T0_DpT1_
; %bb.0:
	s_bfe_u32 s2, ttmp6, 0x4000c
	s_and_b32 s3, ttmp6, 15
	s_add_co_i32 s2, s2, 1
	s_getreg_b32 s4, hwreg(HW_REG_IB_STS2, 6, 4)
	s_mul_i32 s2, ttmp9, s2
	s_delay_alu instid0(SALU_CYCLE_1)
	s_add_co_i32 s3, s3, s2
	s_cmp_eq_u32 s4, 0
	s_cselect_b32 s2, ttmp9, s3
	s_mov_b32 s3, 0
	v_mov_b32_e32 v1, s2
	s_add_nc_u64 s[4:5], s[0:1], s[2:3]
	s_mul_u64 s[6:7], s[2:3], 3
	s_delay_alu instid0(SALU_CYCLE_1) | instskip(SKIP_4) | instid1(SALU_CYCLE_1)
	s_add_nc_u64 s[4:5], s[4:5], s[6:7]
	global_load_u8 v15, v1, s[0:1] offset:1760
	s_load_b32 s4, s[4:5], 0x820
	s_wait_kmcnt 0x0
	s_ashr_i32 s5, s4, 31
	s_lshl_b64 s[10:11], s[4:5], 17
	s_lshl_b64 s[12:13], s[4:5], 16
	s_wait_loadcnt 0x0
	v_readfirstlane_b32 s2, v15
	s_and_b32 s2, s2, 0xff
	s_clause 0x1
	s_load_b64 s[6:7], s[0:1], s2 offset:0x0 scale_offset
	s_load_b64 s[8:9], s[0:1], s2 offset:0x370 scale_offset
	s_wait_kmcnt 0x0
	s_add_nc_u64 s[6:7], s[6:7], s[10:11]
	s_and_b32 s2, s8, 3
	s_and_b64 s[10:11], s[6:7], 7
	s_sub_nc_u64 s[8:9], s[8:9], s[12:13]
	s_or_b64 s[10:11], s[2:3], s[10:11]
	s_delay_alu instid0(SALU_CYCLE_1)
	s_cmp_eq_u64 s[10:11], 0
	s_cbranch_scc1 .LBB124_12
; %bb.1:
	v_cmp_lt_i64_e64 s2, s[8:9], 1
	s_and_b32 vcc_lo, exec_lo, s2
	s_cbranch_vccnz .LBB124_28
; %bb.2:
	s_load_b32 s2, s[0:1], 0xd4c
	v_min_i64 v[10:11], 0x10000, s[8:9]
	s_mov_b32 s11, 0
	s_mov_b64 s[12:13], 0
	s_wait_kmcnt 0x0
	s_and_b32 s2, s2, 0xffff
	s_delay_alu instid0(SALU_CYCLE_1) | instskip(SKIP_3) | instid1(VALU_DEP_3)
	v_dual_mov_b32 v7, 0 :: v_dual_add_nc_u32 v16, s2, v0
	v_mad_u32 v12, s2, 3, v0
	v_lshl_add_u32 v14, s2, 1, v0
	s_lshl_b32 s10, s2, 2
	v_dual_mov_b32 v6, v7 :: v_dual_mov_b32 v8, v7
	v_mov_b32_e32 v9, v7
	s_delay_alu instid0(VALU_DEP_2) | instskip(NEXT) | instid1(VALU_DEP_2)
	v_mov_b64_e32 v[2:3], v[6:7]
	v_mov_b64_e32 v[4:5], v[8:9]
	s_branch .LBB124_4
.LBB124_3:                              ;   in Loop: Header=BB124_4 Depth=1
	s_or_b32 exec_lo, exec_lo, s2
	s_add_nc_u64 s[12:13], s[12:13], s[10:11]
	s_delay_alu instid0(SALU_CYCLE_1)
	v_cmp_lt_i64_e32 vcc_lo, s[12:13], v[10:11]
	s_cbranch_vccz .LBB124_13
.LBB124_4:                              ; =>This Inner Loop Header: Depth=1
	v_add_nc_u32_e32 v6, s12, v0
	s_delay_alu instid0(VALU_DEP_1) | instskip(SKIP_2) | instid1(SALU_CYCLE_1)
	v_cmp_gt_i64_e32 vcc_lo, s[8:9], v[6:7]
	v_cmp_gt_u32_e64 s2, 0x10000, v6
	s_and_b32 s5, s2, vcc_lo
	s_and_saveexec_b32 s2, s5
	s_cbranch_execz .LBB124_6
; %bb.5:                                ;   in Loop: Header=BB124_4 Depth=1
	v_lshl_add_u64 v[8:9], v[6:7], 1, s[6:7]
	global_load_u16 v1, v[8:9], off
	s_wait_loadcnt 0x0
	v_and_b32_e32 v1, 0x7fff, v1
	s_delay_alu instid0(VALU_DEP_1) | instskip(SKIP_1) | instid1(VALU_DEP_1)
	v_cmp_eq_u16_e32 vcc_lo, 0, v1
	v_cndmask_b32_e64 v1, 1.0, 0, vcc_lo
	v_add_f32_e32 v2, v2, v1
.LBB124_6:                              ;   in Loop: Header=BB124_4 Depth=1
	s_or_b32 exec_lo, exec_lo, s2
	v_add_nc_u32_e32 v6, s12, v16
	s_delay_alu instid0(VALU_DEP_1) | instskip(SKIP_2) | instid1(SALU_CYCLE_1)
	v_cmp_gt_i64_e32 vcc_lo, s[8:9], v[6:7]
	v_cmp_gt_u32_e64 s2, 0x10000, v6
	s_and_b32 s5, s2, vcc_lo
	s_and_saveexec_b32 s2, s5
	s_cbranch_execz .LBB124_8
; %bb.7:                                ;   in Loop: Header=BB124_4 Depth=1
	v_lshl_add_u64 v[8:9], v[6:7], 1, s[6:7]
	global_load_u16 v1, v[8:9], off
	s_wait_loadcnt 0x0
	v_and_b32_e32 v1, 0x7fff, v1
	s_delay_alu instid0(VALU_DEP_1) | instskip(SKIP_1) | instid1(VALU_DEP_1)
	v_cmp_eq_u16_e32 vcc_lo, 0, v1
	v_cndmask_b32_e64 v1, 1.0, 0, vcc_lo
	v_add_f32_e32 v3, v3, v1
.LBB124_8:                              ;   in Loop: Header=BB124_4 Depth=1
	s_or_b32 exec_lo, exec_lo, s2
	v_add_nc_u32_e32 v6, s12, v14
	s_delay_alu instid0(VALU_DEP_1) | instskip(SKIP_2) | instid1(SALU_CYCLE_1)
	v_cmp_gt_i64_e32 vcc_lo, s[8:9], v[6:7]
	v_cmp_gt_u32_e64 s2, 0x10000, v6
	s_and_b32 s5, s2, vcc_lo
	s_and_saveexec_b32 s2, s5
	s_cbranch_execz .LBB124_10
; %bb.9:                                ;   in Loop: Header=BB124_4 Depth=1
	v_lshl_add_u64 v[8:9], v[6:7], 1, s[6:7]
	global_load_u16 v1, v[8:9], off
	s_wait_loadcnt 0x0
	v_and_b32_e32 v1, 0x7fff, v1
	s_delay_alu instid0(VALU_DEP_1) | instskip(SKIP_1) | instid1(VALU_DEP_1)
	v_cmp_eq_u16_e32 vcc_lo, 0, v1
	v_cndmask_b32_e64 v1, 1.0, 0, vcc_lo
	v_add_f32_e32 v4, v4, v1
.LBB124_10:                             ;   in Loop: Header=BB124_4 Depth=1
	s_or_b32 exec_lo, exec_lo, s2
	v_add_nc_u32_e32 v6, s12, v12
	s_delay_alu instid0(VALU_DEP_1) | instskip(SKIP_2) | instid1(SALU_CYCLE_1)
	v_cmp_gt_i64_e32 vcc_lo, s[8:9], v[6:7]
	v_cmp_gt_u32_e64 s2, 0x10000, v6
	s_and_b32 s5, s2, vcc_lo
	s_and_saveexec_b32 s2, s5
	s_cbranch_execz .LBB124_3
; %bb.11:                               ;   in Loop: Header=BB124_4 Depth=1
	v_lshl_add_u64 v[8:9], v[6:7], 1, s[6:7]
	global_load_u16 v1, v[8:9], off
	s_wait_loadcnt 0x0
	v_and_b32_e32 v1, 0x7fff, v1
	s_delay_alu instid0(VALU_DEP_1) | instskip(SKIP_1) | instid1(VALU_DEP_1)
	v_cmp_eq_u16_e32 vcc_lo, 0, v1
	v_cndmask_b32_e64 v1, 1.0, 0, vcc_lo
	v_add_f32_e32 v5, v5, v1
	s_branch .LBB124_3
.LBB124_12:
	s_mov_b32 s3, -1
                                        ; implicit-def: $vgpr2_vgpr3_vgpr4_vgpr5
.LBB124_13:
	s_delay_alu instid0(SALU_CYCLE_1)
	s_and_not1_b32 vcc_lo, exec_lo, s3
	s_cbranch_vccnz .LBB124_19
.LBB124_14:
	v_min_i64 v[8:9], 0x10000, s[8:9]
	v_dual_mov_b32 v3, 0 :: v_dual_lshlrev_b32 v2, 2, v0
	s_mov_b32 s9, 0
	s_delay_alu instid0(VALU_DEP_1) | instskip(NEXT) | instid1(VALU_DEP_2)
	v_dual_mov_b32 v5, v3 :: v_dual_mov_b32 v4, v3
	v_cmp_lt_i64_e32 vcc_lo, v[2:3], v[8:9]
	v_mov_b32_e32 v2, v3
	s_and_saveexec_b32 s3, vcc_lo
	s_cbranch_execz .LBB124_18
; %bb.15:
	s_load_b32 s2, s[0:1], 0xd4c
	v_dual_mov_b32 v1, v3 :: v_dual_lshlrev_b32 v2, 3, v0
	v_dual_mov_b32 v4, 0 :: v_dual_mov_b32 v5, 0
	v_dual_mov_b32 v6, 0 :: v_dual_mov_b32 v7, 0
	s_delay_alu instid0(VALU_DEP_3) | instskip(NEXT) | instid1(VALU_DEP_4)
	v_add_nc_u64_e32 v[10:11], s[6:7], v[2:3]
	v_mov_b64_e32 v[12:13], v[0:1]
	s_mov_b32 s7, s9
	s_mov_b32 s5, s9
	s_wait_kmcnt 0x0
	s_and_b32 s8, s2, 0xffff
	s_delay_alu instid0(SALU_CYCLE_1)
	s_lshl_b32 s6, s8, 3
.LBB124_16:                             ; =>This Inner Loop Header: Depth=1
	global_load_b64 v[16:17], v[10:11], off
	v_dual_mov_b32 v18, v3 :: v_dual_mov_b32 v20, v3
	v_add_nc_u64_e32 v[12:13], s[8:9], v[12:13]
	s_wait_xcnt 0x0
	v_add_nc_u64_e32 v[10:11], s[6:7], v[10:11]
	s_delay_alu instid0(VALU_DEP_2) | instskip(NEXT) | instid1(VALU_DEP_1)
	v_lshlrev_b64_e32 v[22:23], 2, v[12:13]
	v_cmp_ge_i64_e32 vcc_lo, v[22:23], v[8:9]
	s_or_b32 s5, vcc_lo, s5
	s_wait_loadcnt 0x0
	v_and_b32_e32 v2, 0x7fff, v16
	v_and_b32_e32 v19, 0x7fff, v17
	v_and_b32_e32 v21, 0x7fff0000, v17
	s_delay_alu instid0(VALU_DEP_3) | instskip(SKIP_1) | instid1(VALU_DEP_2)
	v_cmp_eq_u64_e64 s2, 0, v[2:3]
	v_and_b32_e32 v2, 0x7fff0000, v16
	v_cndmask_b32_e64 v1, 1.0, 0, s2
	v_cmp_eq_u64_e64 s2, 0, v[18:19]
	s_delay_alu instid0(VALU_DEP_1) | instskip(SKIP_1) | instid1(VALU_DEP_2)
	v_cndmask_b32_e64 v14, 1.0, 0, s2
	v_cmp_eq_u64_e64 s2, 0, v[20:21]
	v_dual_add_f32 v4, v4, v1 :: v_dual_add_f32 v6, v6, v14
	s_delay_alu instid0(VALU_DEP_2) | instskip(SKIP_1) | instid1(VALU_DEP_1)
	v_cndmask_b32_e64 v16, 1.0, 0, s2
	v_cmp_eq_u64_e64 s2, 0, v[2:3]
	v_cndmask_b32_e64 v2, 1.0, 0, s2
	s_delay_alu instid0(VALU_DEP_1)
	v_dual_add_f32 v7, v7, v16 :: v_dual_add_f32 v5, v5, v2
	s_and_not1_b32 exec_lo, exec_lo, s5
	s_cbranch_execnz .LBB124_16
; %bb.17:
	s_or_b32 exec_lo, exec_lo, s5
	s_delay_alu instid0(VALU_DEP_1)
	v_mov_b64_e32 v[2:3], v[4:5]
	v_mov_b64_e32 v[4:5], v[6:7]
.LBB124_18:
	s_or_b32 exec_lo, exec_lo, s3
.LBB124_19:
	s_delay_alu instid0(VALU_DEP_1) | instskip(SKIP_3) | instid1(VALU_DEP_2)
	v_add_f32_e32 v1, 0, v2
	v_mbcnt_lo_u32_b32 v6, -1, 0
	s_mov_b32 s2, exec_lo
	s_barrier_signal -1
	v_add_f32_e32 v1, v3, v1
	s_delay_alu instid0(VALU_DEP_2) | instskip(SKIP_1) | instid1(VALU_DEP_2)
	v_cmp_gt_u32_e32 vcc_lo, 24, v6
	s_barrier_wait -1
	v_add_f32_e32 v2, v4, v1
	v_lshl_or_b32 v1, v6, 2, 64
	s_delay_alu instid0(VALU_DEP_2)
	v_add_f32_e32 v3, v5, v2
	v_cndmask_b32_e64 v2, 0, 8, vcc_lo
	v_cmp_gt_u32_e32 vcc_lo, 28, v6
	ds_bpermute_b32 v4, v1, v3
	v_add_lshl_u32 v2, v2, v6, 2
	s_wait_dscnt 0x0
	v_add_f32_e32 v4, v3, v4
	v_cndmask_b32_e64 v3, 0, 4, vcc_lo
	v_cmp_gt_u32_e32 vcc_lo, 30, v6
	ds_bpermute_b32 v5, v2, v4
	v_add_lshl_u32 v3, v3, v6, 2
	s_wait_dscnt 0x0
	v_add_f32_e32 v5, v4, v5
	v_cndmask_b32_e64 v4, 0, 2, vcc_lo
	v_cmp_ne_u32_e32 vcc_lo, 31, v6
	ds_bpermute_b32 v7, v3, v5
	v_add_lshl_u32 v4, v4, v6, 2
	v_add_co_ci_u32_e64 v8, null, 0, v6, vcc_lo
	s_wait_dscnt 0x0
	v_add_f32_e32 v5, v5, v7
	ds_bpermute_b32 v7, v4, v5
	s_wait_dscnt 0x0
	v_dual_add_f32 v6, v5, v7 :: v_dual_lshlrev_b32 v5, 2, v8
	v_and_b32_e32 v7, 31, v0
	ds_bpermute_b32 v8, v5, v6
	v_cmpx_eq_u32_e32 0, v7
	s_cbranch_execz .LBB124_21
; %bb.20:
	v_lshrrev_b32_e32 v9, 3, v0
	s_wait_dscnt 0x0
	v_add_f32_e32 v6, v6, v8
	ds_store_b32 v9, v6
.LBB124_21:
	s_or_b32 exec_lo, exec_lo, s2
	s_wait_dscnt 0x0
	s_barrier_signal -1
	s_barrier_wait -1
	s_load_b32 s2, s[0:1], 0xd4c
	v_mov_b32_e32 v6, 0
	s_wait_kmcnt 0x0
	s_bfe_u32 s2, s2, 0xb0005
	s_delay_alu instid0(SALU_CYCLE_1)
	v_cmp_gt_u32_e32 vcc_lo, s2, v0
	s_and_saveexec_b32 s2, vcc_lo
; %bb.22:
	v_lshlrev_b32_e32 v6, 2, v7
	ds_load_b32 v6, v6
; %bb.23:
	s_or_b32 exec_lo, exec_lo, s2
	s_delay_alu instid0(SALU_CYCLE_1)
	s_mov_b32 s2, exec_lo
	v_cmpx_gt_u32_e32 32, v0
	s_cbranch_execz .LBB124_25
; %bb.24:
	s_wait_dscnt 0x0
	ds_bpermute_b32 v1, v1, v6
	s_wait_dscnt 0x0
	v_add_f32_e32 v1, v6, v1
	ds_bpermute_b32 v2, v2, v1
	s_wait_dscnt 0x0
	v_add_f32_e32 v1, v1, v2
	;; [unrolled: 3-line block ×5, first 2 shown]
.LBB124_25:
	s_or_b32 exec_lo, exec_lo, s2
	s_delay_alu instid0(SALU_CYCLE_1)
	s_mov_b32 s2, exec_lo
	v_cmpx_eq_u32_e32 0, v0
	s_cbranch_execz .LBB124_27
; %bb.26:
	s_clause 0x1
	s_load_b32 s2, s[0:1], 0xd20
	s_load_b96 s[8:10], s[0:1], 0xd30
	v_and_b32_e32 v0, 0xff, v15
	s_wait_kmcnt 0x0
	s_delay_alu instid0(VALU_DEP_1) | instskip(NEXT) | instid1(VALU_DEP_1)
	v_add_nc_u32_e32 v0, s2, v0
	v_mul_lo_u32 v0, v0, s10
	s_delay_alu instid0(VALU_DEP_1)
	v_add_nc_u32_e32 v0, s4, v0
	s_wait_dscnt 0x0
	global_store_b32 v0, v6, s[8:9] scale_offset
.LBB124_27:
	s_endpgm
.LBB124_28:
	v_mov_b32_e32 v2, 0
	s_delay_alu instid0(VALU_DEP_1)
	v_dual_mov_b32 v3, v2 :: v_dual_mov_b32 v4, v2
	v_mov_b32_e32 v5, v2
	s_and_not1_b32 vcc_lo, exec_lo, s3
	s_cbranch_vccz .LBB124_14
	s_branch .LBB124_19
	.section	.rodata,"a",@progbits
	.p2align	6, 0x0
	.amdhsa_kernel _ZN2at6native12_GLOBAL__N_125multi_tensor_apply_kernelINS1_18TensorListMetadataILi1EEENS0_13LpNormFunctorIN3c108BFloat16ELNS0_8NormTypeE0EfLi1ELi1ELi0EEEJPfiEEEvT_T0_DpT1_
		.amdhsa_group_segment_fixed_size 2048
		.amdhsa_private_segment_fixed_size 0
		.amdhsa_kernarg_size 3648
		.amdhsa_user_sgpr_count 2
		.amdhsa_user_sgpr_dispatch_ptr 0
		.amdhsa_user_sgpr_queue_ptr 0
		.amdhsa_user_sgpr_kernarg_segment_ptr 1
		.amdhsa_user_sgpr_dispatch_id 0
		.amdhsa_user_sgpr_kernarg_preload_length 0
		.amdhsa_user_sgpr_kernarg_preload_offset 0
		.amdhsa_user_sgpr_private_segment_size 0
		.amdhsa_wavefront_size32 1
		.amdhsa_uses_dynamic_stack 0
		.amdhsa_enable_private_segment 0
		.amdhsa_system_sgpr_workgroup_id_x 1
		.amdhsa_system_sgpr_workgroup_id_y 0
		.amdhsa_system_sgpr_workgroup_id_z 0
		.amdhsa_system_sgpr_workgroup_info 0
		.amdhsa_system_vgpr_workitem_id 0
		.amdhsa_next_free_vgpr 24
		.amdhsa_next_free_sgpr 14
		.amdhsa_named_barrier_count 0
		.amdhsa_reserve_vcc 1
		.amdhsa_float_round_mode_32 0
		.amdhsa_float_round_mode_16_64 0
		.amdhsa_float_denorm_mode_32 3
		.amdhsa_float_denorm_mode_16_64 3
		.amdhsa_fp16_overflow 0
		.amdhsa_memory_ordered 1
		.amdhsa_forward_progress 1
		.amdhsa_inst_pref_size 13
		.amdhsa_round_robin_scheduling 0
		.amdhsa_exception_fp_ieee_invalid_op 0
		.amdhsa_exception_fp_denorm_src 0
		.amdhsa_exception_fp_ieee_div_zero 0
		.amdhsa_exception_fp_ieee_overflow 0
		.amdhsa_exception_fp_ieee_underflow 0
		.amdhsa_exception_fp_ieee_inexact 0
		.amdhsa_exception_int_div_zero 0
	.end_amdhsa_kernel
	.section	.text._ZN2at6native12_GLOBAL__N_125multi_tensor_apply_kernelINS1_18TensorListMetadataILi1EEENS0_13LpNormFunctorIN3c108BFloat16ELNS0_8NormTypeE0EfLi1ELi1ELi0EEEJPfiEEEvT_T0_DpT1_,"axG",@progbits,_ZN2at6native12_GLOBAL__N_125multi_tensor_apply_kernelINS1_18TensorListMetadataILi1EEENS0_13LpNormFunctorIN3c108BFloat16ELNS0_8NormTypeE0EfLi1ELi1ELi0EEEJPfiEEEvT_T0_DpT1_,comdat
.Lfunc_end124:
	.size	_ZN2at6native12_GLOBAL__N_125multi_tensor_apply_kernelINS1_18TensorListMetadataILi1EEENS0_13LpNormFunctorIN3c108BFloat16ELNS0_8NormTypeE0EfLi1ELi1ELi0EEEJPfiEEEvT_T0_DpT1_, .Lfunc_end124-_ZN2at6native12_GLOBAL__N_125multi_tensor_apply_kernelINS1_18TensorListMetadataILi1EEENS0_13LpNormFunctorIN3c108BFloat16ELNS0_8NormTypeE0EfLi1ELi1ELi0EEEJPfiEEEvT_T0_DpT1_
                                        ; -- End function
	.set _ZN2at6native12_GLOBAL__N_125multi_tensor_apply_kernelINS1_18TensorListMetadataILi1EEENS0_13LpNormFunctorIN3c108BFloat16ELNS0_8NormTypeE0EfLi1ELi1ELi0EEEJPfiEEEvT_T0_DpT1_.num_vgpr, 24
	.set _ZN2at6native12_GLOBAL__N_125multi_tensor_apply_kernelINS1_18TensorListMetadataILi1EEENS0_13LpNormFunctorIN3c108BFloat16ELNS0_8NormTypeE0EfLi1ELi1ELi0EEEJPfiEEEvT_T0_DpT1_.num_agpr, 0
	.set _ZN2at6native12_GLOBAL__N_125multi_tensor_apply_kernelINS1_18TensorListMetadataILi1EEENS0_13LpNormFunctorIN3c108BFloat16ELNS0_8NormTypeE0EfLi1ELi1ELi0EEEJPfiEEEvT_T0_DpT1_.numbered_sgpr, 14
	.set _ZN2at6native12_GLOBAL__N_125multi_tensor_apply_kernelINS1_18TensorListMetadataILi1EEENS0_13LpNormFunctorIN3c108BFloat16ELNS0_8NormTypeE0EfLi1ELi1ELi0EEEJPfiEEEvT_T0_DpT1_.num_named_barrier, 0
	.set _ZN2at6native12_GLOBAL__N_125multi_tensor_apply_kernelINS1_18TensorListMetadataILi1EEENS0_13LpNormFunctorIN3c108BFloat16ELNS0_8NormTypeE0EfLi1ELi1ELi0EEEJPfiEEEvT_T0_DpT1_.private_seg_size, 0
	.set _ZN2at6native12_GLOBAL__N_125multi_tensor_apply_kernelINS1_18TensorListMetadataILi1EEENS0_13LpNormFunctorIN3c108BFloat16ELNS0_8NormTypeE0EfLi1ELi1ELi0EEEJPfiEEEvT_T0_DpT1_.uses_vcc, 1
	.set _ZN2at6native12_GLOBAL__N_125multi_tensor_apply_kernelINS1_18TensorListMetadataILi1EEENS0_13LpNormFunctorIN3c108BFloat16ELNS0_8NormTypeE0EfLi1ELi1ELi0EEEJPfiEEEvT_T0_DpT1_.uses_flat_scratch, 0
	.set _ZN2at6native12_GLOBAL__N_125multi_tensor_apply_kernelINS1_18TensorListMetadataILi1EEENS0_13LpNormFunctorIN3c108BFloat16ELNS0_8NormTypeE0EfLi1ELi1ELi0EEEJPfiEEEvT_T0_DpT1_.has_dyn_sized_stack, 0
	.set _ZN2at6native12_GLOBAL__N_125multi_tensor_apply_kernelINS1_18TensorListMetadataILi1EEENS0_13LpNormFunctorIN3c108BFloat16ELNS0_8NormTypeE0EfLi1ELi1ELi0EEEJPfiEEEvT_T0_DpT1_.has_recursion, 0
	.set _ZN2at6native12_GLOBAL__N_125multi_tensor_apply_kernelINS1_18TensorListMetadataILi1EEENS0_13LpNormFunctorIN3c108BFloat16ELNS0_8NormTypeE0EfLi1ELi1ELi0EEEJPfiEEEvT_T0_DpT1_.has_indirect_call, 0
	.section	.AMDGPU.csdata,"",@progbits
; Kernel info:
; codeLenInByte = 1572
; TotalNumSgprs: 16
; NumVgprs: 24
; ScratchSize: 0
; MemoryBound: 0
; FloatMode: 240
; IeeeMode: 1
; LDSByteSize: 2048 bytes/workgroup (compile time only)
; SGPRBlocks: 0
; VGPRBlocks: 1
; NumSGPRsForWavesPerEU: 16
; NumVGPRsForWavesPerEU: 24
; NamedBarCnt: 0
; Occupancy: 16
; WaveLimiterHint : 0
; COMPUTE_PGM_RSRC2:SCRATCH_EN: 0
; COMPUTE_PGM_RSRC2:USER_SGPR: 2
; COMPUTE_PGM_RSRC2:TRAP_HANDLER: 0
; COMPUTE_PGM_RSRC2:TGID_X_EN: 1
; COMPUTE_PGM_RSRC2:TGID_Y_EN: 0
; COMPUTE_PGM_RSRC2:TGID_Z_EN: 0
; COMPUTE_PGM_RSRC2:TIDIG_COMP_CNT: 0
	.section	.text._ZN2at6native12_GLOBAL__N_125multi_tensor_apply_kernelINS1_18TensorListMetadataILi1EEENS0_13LpNormFunctorIN3c108BFloat16ELNS0_8NormTypeE1EfLi1ELi1ELi0EEEJPfiEEEvT_T0_DpT1_,"axG",@progbits,_ZN2at6native12_GLOBAL__N_125multi_tensor_apply_kernelINS1_18TensorListMetadataILi1EEENS0_13LpNormFunctorIN3c108BFloat16ELNS0_8NormTypeE1EfLi1ELi1ELi0EEEJPfiEEEvT_T0_DpT1_,comdat
	.globl	_ZN2at6native12_GLOBAL__N_125multi_tensor_apply_kernelINS1_18TensorListMetadataILi1EEENS0_13LpNormFunctorIN3c108BFloat16ELNS0_8NormTypeE1EfLi1ELi1ELi0EEEJPfiEEEvT_T0_DpT1_ ; -- Begin function _ZN2at6native12_GLOBAL__N_125multi_tensor_apply_kernelINS1_18TensorListMetadataILi1EEENS0_13LpNormFunctorIN3c108BFloat16ELNS0_8NormTypeE1EfLi1ELi1ELi0EEEJPfiEEEvT_T0_DpT1_
	.p2align	8
	.type	_ZN2at6native12_GLOBAL__N_125multi_tensor_apply_kernelINS1_18TensorListMetadataILi1EEENS0_13LpNormFunctorIN3c108BFloat16ELNS0_8NormTypeE1EfLi1ELi1ELi0EEEJPfiEEEvT_T0_DpT1_,@function
_ZN2at6native12_GLOBAL__N_125multi_tensor_apply_kernelINS1_18TensorListMetadataILi1EEENS0_13LpNormFunctorIN3c108BFloat16ELNS0_8NormTypeE1EfLi1ELi1ELi0EEEJPfiEEEvT_T0_DpT1_: ; @_ZN2at6native12_GLOBAL__N_125multi_tensor_apply_kernelINS1_18TensorListMetadataILi1EEENS0_13LpNormFunctorIN3c108BFloat16ELNS0_8NormTypeE1EfLi1ELi1ELi0EEEJPfiEEEvT_T0_DpT1_
; %bb.0:
	s_bfe_u32 s2, ttmp6, 0x4000c
	s_and_b32 s3, ttmp6, 15
	s_add_co_i32 s2, s2, 1
	s_getreg_b32 s4, hwreg(HW_REG_IB_STS2, 6, 4)
	s_mul_i32 s2, ttmp9, s2
	s_delay_alu instid0(SALU_CYCLE_1)
	s_add_co_i32 s3, s3, s2
	s_cmp_eq_u32 s4, 0
	s_cselect_b32 s2, ttmp9, s3
	s_mov_b32 s3, 0
	v_mov_b32_e32 v1, s2
	s_add_nc_u64 s[4:5], s[0:1], s[2:3]
	s_mul_u64 s[6:7], s[2:3], 3
	s_delay_alu instid0(SALU_CYCLE_1) | instskip(SKIP_4) | instid1(SALU_CYCLE_1)
	s_add_nc_u64 s[4:5], s[4:5], s[6:7]
	global_load_u8 v13, v1, s[0:1] offset:1760
	s_load_b32 s4, s[4:5], 0x820
	s_wait_kmcnt 0x0
	s_ashr_i32 s5, s4, 31
	s_lshl_b64 s[10:11], s[4:5], 17
	s_lshl_b64 s[12:13], s[4:5], 16
	s_wait_loadcnt 0x0
	v_readfirstlane_b32 s2, v13
	s_and_b32 s2, s2, 0xff
	s_clause 0x1
	s_load_b64 s[6:7], s[0:1], s2 offset:0x0 scale_offset
	s_load_b64 s[8:9], s[0:1], s2 offset:0x370 scale_offset
	s_wait_kmcnt 0x0
	s_add_nc_u64 s[6:7], s[6:7], s[10:11]
	s_and_b32 s2, s8, 3
	s_and_b64 s[10:11], s[6:7], 7
	s_sub_nc_u64 s[8:9], s[8:9], s[12:13]
	s_or_b64 s[10:11], s[2:3], s[10:11]
	s_delay_alu instid0(SALU_CYCLE_1)
	s_cmp_eq_u64 s[10:11], 0
	s_cbranch_scc1 .LBB125_12
; %bb.1:
	v_cmp_lt_i64_e64 s2, s[8:9], 1
	s_and_b32 vcc_lo, exec_lo, s2
	s_cbranch_vccnz .LBB125_28
; %bb.2:
	s_load_b32 s2, s[0:1], 0xd4c
	v_min_i64 v[10:11], 0x10000, s[8:9]
	s_mov_b32 s11, 0
	s_mov_b64 s[12:13], 0
	s_wait_kmcnt 0x0
	s_and_b32 s2, s2, 0xffff
	s_delay_alu instid0(SALU_CYCLE_1) | instskip(SKIP_3) | instid1(VALU_DEP_3)
	v_dual_mov_b32 v7, 0 :: v_dual_add_nc_u32 v16, s2, v0
	v_mad_u32 v12, s2, 3, v0
	v_lshl_add_u32 v14, s2, 1, v0
	s_lshl_b32 s10, s2, 2
	v_dual_mov_b32 v6, v7 :: v_dual_mov_b32 v8, v7
	v_mov_b32_e32 v9, v7
	s_delay_alu instid0(VALU_DEP_2) | instskip(NEXT) | instid1(VALU_DEP_2)
	v_mov_b64_e32 v[2:3], v[6:7]
	v_mov_b64_e32 v[4:5], v[8:9]
	s_branch .LBB125_4
.LBB125_3:                              ;   in Loop: Header=BB125_4 Depth=1
	s_or_b32 exec_lo, exec_lo, s2
	s_add_nc_u64 s[12:13], s[12:13], s[10:11]
	s_delay_alu instid0(SALU_CYCLE_1)
	v_cmp_lt_i64_e32 vcc_lo, s[12:13], v[10:11]
	s_cbranch_vccz .LBB125_13
.LBB125_4:                              ; =>This Inner Loop Header: Depth=1
	v_add_nc_u32_e32 v6, s12, v0
	s_delay_alu instid0(VALU_DEP_1) | instskip(SKIP_2) | instid1(SALU_CYCLE_1)
	v_cmp_gt_i64_e32 vcc_lo, s[8:9], v[6:7]
	v_cmp_gt_u32_e64 s2, 0x10000, v6
	s_and_b32 s5, s2, vcc_lo
	s_and_saveexec_b32 s2, s5
	s_cbranch_execz .LBB125_6
; %bb.5:                                ;   in Loop: Header=BB125_4 Depth=1
	v_lshl_add_u64 v[8:9], v[6:7], 1, s[6:7]
	global_load_u16 v1, v[8:9], off
	s_wait_loadcnt 0x0
	v_lshlrev_b32_e32 v1, 16, v1
	s_delay_alu instid0(VALU_DEP_1)
	v_add_f32_e64 v2, v2, |v1|
.LBB125_6:                              ;   in Loop: Header=BB125_4 Depth=1
	s_or_b32 exec_lo, exec_lo, s2
	v_add_nc_u32_e32 v6, s12, v16
	s_delay_alu instid0(VALU_DEP_1) | instskip(SKIP_2) | instid1(SALU_CYCLE_1)
	v_cmp_gt_i64_e32 vcc_lo, s[8:9], v[6:7]
	v_cmp_gt_u32_e64 s2, 0x10000, v6
	s_and_b32 s5, s2, vcc_lo
	s_and_saveexec_b32 s2, s5
	s_cbranch_execz .LBB125_8
; %bb.7:                                ;   in Loop: Header=BB125_4 Depth=1
	v_lshl_add_u64 v[8:9], v[6:7], 1, s[6:7]
	global_load_u16 v1, v[8:9], off
	s_wait_loadcnt 0x0
	v_lshlrev_b32_e32 v1, 16, v1
	s_delay_alu instid0(VALU_DEP_1)
	v_add_f32_e64 v3, v3, |v1|
.LBB125_8:                              ;   in Loop: Header=BB125_4 Depth=1
	s_or_b32 exec_lo, exec_lo, s2
	v_add_nc_u32_e32 v6, s12, v14
	s_delay_alu instid0(VALU_DEP_1) | instskip(SKIP_2) | instid1(SALU_CYCLE_1)
	v_cmp_gt_i64_e32 vcc_lo, s[8:9], v[6:7]
	v_cmp_gt_u32_e64 s2, 0x10000, v6
	s_and_b32 s5, s2, vcc_lo
	s_and_saveexec_b32 s2, s5
	s_cbranch_execz .LBB125_10
; %bb.9:                                ;   in Loop: Header=BB125_4 Depth=1
	v_lshl_add_u64 v[8:9], v[6:7], 1, s[6:7]
	global_load_u16 v1, v[8:9], off
	s_wait_loadcnt 0x0
	v_lshlrev_b32_e32 v1, 16, v1
	s_delay_alu instid0(VALU_DEP_1)
	v_add_f32_e64 v4, v4, |v1|
.LBB125_10:                             ;   in Loop: Header=BB125_4 Depth=1
	s_or_b32 exec_lo, exec_lo, s2
	v_add_nc_u32_e32 v6, s12, v12
	s_delay_alu instid0(VALU_DEP_1) | instskip(SKIP_2) | instid1(SALU_CYCLE_1)
	v_cmp_gt_i64_e32 vcc_lo, s[8:9], v[6:7]
	v_cmp_gt_u32_e64 s2, 0x10000, v6
	s_and_b32 s5, s2, vcc_lo
	s_and_saveexec_b32 s2, s5
	s_cbranch_execz .LBB125_3
; %bb.11:                               ;   in Loop: Header=BB125_4 Depth=1
	v_lshl_add_u64 v[8:9], v[6:7], 1, s[6:7]
	global_load_u16 v1, v[8:9], off
	s_wait_loadcnt 0x0
	v_lshlrev_b32_e32 v1, 16, v1
	s_delay_alu instid0(VALU_DEP_1)
	v_add_f32_e64 v5, v5, |v1|
	s_branch .LBB125_3
.LBB125_12:
	s_mov_b32 s3, -1
                                        ; implicit-def: $vgpr2_vgpr3_vgpr4_vgpr5
.LBB125_13:
	s_delay_alu instid0(SALU_CYCLE_1)
	s_and_not1_b32 vcc_lo, exec_lo, s3
	s_cbranch_vccnz .LBB125_19
.LBB125_14:
	v_min_i64 v[6:7], 0x10000, s[8:9]
	v_dual_mov_b32 v2, 0 :: v_dual_lshlrev_b32 v4, 2, v0
	s_mov_b32 s3, 0
	s_delay_alu instid0(VALU_DEP_1) | instskip(NEXT) | instid1(VALU_DEP_1)
	v_dual_mov_b32 v5, v2 :: v_dual_mov_b32 v3, v2
	v_cmp_lt_i64_e32 vcc_lo, v[4:5], v[6:7]
	v_mov_b32_e32 v4, v2
	s_and_saveexec_b32 s5, vcc_lo
	s_cbranch_execz .LBB125_18
; %bb.15:
	s_load_b32 s2, s[0:1], 0xd4c
	v_dual_mov_b32 v9, v2 :: v_dual_lshlrev_b32 v8, 3, v0
	v_dual_mov_b32 v1, v2 :: v_dual_mov_b32 v3, v2
	v_dual_mov_b32 v4, v2 :: v_dual_mov_b32 v5, v2
	s_delay_alu instid0(VALU_DEP_3) | instskip(NEXT) | instid1(VALU_DEP_3)
	v_add_nc_u64_e32 v[8:9], s[6:7], v[8:9]
	v_mov_b64_e32 v[10:11], v[0:1]
	s_mov_b32 s7, s3
	s_mov_b32 s8, s3
	s_wait_kmcnt 0x0
	s_and_b32 s2, s2, 0xffff
	s_delay_alu instid0(SALU_CYCLE_1)
	s_lshl_b32 s6, s2, 3
.LBB125_16:                             ; =>This Inner Loop Header: Depth=1
	global_load_b64 v[14:15], v[8:9], off
	v_add_nc_u64_e32 v[10:11], s[2:3], v[10:11]
	s_wait_xcnt 0x0
	v_add_nc_u64_e32 v[8:9], s[6:7], v[8:9]
	s_delay_alu instid0(VALU_DEP_2) | instskip(NEXT) | instid1(VALU_DEP_1)
	v_lshlrev_b64_e32 v[16:17], 2, v[10:11]
	v_cmp_ge_i64_e32 vcc_lo, v[16:17], v[6:7]
	s_or_b32 s8, vcc_lo, s8
	s_wait_loadcnt 0x0
	v_alignbit_b32 v1, v15, v14, 16
	v_and_b32_e32 v12, 0xffff0000, v15
	v_and_b32_e32 v18, 0xffff0000, v14
	v_lshlrev_b32_e32 v14, 16, v14
	s_delay_alu instid0(VALU_DEP_4) | instskip(NEXT) | instid1(VALU_DEP_4)
	v_and_b32_e32 v1, 0xffff0000, v1
	v_and_b32_e32 v15, 0x7fffffff, v12
	s_delay_alu instid0(VALU_DEP_4) | instskip(NEXT) | instid1(VALU_DEP_4)
	v_and_b32_e32 v17, 0x7fffffff, v18
	v_and_b32_e32 v16, 0x7fffffff, v14
	s_delay_alu instid0(VALU_DEP_4) | instskip(NEXT) | instid1(VALU_DEP_2)
	v_and_b32_e32 v14, 0x7fffffff, v1
	v_pk_add_f32 v[2:3], v[2:3], v[16:17]
	s_delay_alu instid0(VALU_DEP_2)
	v_pk_add_f32 v[4:5], v[4:5], v[14:15]
	s_and_not1_b32 exec_lo, exec_lo, s8
	s_cbranch_execnz .LBB125_16
; %bb.17:
	s_or_b32 exec_lo, exec_lo, s8
.LBB125_18:
	s_delay_alu instid0(SALU_CYCLE_1)
	s_or_b32 exec_lo, exec_lo, s5
.LBB125_19:
	v_add_f32_e32 v1, 0, v2
	v_mbcnt_lo_u32_b32 v6, -1, 0
	s_mov_b32 s2, exec_lo
	s_barrier_signal -1
	s_delay_alu instid0(VALU_DEP_2) | instskip(NEXT) | instid1(VALU_DEP_2)
	v_add_f32_e32 v1, v3, v1
	v_cmp_gt_u32_e32 vcc_lo, 24, v6
	s_barrier_wait -1
	s_delay_alu instid0(VALU_DEP_2) | instskip(SKIP_1) | instid1(VALU_DEP_2)
	v_add_f32_e32 v2, v4, v1
	v_lshl_or_b32 v1, v6, 2, 64
	v_add_f32_e32 v3, v5, v2
	v_cndmask_b32_e64 v2, 0, 8, vcc_lo
	v_cmp_gt_u32_e32 vcc_lo, 28, v6
	ds_bpermute_b32 v4, v1, v3
	v_add_lshl_u32 v2, v2, v6, 2
	s_wait_dscnt 0x0
	v_add_f32_e32 v4, v3, v4
	v_cndmask_b32_e64 v3, 0, 4, vcc_lo
	v_cmp_gt_u32_e32 vcc_lo, 30, v6
	ds_bpermute_b32 v5, v2, v4
	v_add_lshl_u32 v3, v3, v6, 2
	s_wait_dscnt 0x0
	v_add_f32_e32 v5, v4, v5
	v_cndmask_b32_e64 v4, 0, 2, vcc_lo
	v_cmp_ne_u32_e32 vcc_lo, 31, v6
	ds_bpermute_b32 v7, v3, v5
	v_add_lshl_u32 v4, v4, v6, 2
	v_add_co_ci_u32_e64 v8, null, 0, v6, vcc_lo
	s_wait_dscnt 0x0
	v_add_f32_e32 v5, v5, v7
	ds_bpermute_b32 v7, v4, v5
	s_wait_dscnt 0x0
	v_dual_add_f32 v6, v5, v7 :: v_dual_lshlrev_b32 v5, 2, v8
	v_and_b32_e32 v7, 31, v0
	ds_bpermute_b32 v8, v5, v6
	v_cmpx_eq_u32_e32 0, v7
	s_cbranch_execz .LBB125_21
; %bb.20:
	v_lshrrev_b32_e32 v9, 3, v0
	s_wait_dscnt 0x0
	v_add_f32_e32 v6, v6, v8
	ds_store_b32 v9, v6
.LBB125_21:
	s_or_b32 exec_lo, exec_lo, s2
	s_wait_dscnt 0x0
	s_barrier_signal -1
	s_barrier_wait -1
	s_load_b32 s2, s[0:1], 0xd4c
	v_mov_b32_e32 v6, 0
	s_wait_kmcnt 0x0
	s_bfe_u32 s2, s2, 0xb0005
	s_delay_alu instid0(SALU_CYCLE_1)
	v_cmp_gt_u32_e32 vcc_lo, s2, v0
	s_and_saveexec_b32 s2, vcc_lo
; %bb.22:
	v_lshlrev_b32_e32 v6, 2, v7
	ds_load_b32 v6, v6
; %bb.23:
	s_or_b32 exec_lo, exec_lo, s2
	s_delay_alu instid0(SALU_CYCLE_1)
	s_mov_b32 s2, exec_lo
	v_cmpx_gt_u32_e32 32, v0
	s_cbranch_execz .LBB125_25
; %bb.24:
	s_wait_dscnt 0x0
	ds_bpermute_b32 v1, v1, v6
	s_wait_dscnt 0x0
	v_add_f32_e32 v1, v6, v1
	ds_bpermute_b32 v2, v2, v1
	s_wait_dscnt 0x0
	v_add_f32_e32 v1, v1, v2
	;; [unrolled: 3-line block ×5, first 2 shown]
.LBB125_25:
	s_or_b32 exec_lo, exec_lo, s2
	s_delay_alu instid0(SALU_CYCLE_1)
	s_mov_b32 s2, exec_lo
	v_cmpx_eq_u32_e32 0, v0
	s_cbranch_execz .LBB125_27
; %bb.26:
	s_clause 0x1
	s_load_b32 s2, s[0:1], 0xd20
	s_load_b96 s[8:10], s[0:1], 0xd30
	v_and_b32_e32 v0, 0xff, v13
	s_wait_kmcnt 0x0
	s_delay_alu instid0(VALU_DEP_1) | instskip(NEXT) | instid1(VALU_DEP_1)
	v_add_nc_u32_e32 v0, s2, v0
	v_mul_lo_u32 v0, v0, s10
	s_delay_alu instid0(VALU_DEP_1)
	v_add_nc_u32_e32 v0, s4, v0
	s_wait_dscnt 0x0
	global_store_b32 v0, v6, s[8:9] scale_offset
.LBB125_27:
	s_endpgm
.LBB125_28:
	v_mov_b32_e32 v2, 0
	s_delay_alu instid0(VALU_DEP_1)
	v_dual_mov_b32 v3, v2 :: v_dual_mov_b32 v4, v2
	v_mov_b32_e32 v5, v2
	s_and_not1_b32 vcc_lo, exec_lo, s3
	s_cbranch_vccz .LBB125_14
	s_branch .LBB125_19
	.section	.rodata,"a",@progbits
	.p2align	6, 0x0
	.amdhsa_kernel _ZN2at6native12_GLOBAL__N_125multi_tensor_apply_kernelINS1_18TensorListMetadataILi1EEENS0_13LpNormFunctorIN3c108BFloat16ELNS0_8NormTypeE1EfLi1ELi1ELi0EEEJPfiEEEvT_T0_DpT1_
		.amdhsa_group_segment_fixed_size 2048
		.amdhsa_private_segment_fixed_size 0
		.amdhsa_kernarg_size 3648
		.amdhsa_user_sgpr_count 2
		.amdhsa_user_sgpr_dispatch_ptr 0
		.amdhsa_user_sgpr_queue_ptr 0
		.amdhsa_user_sgpr_kernarg_segment_ptr 1
		.amdhsa_user_sgpr_dispatch_id 0
		.amdhsa_user_sgpr_kernarg_preload_length 0
		.amdhsa_user_sgpr_kernarg_preload_offset 0
		.amdhsa_user_sgpr_private_segment_size 0
		.amdhsa_wavefront_size32 1
		.amdhsa_uses_dynamic_stack 0
		.amdhsa_enable_private_segment 0
		.amdhsa_system_sgpr_workgroup_id_x 1
		.amdhsa_system_sgpr_workgroup_id_y 0
		.amdhsa_system_sgpr_workgroup_id_z 0
		.amdhsa_system_sgpr_workgroup_info 0
		.amdhsa_system_vgpr_workitem_id 0
		.amdhsa_next_free_vgpr 19
		.amdhsa_next_free_sgpr 14
		.amdhsa_named_barrier_count 0
		.amdhsa_reserve_vcc 1
		.amdhsa_float_round_mode_32 0
		.amdhsa_float_round_mode_16_64 0
		.amdhsa_float_denorm_mode_32 3
		.amdhsa_float_denorm_mode_16_64 3
		.amdhsa_fp16_overflow 0
		.amdhsa_memory_ordered 1
		.amdhsa_forward_progress 1
		.amdhsa_inst_pref_size 12
		.amdhsa_round_robin_scheduling 0
		.amdhsa_exception_fp_ieee_invalid_op 0
		.amdhsa_exception_fp_denorm_src 0
		.amdhsa_exception_fp_ieee_div_zero 0
		.amdhsa_exception_fp_ieee_overflow 0
		.amdhsa_exception_fp_ieee_underflow 0
		.amdhsa_exception_fp_ieee_inexact 0
		.amdhsa_exception_int_div_zero 0
	.end_amdhsa_kernel
	.section	.text._ZN2at6native12_GLOBAL__N_125multi_tensor_apply_kernelINS1_18TensorListMetadataILi1EEENS0_13LpNormFunctorIN3c108BFloat16ELNS0_8NormTypeE1EfLi1ELi1ELi0EEEJPfiEEEvT_T0_DpT1_,"axG",@progbits,_ZN2at6native12_GLOBAL__N_125multi_tensor_apply_kernelINS1_18TensorListMetadataILi1EEENS0_13LpNormFunctorIN3c108BFloat16ELNS0_8NormTypeE1EfLi1ELi1ELi0EEEJPfiEEEvT_T0_DpT1_,comdat
.Lfunc_end125:
	.size	_ZN2at6native12_GLOBAL__N_125multi_tensor_apply_kernelINS1_18TensorListMetadataILi1EEENS0_13LpNormFunctorIN3c108BFloat16ELNS0_8NormTypeE1EfLi1ELi1ELi0EEEJPfiEEEvT_T0_DpT1_, .Lfunc_end125-_ZN2at6native12_GLOBAL__N_125multi_tensor_apply_kernelINS1_18TensorListMetadataILi1EEENS0_13LpNormFunctorIN3c108BFloat16ELNS0_8NormTypeE1EfLi1ELi1ELi0EEEJPfiEEEvT_T0_DpT1_
                                        ; -- End function
	.set _ZN2at6native12_GLOBAL__N_125multi_tensor_apply_kernelINS1_18TensorListMetadataILi1EEENS0_13LpNormFunctorIN3c108BFloat16ELNS0_8NormTypeE1EfLi1ELi1ELi0EEEJPfiEEEvT_T0_DpT1_.num_vgpr, 19
	.set _ZN2at6native12_GLOBAL__N_125multi_tensor_apply_kernelINS1_18TensorListMetadataILi1EEENS0_13LpNormFunctorIN3c108BFloat16ELNS0_8NormTypeE1EfLi1ELi1ELi0EEEJPfiEEEvT_T0_DpT1_.num_agpr, 0
	.set _ZN2at6native12_GLOBAL__N_125multi_tensor_apply_kernelINS1_18TensorListMetadataILi1EEENS0_13LpNormFunctorIN3c108BFloat16ELNS0_8NormTypeE1EfLi1ELi1ELi0EEEJPfiEEEvT_T0_DpT1_.numbered_sgpr, 14
	.set _ZN2at6native12_GLOBAL__N_125multi_tensor_apply_kernelINS1_18TensorListMetadataILi1EEENS0_13LpNormFunctorIN3c108BFloat16ELNS0_8NormTypeE1EfLi1ELi1ELi0EEEJPfiEEEvT_T0_DpT1_.num_named_barrier, 0
	.set _ZN2at6native12_GLOBAL__N_125multi_tensor_apply_kernelINS1_18TensorListMetadataILi1EEENS0_13LpNormFunctorIN3c108BFloat16ELNS0_8NormTypeE1EfLi1ELi1ELi0EEEJPfiEEEvT_T0_DpT1_.private_seg_size, 0
	.set _ZN2at6native12_GLOBAL__N_125multi_tensor_apply_kernelINS1_18TensorListMetadataILi1EEENS0_13LpNormFunctorIN3c108BFloat16ELNS0_8NormTypeE1EfLi1ELi1ELi0EEEJPfiEEEvT_T0_DpT1_.uses_vcc, 1
	.set _ZN2at6native12_GLOBAL__N_125multi_tensor_apply_kernelINS1_18TensorListMetadataILi1EEENS0_13LpNormFunctorIN3c108BFloat16ELNS0_8NormTypeE1EfLi1ELi1ELi0EEEJPfiEEEvT_T0_DpT1_.uses_flat_scratch, 0
	.set _ZN2at6native12_GLOBAL__N_125multi_tensor_apply_kernelINS1_18TensorListMetadataILi1EEENS0_13LpNormFunctorIN3c108BFloat16ELNS0_8NormTypeE1EfLi1ELi1ELi0EEEJPfiEEEvT_T0_DpT1_.has_dyn_sized_stack, 0
	.set _ZN2at6native12_GLOBAL__N_125multi_tensor_apply_kernelINS1_18TensorListMetadataILi1EEENS0_13LpNormFunctorIN3c108BFloat16ELNS0_8NormTypeE1EfLi1ELi1ELi0EEEJPfiEEEvT_T0_DpT1_.has_recursion, 0
	.set _ZN2at6native12_GLOBAL__N_125multi_tensor_apply_kernelINS1_18TensorListMetadataILi1EEENS0_13LpNormFunctorIN3c108BFloat16ELNS0_8NormTypeE1EfLi1ELi1ELi0EEEJPfiEEEvT_T0_DpT1_.has_indirect_call, 0
	.section	.AMDGPU.csdata,"",@progbits
; Kernel info:
; codeLenInByte = 1476
; TotalNumSgprs: 16
; NumVgprs: 19
; ScratchSize: 0
; MemoryBound: 0
; FloatMode: 240
; IeeeMode: 1
; LDSByteSize: 2048 bytes/workgroup (compile time only)
; SGPRBlocks: 0
; VGPRBlocks: 1
; NumSGPRsForWavesPerEU: 16
; NumVGPRsForWavesPerEU: 19
; NamedBarCnt: 0
; Occupancy: 16
; WaveLimiterHint : 0
; COMPUTE_PGM_RSRC2:SCRATCH_EN: 0
; COMPUTE_PGM_RSRC2:USER_SGPR: 2
; COMPUTE_PGM_RSRC2:TRAP_HANDLER: 0
; COMPUTE_PGM_RSRC2:TGID_X_EN: 1
; COMPUTE_PGM_RSRC2:TGID_Y_EN: 0
; COMPUTE_PGM_RSRC2:TGID_Z_EN: 0
; COMPUTE_PGM_RSRC2:TIDIG_COMP_CNT: 0
	.section	.text._ZN2at6native12_GLOBAL__N_125multi_tensor_apply_kernelINS1_18TensorListMetadataILi1EEENS0_13LpNormFunctorIN3c108BFloat16ELNS0_8NormTypeE2EfLi1ELi1ELi0EEEJPfiEEEvT_T0_DpT1_,"axG",@progbits,_ZN2at6native12_GLOBAL__N_125multi_tensor_apply_kernelINS1_18TensorListMetadataILi1EEENS0_13LpNormFunctorIN3c108BFloat16ELNS0_8NormTypeE2EfLi1ELi1ELi0EEEJPfiEEEvT_T0_DpT1_,comdat
	.globl	_ZN2at6native12_GLOBAL__N_125multi_tensor_apply_kernelINS1_18TensorListMetadataILi1EEENS0_13LpNormFunctorIN3c108BFloat16ELNS0_8NormTypeE2EfLi1ELi1ELi0EEEJPfiEEEvT_T0_DpT1_ ; -- Begin function _ZN2at6native12_GLOBAL__N_125multi_tensor_apply_kernelINS1_18TensorListMetadataILi1EEENS0_13LpNormFunctorIN3c108BFloat16ELNS0_8NormTypeE2EfLi1ELi1ELi0EEEJPfiEEEvT_T0_DpT1_
	.p2align	8
	.type	_ZN2at6native12_GLOBAL__N_125multi_tensor_apply_kernelINS1_18TensorListMetadataILi1EEENS0_13LpNormFunctorIN3c108BFloat16ELNS0_8NormTypeE2EfLi1ELi1ELi0EEEJPfiEEEvT_T0_DpT1_,@function
_ZN2at6native12_GLOBAL__N_125multi_tensor_apply_kernelINS1_18TensorListMetadataILi1EEENS0_13LpNormFunctorIN3c108BFloat16ELNS0_8NormTypeE2EfLi1ELi1ELi0EEEJPfiEEEvT_T0_DpT1_: ; @_ZN2at6native12_GLOBAL__N_125multi_tensor_apply_kernelINS1_18TensorListMetadataILi1EEENS0_13LpNormFunctorIN3c108BFloat16ELNS0_8NormTypeE2EfLi1ELi1ELi0EEEJPfiEEEvT_T0_DpT1_
; %bb.0:
	s_bfe_u32 s2, ttmp6, 0x4000c
	s_and_b32 s3, ttmp6, 15
	s_add_co_i32 s2, s2, 1
	s_getreg_b32 s4, hwreg(HW_REG_IB_STS2, 6, 4)
	s_mul_i32 s2, ttmp9, s2
	s_delay_alu instid0(SALU_CYCLE_1)
	s_add_co_i32 s3, s3, s2
	s_cmp_eq_u32 s4, 0
	s_cselect_b32 s2, ttmp9, s3
	s_mov_b32 s3, 0
	v_mov_b32_e32 v1, s2
	s_add_nc_u64 s[4:5], s[0:1], s[2:3]
	s_mul_u64 s[6:7], s[2:3], 3
	s_delay_alu instid0(SALU_CYCLE_1) | instskip(SKIP_4) | instid1(SALU_CYCLE_1)
	s_add_nc_u64 s[4:5], s[4:5], s[6:7]
	global_load_u8 v15, v1, s[0:1] offset:1760
	s_load_b32 s4, s[4:5], 0x820
	s_wait_kmcnt 0x0
	s_ashr_i32 s5, s4, 31
	s_lshl_b64 s[10:11], s[4:5], 17
	s_lshl_b64 s[12:13], s[4:5], 16
	s_wait_loadcnt 0x0
	v_readfirstlane_b32 s2, v15
	s_and_b32 s2, s2, 0xff
	s_clause 0x1
	s_load_b64 s[6:7], s[0:1], s2 offset:0x0 scale_offset
	s_load_b64 s[8:9], s[0:1], s2 offset:0x370 scale_offset
	s_wait_kmcnt 0x0
	s_add_nc_u64 s[6:7], s[6:7], s[10:11]
	s_and_b32 s2, s8, 3
	s_and_b64 s[10:11], s[6:7], 7
	s_sub_nc_u64 s[8:9], s[8:9], s[12:13]
	s_or_b64 s[10:11], s[2:3], s[10:11]
	s_delay_alu instid0(SALU_CYCLE_1)
	s_cmp_eq_u64 s[10:11], 0
	s_cbranch_scc1 .LBB126_12
; %bb.1:
	v_cmp_lt_i64_e64 s2, s[8:9], 1
	s_and_b32 vcc_lo, exec_lo, s2
	s_cbranch_vccnz .LBB126_28
; %bb.2:
	s_load_b32 s2, s[0:1], 0xd4c
	v_min_i64 v[10:11], 0x10000, s[8:9]
	s_mov_b32 s11, 0
	s_mov_b64 s[12:13], 0
	s_wait_kmcnt 0x0
	s_and_b32 s2, s2, 0xffff
	s_delay_alu instid0(SALU_CYCLE_1) | instskip(SKIP_3) | instid1(VALU_DEP_3)
	v_dual_mov_b32 v7, 0 :: v_dual_add_nc_u32 v16, s2, v0
	v_mad_u32 v12, s2, 3, v0
	v_lshl_add_u32 v14, s2, 1, v0
	s_lshl_b32 s10, s2, 2
	v_dual_mov_b32 v6, v7 :: v_dual_mov_b32 v8, v7
	v_mov_b32_e32 v9, v7
	s_delay_alu instid0(VALU_DEP_2) | instskip(NEXT) | instid1(VALU_DEP_2)
	v_mov_b64_e32 v[2:3], v[6:7]
	v_mov_b64_e32 v[4:5], v[8:9]
	s_branch .LBB126_4
.LBB126_3:                              ;   in Loop: Header=BB126_4 Depth=1
	s_or_b32 exec_lo, exec_lo, s2
	s_add_nc_u64 s[12:13], s[12:13], s[10:11]
	s_delay_alu instid0(SALU_CYCLE_1)
	v_cmp_lt_i64_e32 vcc_lo, s[12:13], v[10:11]
	s_cbranch_vccz .LBB126_13
.LBB126_4:                              ; =>This Inner Loop Header: Depth=1
	v_add_nc_u32_e32 v6, s12, v0
	s_delay_alu instid0(VALU_DEP_1) | instskip(SKIP_2) | instid1(SALU_CYCLE_1)
	v_cmp_gt_i64_e32 vcc_lo, s[8:9], v[6:7]
	v_cmp_gt_u32_e64 s2, 0x10000, v6
	s_and_b32 s5, s2, vcc_lo
	s_and_saveexec_b32 s2, s5
	s_cbranch_execz .LBB126_6
; %bb.5:                                ;   in Loop: Header=BB126_4 Depth=1
	v_lshl_add_u64 v[8:9], v[6:7], 1, s[6:7]
	global_load_u16 v1, v[8:9], off
	s_wait_loadcnt 0x0
	v_fma_mix_f32_bf16 v2, v1, v1, v2 op_sel_hi:[1,1,0]
.LBB126_6:                              ;   in Loop: Header=BB126_4 Depth=1
	s_or_b32 exec_lo, exec_lo, s2
	v_add_nc_u32_e32 v6, s12, v16
	s_delay_alu instid0(VALU_DEP_1) | instskip(SKIP_2) | instid1(SALU_CYCLE_1)
	v_cmp_gt_i64_e32 vcc_lo, s[8:9], v[6:7]
	v_cmp_gt_u32_e64 s2, 0x10000, v6
	s_and_b32 s5, s2, vcc_lo
	s_and_saveexec_b32 s2, s5
	s_cbranch_execz .LBB126_8
; %bb.7:                                ;   in Loop: Header=BB126_4 Depth=1
	v_lshl_add_u64 v[8:9], v[6:7], 1, s[6:7]
	global_load_u16 v1, v[8:9], off
	s_wait_loadcnt 0x0
	v_fma_mix_f32_bf16 v3, v1, v1, v3 op_sel_hi:[1,1,0]
.LBB126_8:                              ;   in Loop: Header=BB126_4 Depth=1
	s_or_b32 exec_lo, exec_lo, s2
	v_add_nc_u32_e32 v6, s12, v14
	s_delay_alu instid0(VALU_DEP_1) | instskip(SKIP_2) | instid1(SALU_CYCLE_1)
	v_cmp_gt_i64_e32 vcc_lo, s[8:9], v[6:7]
	v_cmp_gt_u32_e64 s2, 0x10000, v6
	s_and_b32 s5, s2, vcc_lo
	s_and_saveexec_b32 s2, s5
	s_cbranch_execz .LBB126_10
; %bb.9:                                ;   in Loop: Header=BB126_4 Depth=1
	v_lshl_add_u64 v[8:9], v[6:7], 1, s[6:7]
	global_load_u16 v1, v[8:9], off
	s_wait_loadcnt 0x0
	v_fma_mix_f32_bf16 v4, v1, v1, v4 op_sel_hi:[1,1,0]
.LBB126_10:                             ;   in Loop: Header=BB126_4 Depth=1
	s_or_b32 exec_lo, exec_lo, s2
	v_add_nc_u32_e32 v6, s12, v12
	s_delay_alu instid0(VALU_DEP_1) | instskip(SKIP_2) | instid1(SALU_CYCLE_1)
	v_cmp_gt_i64_e32 vcc_lo, s[8:9], v[6:7]
	v_cmp_gt_u32_e64 s2, 0x10000, v6
	s_and_b32 s5, s2, vcc_lo
	s_and_saveexec_b32 s2, s5
	s_cbranch_execz .LBB126_3
; %bb.11:                               ;   in Loop: Header=BB126_4 Depth=1
	v_lshl_add_u64 v[8:9], v[6:7], 1, s[6:7]
	global_load_u16 v1, v[8:9], off
	s_wait_loadcnt 0x0
	v_fma_mix_f32_bf16 v5, v1, v1, v5 op_sel_hi:[1,1,0]
	s_branch .LBB126_3
.LBB126_12:
	s_mov_b32 s3, -1
                                        ; implicit-def: $vgpr2_vgpr3_vgpr4_vgpr5
.LBB126_13:
	s_delay_alu instid0(SALU_CYCLE_1)
	s_and_not1_b32 vcc_lo, exec_lo, s3
	s_cbranch_vccnz .LBB126_19
.LBB126_14:
	v_min_i64 v[8:9], 0x10000, s[8:9]
	v_dual_mov_b32 v3, 0 :: v_dual_lshlrev_b32 v2, 2, v0
	s_mov_b32 s3, 0
	s_delay_alu instid0(VALU_DEP_1) | instskip(NEXT) | instid1(VALU_DEP_2)
	v_dual_mov_b32 v5, v3 :: v_dual_mov_b32 v4, v3
	v_cmp_lt_i64_e32 vcc_lo, v[2:3], v[8:9]
	v_mov_b32_e32 v2, v3
	s_and_saveexec_b32 s5, vcc_lo
	s_cbranch_execz .LBB126_18
; %bb.15:
	s_load_b32 s2, s[0:1], 0xd4c
	v_dual_mov_b32 v1, v3 :: v_dual_lshlrev_b32 v2, 3, v0
	v_dual_mov_b32 v5, 0 :: v_dual_mov_b32 v6, 0
	v_mov_b32_e32 v7, 0
	s_delay_alu instid0(VALU_DEP_3) | instskip(NEXT) | instid1(VALU_DEP_4)
	v_add_nc_u64_e32 v[10:11], s[6:7], v[2:3]
	v_mov_b64_e32 v[12:13], v[0:1]
	s_mov_b32 s7, s3
	s_mov_b32 s8, s3
	s_wait_kmcnt 0x0
	s_and_b32 s2, s2, 0xffff
	s_delay_alu instid0(SALU_CYCLE_1)
	s_lshl_b32 s6, s2, 3
.LBB126_16:                             ; =>This Inner Loop Header: Depth=1
	global_load_b64 v[16:17], v[10:11], off
	v_add_nc_u64_e32 v[12:13], s[2:3], v[12:13]
	s_wait_xcnt 0x0
	v_add_nc_u64_e32 v[10:11], s[6:7], v[10:11]
	s_delay_alu instid0(VALU_DEP_2) | instskip(NEXT) | instid1(VALU_DEP_1)
	v_lshlrev_b64_e32 v[18:19], 2, v[12:13]
	v_cmp_ge_i64_e32 vcc_lo, v[18:19], v[8:9]
	s_or_b32 s8, vcc_lo, s8
	s_wait_loadcnt 0x0
	v_alignbit_b32 v1, v17, v16, 16
	v_fma_mix_f32_bf16 v3, v16, v16, v3 op_sel_hi:[1,1,0]
	v_fma_mix_f32_bf16 v5, v16, v16, v5 op_sel:[1,1,0] op_sel_hi:[1,1,0]
	v_fma_mix_f32_bf16 v7, v17, v17, v7 op_sel:[1,1,0] op_sel_hi:[1,1,0]
	s_delay_alu instid0(VALU_DEP_4)
	v_fma_mix_f32_bf16 v6, v1, v1, v6 op_sel:[1,1,0] op_sel_hi:[1,1,0]
	s_and_not1_b32 exec_lo, exec_lo, s8
	s_cbranch_execnz .LBB126_16
; %bb.17:
	s_or_b32 exec_lo, exec_lo, s8
	v_mov_b32_e32 v4, v3
	s_delay_alu instid0(VALU_DEP_1)
	v_mov_b64_e32 v[2:3], v[4:5]
	v_mov_b64_e32 v[4:5], v[6:7]
.LBB126_18:
	s_or_b32 exec_lo, exec_lo, s5
.LBB126_19:
	s_delay_alu instid0(VALU_DEP_1) | instskip(SKIP_3) | instid1(VALU_DEP_2)
	v_add_f32_e32 v1, 0, v2
	v_mbcnt_lo_u32_b32 v6, -1, 0
	s_mov_b32 s2, exec_lo
	s_barrier_signal -1
	v_add_f32_e32 v1, v3, v1
	s_delay_alu instid0(VALU_DEP_2) | instskip(SKIP_1) | instid1(VALU_DEP_2)
	v_cmp_gt_u32_e32 vcc_lo, 24, v6
	s_barrier_wait -1
	v_add_f32_e32 v2, v4, v1
	v_lshl_or_b32 v1, v6, 2, 64
	s_delay_alu instid0(VALU_DEP_2)
	v_add_f32_e32 v3, v5, v2
	v_cndmask_b32_e64 v2, 0, 8, vcc_lo
	v_cmp_gt_u32_e32 vcc_lo, 28, v6
	ds_bpermute_b32 v4, v1, v3
	v_add_lshl_u32 v2, v2, v6, 2
	s_wait_dscnt 0x0
	v_add_f32_e32 v4, v3, v4
	v_cndmask_b32_e64 v3, 0, 4, vcc_lo
	v_cmp_gt_u32_e32 vcc_lo, 30, v6
	ds_bpermute_b32 v5, v2, v4
	v_add_lshl_u32 v3, v3, v6, 2
	s_wait_dscnt 0x0
	v_add_f32_e32 v5, v4, v5
	v_cndmask_b32_e64 v4, 0, 2, vcc_lo
	v_cmp_ne_u32_e32 vcc_lo, 31, v6
	ds_bpermute_b32 v7, v3, v5
	v_add_lshl_u32 v4, v4, v6, 2
	v_add_co_ci_u32_e64 v8, null, 0, v6, vcc_lo
	s_wait_dscnt 0x0
	v_add_f32_e32 v5, v5, v7
	ds_bpermute_b32 v7, v4, v5
	s_wait_dscnt 0x0
	v_dual_add_f32 v6, v5, v7 :: v_dual_lshlrev_b32 v5, 2, v8
	v_and_b32_e32 v7, 31, v0
	ds_bpermute_b32 v8, v5, v6
	v_cmpx_eq_u32_e32 0, v7
	s_cbranch_execz .LBB126_21
; %bb.20:
	v_lshrrev_b32_e32 v9, 3, v0
	s_wait_dscnt 0x0
	v_add_f32_e32 v6, v6, v8
	ds_store_b32 v9, v6
.LBB126_21:
	s_or_b32 exec_lo, exec_lo, s2
	s_wait_dscnt 0x0
	s_barrier_signal -1
	s_barrier_wait -1
	s_load_b32 s2, s[0:1], 0xd4c
	v_mov_b32_e32 v6, 0
	s_wait_kmcnt 0x0
	s_bfe_u32 s2, s2, 0xb0005
	s_delay_alu instid0(SALU_CYCLE_1)
	v_cmp_gt_u32_e32 vcc_lo, s2, v0
	s_and_saveexec_b32 s2, vcc_lo
; %bb.22:
	v_lshlrev_b32_e32 v6, 2, v7
	ds_load_b32 v6, v6
; %bb.23:
	s_or_b32 exec_lo, exec_lo, s2
	s_delay_alu instid0(SALU_CYCLE_1)
	s_mov_b32 s2, exec_lo
	v_cmpx_gt_u32_e32 32, v0
	s_cbranch_execz .LBB126_25
; %bb.24:
	s_wait_dscnt 0x0
	ds_bpermute_b32 v1, v1, v6
	s_wait_dscnt 0x0
	v_add_f32_e32 v1, v6, v1
	ds_bpermute_b32 v2, v2, v1
	s_wait_dscnt 0x0
	v_add_f32_e32 v1, v1, v2
	;; [unrolled: 3-line block ×5, first 2 shown]
.LBB126_25:
	s_or_b32 exec_lo, exec_lo, s2
	s_delay_alu instid0(SALU_CYCLE_1)
	s_mov_b32 s2, exec_lo
	v_cmpx_eq_u32_e32 0, v0
	s_cbranch_execz .LBB126_27
; %bb.26:
	s_clause 0x1
	s_load_b32 s2, s[0:1], 0xd20
	s_load_b96 s[8:10], s[0:1], 0xd30
	v_and_b32_e32 v0, 0xff, v15
	s_wait_kmcnt 0x0
	s_delay_alu instid0(VALU_DEP_1) | instskip(NEXT) | instid1(VALU_DEP_1)
	v_add_nc_u32_e32 v0, s2, v0
	v_mul_lo_u32 v0, v0, s10
	s_delay_alu instid0(VALU_DEP_1)
	v_add_nc_u32_e32 v0, s4, v0
	s_wait_dscnt 0x0
	global_store_b32 v0, v6, s[8:9] scale_offset
.LBB126_27:
	s_endpgm
.LBB126_28:
	v_mov_b32_e32 v2, 0
	s_delay_alu instid0(VALU_DEP_1)
	v_dual_mov_b32 v3, v2 :: v_dual_mov_b32 v4, v2
	v_mov_b32_e32 v5, v2
	s_and_not1_b32 vcc_lo, exec_lo, s3
	s_cbranch_vccz .LBB126_14
	s_branch .LBB126_19
	.section	.rodata,"a",@progbits
	.p2align	6, 0x0
	.amdhsa_kernel _ZN2at6native12_GLOBAL__N_125multi_tensor_apply_kernelINS1_18TensorListMetadataILi1EEENS0_13LpNormFunctorIN3c108BFloat16ELNS0_8NormTypeE2EfLi1ELi1ELi0EEEJPfiEEEvT_T0_DpT1_
		.amdhsa_group_segment_fixed_size 2048
		.amdhsa_private_segment_fixed_size 0
		.amdhsa_kernarg_size 3648
		.amdhsa_user_sgpr_count 2
		.amdhsa_user_sgpr_dispatch_ptr 0
		.amdhsa_user_sgpr_queue_ptr 0
		.amdhsa_user_sgpr_kernarg_segment_ptr 1
		.amdhsa_user_sgpr_dispatch_id 0
		.amdhsa_user_sgpr_kernarg_preload_length 0
		.amdhsa_user_sgpr_kernarg_preload_offset 0
		.amdhsa_user_sgpr_private_segment_size 0
		.amdhsa_wavefront_size32 1
		.amdhsa_uses_dynamic_stack 0
		.amdhsa_enable_private_segment 0
		.amdhsa_system_sgpr_workgroup_id_x 1
		.amdhsa_system_sgpr_workgroup_id_y 0
		.amdhsa_system_sgpr_workgroup_id_z 0
		.amdhsa_system_sgpr_workgroup_info 0
		.amdhsa_system_vgpr_workitem_id 0
		.amdhsa_next_free_vgpr 20
		.amdhsa_next_free_sgpr 14
		.amdhsa_named_barrier_count 0
		.amdhsa_reserve_vcc 1
		.amdhsa_float_round_mode_32 0
		.amdhsa_float_round_mode_16_64 0
		.amdhsa_float_denorm_mode_32 3
		.amdhsa_float_denorm_mode_16_64 3
		.amdhsa_fp16_overflow 0
		.amdhsa_memory_ordered 1
		.amdhsa_forward_progress 1
		.amdhsa_inst_pref_size 11
		.amdhsa_round_robin_scheduling 0
		.amdhsa_exception_fp_ieee_invalid_op 0
		.amdhsa_exception_fp_denorm_src 0
		.amdhsa_exception_fp_ieee_div_zero 0
		.amdhsa_exception_fp_ieee_overflow 0
		.amdhsa_exception_fp_ieee_underflow 0
		.amdhsa_exception_fp_ieee_inexact 0
		.amdhsa_exception_int_div_zero 0
	.end_amdhsa_kernel
	.section	.text._ZN2at6native12_GLOBAL__N_125multi_tensor_apply_kernelINS1_18TensorListMetadataILi1EEENS0_13LpNormFunctorIN3c108BFloat16ELNS0_8NormTypeE2EfLi1ELi1ELi0EEEJPfiEEEvT_T0_DpT1_,"axG",@progbits,_ZN2at6native12_GLOBAL__N_125multi_tensor_apply_kernelINS1_18TensorListMetadataILi1EEENS0_13LpNormFunctorIN3c108BFloat16ELNS0_8NormTypeE2EfLi1ELi1ELi0EEEJPfiEEEvT_T0_DpT1_,comdat
.Lfunc_end126:
	.size	_ZN2at6native12_GLOBAL__N_125multi_tensor_apply_kernelINS1_18TensorListMetadataILi1EEENS0_13LpNormFunctorIN3c108BFloat16ELNS0_8NormTypeE2EfLi1ELi1ELi0EEEJPfiEEEvT_T0_DpT1_, .Lfunc_end126-_ZN2at6native12_GLOBAL__N_125multi_tensor_apply_kernelINS1_18TensorListMetadataILi1EEENS0_13LpNormFunctorIN3c108BFloat16ELNS0_8NormTypeE2EfLi1ELi1ELi0EEEJPfiEEEvT_T0_DpT1_
                                        ; -- End function
	.set _ZN2at6native12_GLOBAL__N_125multi_tensor_apply_kernelINS1_18TensorListMetadataILi1EEENS0_13LpNormFunctorIN3c108BFloat16ELNS0_8NormTypeE2EfLi1ELi1ELi0EEEJPfiEEEvT_T0_DpT1_.num_vgpr, 20
	.set _ZN2at6native12_GLOBAL__N_125multi_tensor_apply_kernelINS1_18TensorListMetadataILi1EEENS0_13LpNormFunctorIN3c108BFloat16ELNS0_8NormTypeE2EfLi1ELi1ELi0EEEJPfiEEEvT_T0_DpT1_.num_agpr, 0
	.set _ZN2at6native12_GLOBAL__N_125multi_tensor_apply_kernelINS1_18TensorListMetadataILi1EEENS0_13LpNormFunctorIN3c108BFloat16ELNS0_8NormTypeE2EfLi1ELi1ELi0EEEJPfiEEEvT_T0_DpT1_.numbered_sgpr, 14
	.set _ZN2at6native12_GLOBAL__N_125multi_tensor_apply_kernelINS1_18TensorListMetadataILi1EEENS0_13LpNormFunctorIN3c108BFloat16ELNS0_8NormTypeE2EfLi1ELi1ELi0EEEJPfiEEEvT_T0_DpT1_.num_named_barrier, 0
	.set _ZN2at6native12_GLOBAL__N_125multi_tensor_apply_kernelINS1_18TensorListMetadataILi1EEENS0_13LpNormFunctorIN3c108BFloat16ELNS0_8NormTypeE2EfLi1ELi1ELi0EEEJPfiEEEvT_T0_DpT1_.private_seg_size, 0
	.set _ZN2at6native12_GLOBAL__N_125multi_tensor_apply_kernelINS1_18TensorListMetadataILi1EEENS0_13LpNormFunctorIN3c108BFloat16ELNS0_8NormTypeE2EfLi1ELi1ELi0EEEJPfiEEEvT_T0_DpT1_.uses_vcc, 1
	.set _ZN2at6native12_GLOBAL__N_125multi_tensor_apply_kernelINS1_18TensorListMetadataILi1EEENS0_13LpNormFunctorIN3c108BFloat16ELNS0_8NormTypeE2EfLi1ELi1ELi0EEEJPfiEEEvT_T0_DpT1_.uses_flat_scratch, 0
	.set _ZN2at6native12_GLOBAL__N_125multi_tensor_apply_kernelINS1_18TensorListMetadataILi1EEENS0_13LpNormFunctorIN3c108BFloat16ELNS0_8NormTypeE2EfLi1ELi1ELi0EEEJPfiEEEvT_T0_DpT1_.has_dyn_sized_stack, 0
	.set _ZN2at6native12_GLOBAL__N_125multi_tensor_apply_kernelINS1_18TensorListMetadataILi1EEENS0_13LpNormFunctorIN3c108BFloat16ELNS0_8NormTypeE2EfLi1ELi1ELi0EEEJPfiEEEvT_T0_DpT1_.has_recursion, 0
	.set _ZN2at6native12_GLOBAL__N_125multi_tensor_apply_kernelINS1_18TensorListMetadataILi1EEENS0_13LpNormFunctorIN3c108BFloat16ELNS0_8NormTypeE2EfLi1ELi1ELi0EEEJPfiEEEvT_T0_DpT1_.has_indirect_call, 0
	.section	.AMDGPU.csdata,"",@progbits
; Kernel info:
; codeLenInByte = 1388
; TotalNumSgprs: 16
; NumVgprs: 20
; ScratchSize: 0
; MemoryBound: 0
; FloatMode: 240
; IeeeMode: 1
; LDSByteSize: 2048 bytes/workgroup (compile time only)
; SGPRBlocks: 0
; VGPRBlocks: 1
; NumSGPRsForWavesPerEU: 16
; NumVGPRsForWavesPerEU: 20
; NamedBarCnt: 0
; Occupancy: 16
; WaveLimiterHint : 0
; COMPUTE_PGM_RSRC2:SCRATCH_EN: 0
; COMPUTE_PGM_RSRC2:USER_SGPR: 2
; COMPUTE_PGM_RSRC2:TRAP_HANDLER: 0
; COMPUTE_PGM_RSRC2:TGID_X_EN: 1
; COMPUTE_PGM_RSRC2:TGID_Y_EN: 0
; COMPUTE_PGM_RSRC2:TGID_Z_EN: 0
; COMPUTE_PGM_RSRC2:TIDIG_COMP_CNT: 0
	.section	.text._ZN2at6native12_GLOBAL__N_125multi_tensor_apply_kernelINS1_18TensorListMetadataILi1EEENS0_13LpNormFunctorIN3c108BFloat16ELNS0_8NormTypeE3EfLi1ELi1ELi0EEEJPfiEEEvT_T0_DpT1_,"axG",@progbits,_ZN2at6native12_GLOBAL__N_125multi_tensor_apply_kernelINS1_18TensorListMetadataILi1EEENS0_13LpNormFunctorIN3c108BFloat16ELNS0_8NormTypeE3EfLi1ELi1ELi0EEEJPfiEEEvT_T0_DpT1_,comdat
	.globl	_ZN2at6native12_GLOBAL__N_125multi_tensor_apply_kernelINS1_18TensorListMetadataILi1EEENS0_13LpNormFunctorIN3c108BFloat16ELNS0_8NormTypeE3EfLi1ELi1ELi0EEEJPfiEEEvT_T0_DpT1_ ; -- Begin function _ZN2at6native12_GLOBAL__N_125multi_tensor_apply_kernelINS1_18TensorListMetadataILi1EEENS0_13LpNormFunctorIN3c108BFloat16ELNS0_8NormTypeE3EfLi1ELi1ELi0EEEJPfiEEEvT_T0_DpT1_
	.p2align	8
	.type	_ZN2at6native12_GLOBAL__N_125multi_tensor_apply_kernelINS1_18TensorListMetadataILi1EEENS0_13LpNormFunctorIN3c108BFloat16ELNS0_8NormTypeE3EfLi1ELi1ELi0EEEJPfiEEEvT_T0_DpT1_,@function
_ZN2at6native12_GLOBAL__N_125multi_tensor_apply_kernelINS1_18TensorListMetadataILi1EEENS0_13LpNormFunctorIN3c108BFloat16ELNS0_8NormTypeE3EfLi1ELi1ELi0EEEJPfiEEEvT_T0_DpT1_: ; @_ZN2at6native12_GLOBAL__N_125multi_tensor_apply_kernelINS1_18TensorListMetadataILi1EEENS0_13LpNormFunctorIN3c108BFloat16ELNS0_8NormTypeE3EfLi1ELi1ELi0EEEJPfiEEEvT_T0_DpT1_
; %bb.0:
	s_bfe_u32 s2, ttmp6, 0x4000c
	s_and_b32 s3, ttmp6, 15
	s_add_co_i32 s2, s2, 1
	s_getreg_b32 s4, hwreg(HW_REG_IB_STS2, 6, 4)
	s_mul_i32 s2, ttmp9, s2
	s_delay_alu instid0(SALU_CYCLE_1)
	s_add_co_i32 s3, s3, s2
	s_cmp_eq_u32 s4, 0
	s_cselect_b32 s2, ttmp9, s3
	s_mov_b32 s3, 0
	v_mov_b32_e32 v1, s2
	s_add_nc_u64 s[4:5], s[0:1], s[2:3]
	s_mul_u64 s[6:7], s[2:3], 3
	s_delay_alu instid0(SALU_CYCLE_1) | instskip(SKIP_4) | instid1(SALU_CYCLE_1)
	s_add_nc_u64 s[4:5], s[4:5], s[6:7]
	global_load_u8 v15, v1, s[0:1] offset:1760
	s_load_b32 s6, s[4:5], 0x820
	s_wait_kmcnt 0x0
	s_ashr_i32 s7, s6, 31
	s_lshl_b64 s[10:11], s[6:7], 17
	s_lshl_b64 s[12:13], s[6:7], 16
	s_wait_loadcnt 0x0
	v_readfirstlane_b32 s2, v15
	s_and_b32 s2, s2, 0xff
	s_clause 0x1
	s_load_b64 s[4:5], s[0:1], s2 offset:0x0 scale_offset
	s_load_b64 s[8:9], s[0:1], s2 offset:0x370 scale_offset
	s_wait_kmcnt 0x0
	s_add_nc_u64 s[4:5], s[4:5], s[10:11]
	s_and_b32 s2, s8, 3
	s_and_b64 s[10:11], s[4:5], 7
	s_sub_nc_u64 s[8:9], s[8:9], s[12:13]
	s_or_b64 s[10:11], s[2:3], s[10:11]
	s_delay_alu instid0(SALU_CYCLE_1)
	s_cmp_eq_u64 s[10:11], 0
	s_cbranch_scc1 .LBB127_12
; %bb.1:
	v_cmp_lt_i64_e64 s2, s[8:9], 1
	s_and_b32 vcc_lo, exec_lo, s2
	s_cbranch_vccnz .LBB127_28
; %bb.2:
	s_load_b32 s2, s[0:1], 0xd4c
	v_min_i64 v[10:11], 0x10000, s[8:9]
	s_mov_b32 s11, 0
	s_mov_b64 s[12:13], 0
	s_wait_kmcnt 0x0
	s_and_b32 s2, s2, 0xffff
	s_delay_alu instid0(SALU_CYCLE_1) | instskip(SKIP_3) | instid1(VALU_DEP_3)
	v_dual_mov_b32 v7, 0 :: v_dual_add_nc_u32 v16, s2, v0
	v_mad_u32 v12, s2, 3, v0
	v_lshl_add_u32 v14, s2, 1, v0
	s_lshl_b32 s10, s2, 2
	v_dual_mov_b32 v6, v7 :: v_dual_mov_b32 v8, v7
	v_mov_b32_e32 v9, v7
	s_delay_alu instid0(VALU_DEP_2) | instskip(NEXT) | instid1(VALU_DEP_2)
	v_mov_b64_e32 v[2:3], v[6:7]
	v_mov_b64_e32 v[4:5], v[8:9]
	s_branch .LBB127_4
.LBB127_3:                              ;   in Loop: Header=BB127_4 Depth=1
	s_or_b32 exec_lo, exec_lo, s2
	s_add_nc_u64 s[12:13], s[12:13], s[10:11]
	s_delay_alu instid0(SALU_CYCLE_1)
	v_cmp_lt_i64_e32 vcc_lo, s[12:13], v[10:11]
	s_cbranch_vccz .LBB127_13
.LBB127_4:                              ; =>This Inner Loop Header: Depth=1
	v_add_nc_u32_e32 v6, s12, v0
	s_delay_alu instid0(VALU_DEP_1) | instskip(SKIP_2) | instid1(SALU_CYCLE_1)
	v_cmp_gt_i64_e32 vcc_lo, s[8:9], v[6:7]
	v_cmp_gt_u32_e64 s2, 0x10000, v6
	s_and_b32 s7, s2, vcc_lo
	s_and_saveexec_b32 s2, s7
	s_cbranch_execz .LBB127_6
; %bb.5:                                ;   in Loop: Header=BB127_4 Depth=1
	v_lshl_add_u64 v[8:9], v[6:7], 1, s[4:5]
	global_load_u16 v1, v[8:9], off
	s_wait_loadcnt 0x0
	v_lshlrev_b32_e32 v1, 16, v1
	s_delay_alu instid0(VALU_DEP_1) | instskip(SKIP_2) | instid1(SALU_CYCLE_1)
	v_cmp_u_f32_e32 vcc_lo, v1, v1
	v_cmp_lt_f32_e64 s7, v2, |v1|
	s_or_b32 s7, vcc_lo, s7
	v_cndmask_b32_e64 v2, v2, |v1|, s7
.LBB127_6:                              ;   in Loop: Header=BB127_4 Depth=1
	s_or_b32 exec_lo, exec_lo, s2
	v_add_nc_u32_e32 v6, s12, v16
	s_delay_alu instid0(VALU_DEP_1) | instskip(SKIP_2) | instid1(SALU_CYCLE_1)
	v_cmp_gt_i64_e32 vcc_lo, s[8:9], v[6:7]
	v_cmp_gt_u32_e64 s2, 0x10000, v6
	s_and_b32 s7, s2, vcc_lo
	s_and_saveexec_b32 s2, s7
	s_cbranch_execz .LBB127_8
; %bb.7:                                ;   in Loop: Header=BB127_4 Depth=1
	v_lshl_add_u64 v[8:9], v[6:7], 1, s[4:5]
	global_load_u16 v1, v[8:9], off
	s_wait_loadcnt 0x0
	v_lshlrev_b32_e32 v1, 16, v1
	s_delay_alu instid0(VALU_DEP_1) | instskip(SKIP_2) | instid1(SALU_CYCLE_1)
	v_cmp_u_f32_e32 vcc_lo, v1, v1
	v_cmp_lt_f32_e64 s7, v3, |v1|
	s_or_b32 s7, vcc_lo, s7
	v_cndmask_b32_e64 v3, v3, |v1|, s7
.LBB127_8:                              ;   in Loop: Header=BB127_4 Depth=1
	s_or_b32 exec_lo, exec_lo, s2
	v_add_nc_u32_e32 v6, s12, v14
	s_delay_alu instid0(VALU_DEP_1) | instskip(SKIP_2) | instid1(SALU_CYCLE_1)
	v_cmp_gt_i64_e32 vcc_lo, s[8:9], v[6:7]
	v_cmp_gt_u32_e64 s2, 0x10000, v6
	s_and_b32 s7, s2, vcc_lo
	s_and_saveexec_b32 s2, s7
	s_cbranch_execz .LBB127_10
; %bb.9:                                ;   in Loop: Header=BB127_4 Depth=1
	v_lshl_add_u64 v[8:9], v[6:7], 1, s[4:5]
	global_load_u16 v1, v[8:9], off
	s_wait_loadcnt 0x0
	v_lshlrev_b32_e32 v1, 16, v1
	s_delay_alu instid0(VALU_DEP_1) | instskip(SKIP_2) | instid1(SALU_CYCLE_1)
	v_cmp_u_f32_e32 vcc_lo, v1, v1
	v_cmp_lt_f32_e64 s7, v4, |v1|
	s_or_b32 s7, vcc_lo, s7
	v_cndmask_b32_e64 v4, v4, |v1|, s7
.LBB127_10:                             ;   in Loop: Header=BB127_4 Depth=1
	s_or_b32 exec_lo, exec_lo, s2
	v_add_nc_u32_e32 v6, s12, v12
	s_delay_alu instid0(VALU_DEP_1) | instskip(SKIP_2) | instid1(SALU_CYCLE_1)
	v_cmp_gt_i64_e32 vcc_lo, s[8:9], v[6:7]
	v_cmp_gt_u32_e64 s2, 0x10000, v6
	s_and_b32 s7, s2, vcc_lo
	s_and_saveexec_b32 s2, s7
	s_cbranch_execz .LBB127_3
; %bb.11:                               ;   in Loop: Header=BB127_4 Depth=1
	v_lshl_add_u64 v[8:9], v[6:7], 1, s[4:5]
	global_load_u16 v1, v[8:9], off
	s_wait_loadcnt 0x0
	v_lshlrev_b32_e32 v1, 16, v1
	s_delay_alu instid0(VALU_DEP_1) | instskip(SKIP_2) | instid1(SALU_CYCLE_1)
	v_cmp_u_f32_e32 vcc_lo, v1, v1
	v_cmp_lt_f32_e64 s7, v5, |v1|
	s_or_b32 s7, vcc_lo, s7
	v_cndmask_b32_e64 v5, v5, |v1|, s7
	s_branch .LBB127_3
.LBB127_12:
	s_mov_b32 s3, -1
                                        ; implicit-def: $vgpr2_vgpr3_vgpr4_vgpr5
.LBB127_13:
	s_delay_alu instid0(SALU_CYCLE_1)
	s_and_not1_b32 vcc_lo, exec_lo, s3
	s_cbranch_vccnz .LBB127_19
.LBB127_14:
	v_min_i64 v[8:9], 0x10000, s[8:9]
	v_dual_mov_b32 v3, 0 :: v_dual_lshlrev_b32 v2, 2, v0
	s_mov_b32 s9, 0
	s_delay_alu instid0(VALU_DEP_1) | instskip(NEXT) | instid1(VALU_DEP_2)
	v_dual_mov_b32 v5, v3 :: v_dual_mov_b32 v4, v3
	v_cmp_lt_i64_e32 vcc_lo, v[2:3], v[8:9]
	v_mov_b32_e32 v2, v3
	s_and_saveexec_b32 s7, vcc_lo
	s_cbranch_execz .LBB127_18
; %bb.15:
	s_load_b32 s2, s[0:1], 0xd4c
	v_dual_mov_b32 v1, v3 :: v_dual_lshlrev_b32 v2, 3, v0
	v_dual_mov_b32 v5, 0 :: v_dual_mov_b32 v6, 0
	v_mov_b32_e32 v7, 0
	s_delay_alu instid0(VALU_DEP_3) | instskip(NEXT) | instid1(VALU_DEP_4)
	v_add_nc_u64_e32 v[10:11], s[4:5], v[2:3]
	v_mov_b64_e32 v[12:13], v[0:1]
	s_mov_b32 s11, s9
	s_mov_b32 s12, s9
	s_wait_kmcnt 0x0
	s_and_b32 s8, s2, 0xffff
	s_delay_alu instid0(SALU_CYCLE_1)
	s_lshl_b32 s10, s8, 3
.LBB127_16:                             ; =>This Inner Loop Header: Depth=1
	global_load_b64 v[16:17], v[10:11], off
	v_add_nc_u64_e32 v[12:13], s[8:9], v[12:13]
	s_wait_xcnt 0x0
	v_add_nc_u64_e32 v[10:11], s[10:11], v[10:11]
	s_delay_alu instid0(VALU_DEP_2) | instskip(NEXT) | instid1(VALU_DEP_1)
	v_lshlrev_b64_e32 v[18:19], 2, v[12:13]
	v_cmp_ge_i64_e32 vcc_lo, v[18:19], v[8:9]
	s_wait_loadcnt 0x0
	v_and_b32_e32 v2, 0xffff0000, v17
	v_alignbit_b32 v1, v17, v16, 16
	v_and_b32_e32 v4, 0xffff0000, v16
	v_lshlrev_b32_e32 v14, 16, v16
	s_delay_alu instid0(VALU_DEP_4)
	v_cmp_u_f32_e64 s2, v2, v2
	v_cmp_lt_f32_e64 s13, v7, |v2|
	v_and_b32_e32 v1, 0xffff0000, v1
	v_cmp_u_f32_e64 s3, v4, v4
	v_cmp_lt_f32_e64 s14, v5, |v4|
	v_cmp_u_f32_e64 s4, v14, v14
	v_cmp_lt_f32_e64 s15, v3, |v14|
	s_or_b32 s2, s2, s13
	v_cmp_u_f32_e64 s5, v1, v1
	v_cmp_lt_f32_e64 s16, v6, |v1|
	v_cndmask_b32_e64 v7, v7, |v2|, s2
	s_or_b32 s2, s3, s14
	s_delay_alu instid0(SALU_CYCLE_1) | instskip(SKIP_1) | instid1(SALU_CYCLE_1)
	v_cndmask_b32_e64 v5, v5, |v4|, s2
	s_or_b32 s2, s4, s15
	v_cndmask_b32_e64 v3, v3, |v14|, s2
	s_or_b32 s2, s5, s16
	s_or_b32 s12, vcc_lo, s12
	v_cndmask_b32_e64 v6, v6, |v1|, s2
	s_and_not1_b32 exec_lo, exec_lo, s12
	s_cbranch_execnz .LBB127_16
; %bb.17:
	s_or_b32 exec_lo, exec_lo, s12
	v_mov_b32_e32 v4, v3
	s_delay_alu instid0(VALU_DEP_1)
	v_mov_b64_e32 v[2:3], v[4:5]
	v_mov_b64_e32 v[4:5], v[6:7]
.LBB127_18:
	s_or_b32 exec_lo, exec_lo, s7
.LBB127_19:
	s_delay_alu instid0(VALU_DEP_1)
	v_cmp_nge_f32_e32 vcc_lo, 0, v2
	v_mbcnt_lo_u32_b32 v6, -1, 0
	s_barrier_signal -1
	s_barrier_wait -1
	v_cndmask_b32_e32 v1, 0, v2, vcc_lo
	v_cmp_u_f32_e32 vcc_lo, v3, v3
	v_cmp_ne_u32_e64 s3, 31, v6
	s_delay_alu instid0(VALU_DEP_3) | instskip(NEXT) | instid1(VALU_DEP_2)
	v_cmp_lt_f32_e64 s2, v1, v3
	v_add_co_ci_u32_e64 v8, null, 0, v6, s3
	s_mov_b32 s3, exec_lo
	s_or_b32 vcc_lo, vcc_lo, s2
	v_cndmask_b32_e32 v1, v1, v3, vcc_lo
	v_cmp_u_f32_e32 vcc_lo, v4, v4
	s_delay_alu instid0(VALU_DEP_2) | instskip(SKIP_4) | instid1(VALU_DEP_3)
	v_cmp_lt_f32_e64 s2, v1, v4
	s_or_b32 vcc_lo, vcc_lo, s2
	v_cndmask_b32_e32 v2, v1, v4, vcc_lo
	v_cmp_u_f32_e32 vcc_lo, v5, v5
	v_lshl_or_b32 v1, v6, 2, 64
	v_cmp_lt_f32_e64 s2, v2, v5
	s_or_b32 vcc_lo, vcc_lo, s2
	v_cndmask_b32_e32 v3, v2, v5, vcc_lo
	v_cmp_gt_u32_e32 vcc_lo, 24, v6
	ds_bpermute_b32 v4, v1, v3
	v_cndmask_b32_e64 v2, 0, 8, vcc_lo
	s_delay_alu instid0(VALU_DEP_1)
	v_add_lshl_u32 v2, v2, v6, 2
	s_wait_dscnt 0x0
	v_cmp_u_f32_e32 vcc_lo, v4, v4
	v_cmp_lt_f32_e64 s2, v3, v4
	s_or_b32 vcc_lo, vcc_lo, s2
	v_cndmask_b32_e32 v4, v3, v4, vcc_lo
	v_cmp_gt_u32_e32 vcc_lo, 28, v6
	ds_bpermute_b32 v5, v2, v4
	v_cndmask_b32_e64 v3, 0, 4, vcc_lo
	s_delay_alu instid0(VALU_DEP_1)
	v_add_lshl_u32 v3, v3, v6, 2
	s_wait_dscnt 0x0
	v_cmp_u_f32_e32 vcc_lo, v5, v5
	;; [unrolled: 10-line block ×3, first 2 shown]
	v_cmp_lt_f32_e64 s2, v5, v7
	s_or_b32 vcc_lo, vcc_lo, s2
	v_cndmask_b32_e32 v5, v5, v7, vcc_lo
	ds_bpermute_b32 v7, v4, v5
	s_wait_dscnt 0x0
	v_cmp_u_f32_e32 vcc_lo, v7, v7
	v_cmp_lt_f32_e64 s2, v5, v7
	s_or_b32 vcc_lo, vcc_lo, s2
	v_dual_cndmask_b32 v6, v5, v7 :: v_dual_lshlrev_b32 v5, 2, v8
	v_and_b32_e32 v7, 31, v0
	ds_bpermute_b32 v8, v5, v6
	v_cmpx_eq_u32_e32 0, v7
	s_cbranch_execz .LBB127_21
; %bb.20:
	s_wait_dscnt 0x0
	v_cmp_u_f32_e32 vcc_lo, v8, v8
	v_cmp_lt_f32_e64 s2, v6, v8
	v_lshrrev_b32_e32 v9, 3, v0
	s_or_b32 vcc_lo, vcc_lo, s2
	v_cndmask_b32_e32 v6, v6, v8, vcc_lo
	ds_store_b32 v9, v6
.LBB127_21:
	s_or_b32 exec_lo, exec_lo, s3
	s_wait_dscnt 0x0
	s_barrier_signal -1
	s_barrier_wait -1
	s_load_b32 s2, s[0:1], 0xd4c
	v_mov_b32_e32 v6, 0xff7fffff
	s_wait_kmcnt 0x0
	s_bfe_u32 s2, s2, 0xb0005
	s_delay_alu instid0(SALU_CYCLE_1)
	v_cmp_gt_u32_e32 vcc_lo, s2, v0
	s_and_saveexec_b32 s2, vcc_lo
; %bb.22:
	v_lshlrev_b32_e32 v6, 2, v7
	ds_load_b32 v6, v6
; %bb.23:
	s_or_b32 exec_lo, exec_lo, s2
	s_delay_alu instid0(SALU_CYCLE_1)
	s_mov_b32 s3, exec_lo
	v_cmpx_gt_u32_e32 32, v0
	s_cbranch_execz .LBB127_25
; %bb.24:
	s_wait_dscnt 0x0
	ds_bpermute_b32 v1, v1, v6
	s_wait_dscnt 0x0
	v_cmp_u_f32_e32 vcc_lo, v1, v1
	v_cmp_lt_f32_e64 s2, v6, v1
	s_or_b32 vcc_lo, vcc_lo, s2
	v_cndmask_b32_e32 v1, v6, v1, vcc_lo
	ds_bpermute_b32 v2, v2, v1
	s_wait_dscnt 0x0
	v_cmp_u_f32_e32 vcc_lo, v2, v2
	v_cmp_lt_f32_e64 s2, v1, v2
	s_or_b32 vcc_lo, vcc_lo, s2
	v_cndmask_b32_e32 v1, v1, v2, vcc_lo
	ds_bpermute_b32 v2, v3, v1
	s_wait_dscnt 0x0
	v_cmp_u_f32_e32 vcc_lo, v2, v2
	v_cmp_lt_f32_e64 s2, v1, v2
	s_or_b32 vcc_lo, vcc_lo, s2
	v_cndmask_b32_e32 v1, v1, v2, vcc_lo
	ds_bpermute_b32 v2, v4, v1
	s_wait_dscnt 0x0
	v_cmp_u_f32_e32 vcc_lo, v2, v2
	v_cmp_lt_f32_e64 s2, v1, v2
	s_or_b32 vcc_lo, vcc_lo, s2
	v_cndmask_b32_e32 v1, v1, v2, vcc_lo
	ds_bpermute_b32 v2, v5, v1
	s_wait_dscnt 0x0
	v_cmp_u_f32_e32 vcc_lo, v2, v2
	v_cmp_lt_f32_e64 s2, v1, v2
	s_or_b32 vcc_lo, vcc_lo, s2
	v_cndmask_b32_e32 v6, v1, v2, vcc_lo
.LBB127_25:
	s_or_b32 exec_lo, exec_lo, s3
	s_delay_alu instid0(SALU_CYCLE_1)
	s_mov_b32 s2, exec_lo
	v_cmpx_eq_u32_e32 0, v0
	s_cbranch_execz .LBB127_27
; %bb.26:
	s_clause 0x1
	s_load_b32 s2, s[0:1], 0xd20
	s_load_b96 s[8:10], s[0:1], 0xd30
	v_and_b32_e32 v0, 0xff, v15
	s_wait_kmcnt 0x0
	s_delay_alu instid0(VALU_DEP_1) | instskip(NEXT) | instid1(VALU_DEP_1)
	v_add_nc_u32_e32 v0, s2, v0
	v_mul_lo_u32 v0, v0, s10
	s_delay_alu instid0(VALU_DEP_1)
	v_add_nc_u32_e32 v0, s6, v0
	s_wait_dscnt 0x0
	global_store_b32 v0, v6, s[8:9] scale_offset
.LBB127_27:
	s_endpgm
.LBB127_28:
	v_mov_b32_e32 v2, 0
	s_delay_alu instid0(VALU_DEP_1)
	v_dual_mov_b32 v3, v2 :: v_dual_mov_b32 v4, v2
	v_mov_b32_e32 v5, v2
	s_and_not1_b32 vcc_lo, exec_lo, s3
	s_cbranch_vccz .LBB127_14
	s_branch .LBB127_19
	.section	.rodata,"a",@progbits
	.p2align	6, 0x0
	.amdhsa_kernel _ZN2at6native12_GLOBAL__N_125multi_tensor_apply_kernelINS1_18TensorListMetadataILi1EEENS0_13LpNormFunctorIN3c108BFloat16ELNS0_8NormTypeE3EfLi1ELi1ELi0EEEJPfiEEEvT_T0_DpT1_
		.amdhsa_group_segment_fixed_size 2048
		.amdhsa_private_segment_fixed_size 0
		.amdhsa_kernarg_size 3648
		.amdhsa_user_sgpr_count 2
		.amdhsa_user_sgpr_dispatch_ptr 0
		.amdhsa_user_sgpr_queue_ptr 0
		.amdhsa_user_sgpr_kernarg_segment_ptr 1
		.amdhsa_user_sgpr_dispatch_id 0
		.amdhsa_user_sgpr_kernarg_preload_length 0
		.amdhsa_user_sgpr_kernarg_preload_offset 0
		.amdhsa_user_sgpr_private_segment_size 0
		.amdhsa_wavefront_size32 1
		.amdhsa_uses_dynamic_stack 0
		.amdhsa_enable_private_segment 0
		.amdhsa_system_sgpr_workgroup_id_x 1
		.amdhsa_system_sgpr_workgroup_id_y 0
		.amdhsa_system_sgpr_workgroup_id_z 0
		.amdhsa_system_sgpr_workgroup_info 0
		.amdhsa_system_vgpr_workitem_id 0
		.amdhsa_next_free_vgpr 20
		.amdhsa_next_free_sgpr 17
		.amdhsa_named_barrier_count 0
		.amdhsa_reserve_vcc 1
		.amdhsa_float_round_mode_32 0
		.amdhsa_float_round_mode_16_64 0
		.amdhsa_float_denorm_mode_32 3
		.amdhsa_float_denorm_mode_16_64 3
		.amdhsa_fp16_overflow 0
		.amdhsa_memory_ordered 1
		.amdhsa_forward_progress 1
		.amdhsa_inst_pref_size 15
		.amdhsa_round_robin_scheduling 0
		.amdhsa_exception_fp_ieee_invalid_op 0
		.amdhsa_exception_fp_denorm_src 0
		.amdhsa_exception_fp_ieee_div_zero 0
		.amdhsa_exception_fp_ieee_overflow 0
		.amdhsa_exception_fp_ieee_underflow 0
		.amdhsa_exception_fp_ieee_inexact 0
		.amdhsa_exception_int_div_zero 0
	.end_amdhsa_kernel
	.section	.text._ZN2at6native12_GLOBAL__N_125multi_tensor_apply_kernelINS1_18TensorListMetadataILi1EEENS0_13LpNormFunctorIN3c108BFloat16ELNS0_8NormTypeE3EfLi1ELi1ELi0EEEJPfiEEEvT_T0_DpT1_,"axG",@progbits,_ZN2at6native12_GLOBAL__N_125multi_tensor_apply_kernelINS1_18TensorListMetadataILi1EEENS0_13LpNormFunctorIN3c108BFloat16ELNS0_8NormTypeE3EfLi1ELi1ELi0EEEJPfiEEEvT_T0_DpT1_,comdat
.Lfunc_end127:
	.size	_ZN2at6native12_GLOBAL__N_125multi_tensor_apply_kernelINS1_18TensorListMetadataILi1EEENS0_13LpNormFunctorIN3c108BFloat16ELNS0_8NormTypeE3EfLi1ELi1ELi0EEEJPfiEEEvT_T0_DpT1_, .Lfunc_end127-_ZN2at6native12_GLOBAL__N_125multi_tensor_apply_kernelINS1_18TensorListMetadataILi1EEENS0_13LpNormFunctorIN3c108BFloat16ELNS0_8NormTypeE3EfLi1ELi1ELi0EEEJPfiEEEvT_T0_DpT1_
                                        ; -- End function
	.set _ZN2at6native12_GLOBAL__N_125multi_tensor_apply_kernelINS1_18TensorListMetadataILi1EEENS0_13LpNormFunctorIN3c108BFloat16ELNS0_8NormTypeE3EfLi1ELi1ELi0EEEJPfiEEEvT_T0_DpT1_.num_vgpr, 20
	.set _ZN2at6native12_GLOBAL__N_125multi_tensor_apply_kernelINS1_18TensorListMetadataILi1EEENS0_13LpNormFunctorIN3c108BFloat16ELNS0_8NormTypeE3EfLi1ELi1ELi0EEEJPfiEEEvT_T0_DpT1_.num_agpr, 0
	.set _ZN2at6native12_GLOBAL__N_125multi_tensor_apply_kernelINS1_18TensorListMetadataILi1EEENS0_13LpNormFunctorIN3c108BFloat16ELNS0_8NormTypeE3EfLi1ELi1ELi0EEEJPfiEEEvT_T0_DpT1_.numbered_sgpr, 17
	.set _ZN2at6native12_GLOBAL__N_125multi_tensor_apply_kernelINS1_18TensorListMetadataILi1EEENS0_13LpNormFunctorIN3c108BFloat16ELNS0_8NormTypeE3EfLi1ELi1ELi0EEEJPfiEEEvT_T0_DpT1_.num_named_barrier, 0
	.set _ZN2at6native12_GLOBAL__N_125multi_tensor_apply_kernelINS1_18TensorListMetadataILi1EEENS0_13LpNormFunctorIN3c108BFloat16ELNS0_8NormTypeE3EfLi1ELi1ELi0EEEJPfiEEEvT_T0_DpT1_.private_seg_size, 0
	.set _ZN2at6native12_GLOBAL__N_125multi_tensor_apply_kernelINS1_18TensorListMetadataILi1EEENS0_13LpNormFunctorIN3c108BFloat16ELNS0_8NormTypeE3EfLi1ELi1ELi0EEEJPfiEEEvT_T0_DpT1_.uses_vcc, 1
	.set _ZN2at6native12_GLOBAL__N_125multi_tensor_apply_kernelINS1_18TensorListMetadataILi1EEENS0_13LpNormFunctorIN3c108BFloat16ELNS0_8NormTypeE3EfLi1ELi1ELi0EEEJPfiEEEvT_T0_DpT1_.uses_flat_scratch, 0
	.set _ZN2at6native12_GLOBAL__N_125multi_tensor_apply_kernelINS1_18TensorListMetadataILi1EEENS0_13LpNormFunctorIN3c108BFloat16ELNS0_8NormTypeE3EfLi1ELi1ELi0EEEJPfiEEEvT_T0_DpT1_.has_dyn_sized_stack, 0
	.set _ZN2at6native12_GLOBAL__N_125multi_tensor_apply_kernelINS1_18TensorListMetadataILi1EEENS0_13LpNormFunctorIN3c108BFloat16ELNS0_8NormTypeE3EfLi1ELi1ELi0EEEJPfiEEEvT_T0_DpT1_.has_recursion, 0
	.set _ZN2at6native12_GLOBAL__N_125multi_tensor_apply_kernelINS1_18TensorListMetadataILi1EEENS0_13LpNormFunctorIN3c108BFloat16ELNS0_8NormTypeE3EfLi1ELi1ELi0EEEJPfiEEEvT_T0_DpT1_.has_indirect_call, 0
	.section	.AMDGPU.csdata,"",@progbits
; Kernel info:
; codeLenInByte = 1828
; TotalNumSgprs: 19
; NumVgprs: 20
; ScratchSize: 0
; MemoryBound: 0
; FloatMode: 240
; IeeeMode: 1
; LDSByteSize: 2048 bytes/workgroup (compile time only)
; SGPRBlocks: 0
; VGPRBlocks: 1
; NumSGPRsForWavesPerEU: 19
; NumVGPRsForWavesPerEU: 20
; NamedBarCnt: 0
; Occupancy: 16
; WaveLimiterHint : 0
; COMPUTE_PGM_RSRC2:SCRATCH_EN: 0
; COMPUTE_PGM_RSRC2:USER_SGPR: 2
; COMPUTE_PGM_RSRC2:TRAP_HANDLER: 0
; COMPUTE_PGM_RSRC2:TGID_X_EN: 1
; COMPUTE_PGM_RSRC2:TGID_Y_EN: 0
; COMPUTE_PGM_RSRC2:TGID_Z_EN: 0
; COMPUTE_PGM_RSRC2:TIDIG_COMP_CNT: 0
	.section	.text._ZN2at6native14lpnorm_cleanupIN3c108BFloat16ELNS0_8NormTypeE0EfLb1EfEEvPKT3_NS0_19TensorListAddressesEi,"axG",@progbits,_ZN2at6native14lpnorm_cleanupIN3c108BFloat16ELNS0_8NormTypeE0EfLb1EfEEvPKT3_NS0_19TensorListAddressesEi,comdat
	.protected	_ZN2at6native14lpnorm_cleanupIN3c108BFloat16ELNS0_8NormTypeE0EfLb1EfEEvPKT3_NS0_19TensorListAddressesEi ; -- Begin function _ZN2at6native14lpnorm_cleanupIN3c108BFloat16ELNS0_8NormTypeE0EfLb1EfEEvPKT3_NS0_19TensorListAddressesEi
	.globl	_ZN2at6native14lpnorm_cleanupIN3c108BFloat16ELNS0_8NormTypeE0EfLb1EfEEvPKT3_NS0_19TensorListAddressesEi
	.p2align	8
	.type	_ZN2at6native14lpnorm_cleanupIN3c108BFloat16ELNS0_8NormTypeE0EfLb1EfEEvPKT3_NS0_19TensorListAddressesEi,@function
_ZN2at6native14lpnorm_cleanupIN3c108BFloat16ELNS0_8NormTypeE0EfLb1EfEEvPKT3_NS0_19TensorListAddressesEi: ; @_ZN2at6native14lpnorm_cleanupIN3c108BFloat16ELNS0_8NormTypeE0EfLb1EfEEvPKT3_NS0_19TensorListAddressesEi
; %bb.0:
	s_load_b32 s2, s[0:1], 0xc88
	s_bfe_u32 s3, ttmp6, 0x4000c
	s_and_b32 s4, ttmp6, 15
	s_add_co_i32 s3, s3, 1
	s_getreg_b32 s5, hwreg(HW_REG_IB_STS2, 6, 4)
	s_mul_i32 s3, ttmp9, s3
	v_mov_b32_e32 v1, 0
	s_add_co_i32 s4, s4, s3
	s_cmp_eq_u32 s5, 0
	s_mov_b32 s5, 0
	s_cselect_b32 s8, ttmp9, s4
	s_mov_b32 s9, exec_lo
	s_wait_kmcnt 0x0
	v_cmpx_gt_u32_e64 s2, v0
	s_cbranch_execz .LBB128_4
; %bb.1:
	s_clause 0x1
	s_load_b64 s[6:7], s[0:1], 0x0
	s_load_b32 s4, s[0:1], 0xc9c
	v_dual_mov_b32 v1, 0 :: v_dual_lshlrev_b32 v2, 2, v0
	s_mul_i32 s10, s2, s8
	s_mov_b32 s11, s5
	s_ashr_i32 s3, s2, 31
	s_delay_alu instid0(VALU_DEP_1)
	v_mov_b32_e32 v3, v1
	s_lshl_b64 s[10:11], s[10:11], 2
	v_mov_b64_e32 v[4:5], v[0:1]
	s_wait_kmcnt 0x0
	s_add_nc_u64 s[6:7], s[6:7], s[10:11]
	s_and_b32 s4, s4, 0xffff
	v_add_nc_u64_e32 v[2:3], s[6:7], v[2:3]
	s_lshl_b32 s6, s4, 2
	s_mov_b32 s7, s5
	s_mov_b32 s10, s5
.LBB128_2:                              ; =>This Inner Loop Header: Depth=1
	global_load_b32 v6, v[2:3], off
	v_add_nc_u64_e32 v[4:5], s[4:5], v[4:5]
	s_wait_xcnt 0x0
	v_add_nc_u64_e32 v[2:3], s[6:7], v[2:3]
	s_delay_alu instid0(VALU_DEP_2)
	v_cmp_le_u64_e32 vcc_lo, s[2:3], v[4:5]
	s_or_b32 s10, vcc_lo, s10
	s_wait_loadcnt 0x0
	v_add_f32_e32 v1, v1, v6
	s_and_not1_b32 exec_lo, exec_lo, s10
	s_cbranch_execnz .LBB128_2
; %bb.3:
	s_or_b32 exec_lo, exec_lo, s10
.LBB128_4:
	s_delay_alu instid0(SALU_CYCLE_1) | instskip(SKIP_4) | instid1(VALU_DEP_1)
	s_or_b32 exec_lo, exec_lo, s9
	v_mbcnt_lo_u32_b32 v5, -1, 0
	s_mov_b32 s2, exec_lo
	s_barrier_signal -1
	s_barrier_wait -1
	v_lshl_or_b32 v2, v5, 2, 64
	v_cmp_gt_u32_e32 vcc_lo, 24, v5
	ds_bpermute_b32 v4, v2, v1
	v_cndmask_b32_e64 v3, 0, 8, vcc_lo
	v_cmp_gt_u32_e32 vcc_lo, 28, v5
	s_delay_alu instid0(VALU_DEP_2)
	v_add_lshl_u32 v3, v3, v5, 2
	s_wait_dscnt 0x0
	v_add_f32_e32 v4, v1, v4
	v_cndmask_b32_e64 v1, 0, 4, vcc_lo
	v_cmp_gt_u32_e32 vcc_lo, 30, v5
	ds_bpermute_b32 v6, v3, v4
	v_add_lshl_u32 v1, v1, v5, 2
	s_wait_dscnt 0x0
	v_add_f32_e32 v6, v4, v6
	v_cndmask_b32_e64 v4, 0, 2, vcc_lo
	v_cmp_ne_u32_e32 vcc_lo, 31, v5
	s_delay_alu instid0(VALU_DEP_2) | instskip(SKIP_1) | instid1(VALU_DEP_1)
	v_add_lshl_u32 v4, v4, v5, 2
	v_add_co_ci_u32_e64 v5, null, 0, v5, vcc_lo
	v_lshlrev_b32_e32 v5, 2, v5
	ds_bpermute_b32 v7, v1, v6
	s_wait_dscnt 0x0
	v_add_f32_e32 v6, v6, v7
	ds_bpermute_b32 v7, v4, v6
	s_wait_dscnt 0x0
	v_dual_add_f32 v7, v6, v7 :: v_dual_bitop2_b32 v6, 31, v0 bitop3:0x40
	ds_bpermute_b32 v8, v5, v7
	v_cmpx_eq_u32_e32 0, v6
	s_cbranch_execz .LBB128_6
; %bb.5:
	s_wait_dscnt 0x0
	v_add_f32_e32 v7, v7, v8
	v_lshrrev_b32_e32 v8, 3, v0
	ds_store_b32 v8, v7
.LBB128_6:
	s_or_b32 exec_lo, exec_lo, s2
	s_wait_dscnt 0x0
	s_barrier_signal -1
	s_barrier_wait -1
	s_load_b32 s2, s[0:1], 0xc9c
	v_mov_b32_e32 v7, 0
	s_wait_kmcnt 0x0
	s_bfe_u32 s2, s2, 0xb0005
	s_delay_alu instid0(SALU_CYCLE_1)
	v_cmp_gt_u32_e32 vcc_lo, s2, v0
	s_and_saveexec_b32 s2, vcc_lo
; %bb.7:
	v_lshlrev_b32_e32 v6, 2, v6
	ds_load_b32 v7, v6
; %bb.8:
	s_or_b32 exec_lo, exec_lo, s2
	s_delay_alu instid0(SALU_CYCLE_1)
	s_mov_b32 s2, exec_lo
	v_cmpx_gt_u32_e32 32, v0
	s_cbranch_execz .LBB128_10
; %bb.9:
	s_wait_dscnt 0x0
	ds_bpermute_b32 v2, v2, v7
	s_wait_dscnt 0x0
	v_add_f32_e32 v2, v7, v2
	ds_bpermute_b32 v3, v3, v2
	s_wait_dscnt 0x0
	v_add_f32_e32 v2, v2, v3
	;; [unrolled: 3-line block ×5, first 2 shown]
.LBB128_10:
	s_or_b32 exec_lo, exec_lo, s2
	s_delay_alu instid0(SALU_CYCLE_1)
	s_mov_b32 s2, exec_lo
	v_cmpx_eq_u32_e32 0, v0
	s_cbranch_execz .LBB128_12
; %bb.11:
	s_load_b64 s[0:1], s[0:1], s8 offset:0x8 scale_offset
	v_mov_b32_e32 v0, 0
	s_wait_dscnt 0x0
	s_wait_kmcnt 0x0
	global_store_b32 v0, v7, s[0:1]
.LBB128_12:
	s_endpgm
	.section	.rodata,"a",@progbits
	.p2align	6, 0x0
	.amdhsa_kernel _ZN2at6native14lpnorm_cleanupIN3c108BFloat16ELNS0_8NormTypeE0EfLb1EfEEvPKT3_NS0_19TensorListAddressesEi
		.amdhsa_group_segment_fixed_size 2048
		.amdhsa_private_segment_fixed_size 0
		.amdhsa_kernarg_size 3472
		.amdhsa_user_sgpr_count 2
		.amdhsa_user_sgpr_dispatch_ptr 0
		.amdhsa_user_sgpr_queue_ptr 0
		.amdhsa_user_sgpr_kernarg_segment_ptr 1
		.amdhsa_user_sgpr_dispatch_id 0
		.amdhsa_user_sgpr_kernarg_preload_length 0
		.amdhsa_user_sgpr_kernarg_preload_offset 0
		.amdhsa_user_sgpr_private_segment_size 0
		.amdhsa_wavefront_size32 1
		.amdhsa_uses_dynamic_stack 0
		.amdhsa_enable_private_segment 0
		.amdhsa_system_sgpr_workgroup_id_x 1
		.amdhsa_system_sgpr_workgroup_id_y 0
		.amdhsa_system_sgpr_workgroup_id_z 0
		.amdhsa_system_sgpr_workgroup_info 0
		.amdhsa_system_vgpr_workitem_id 0
		.amdhsa_next_free_vgpr 9
		.amdhsa_next_free_sgpr 12
		.amdhsa_named_barrier_count 0
		.amdhsa_reserve_vcc 1
		.amdhsa_float_round_mode_32 0
		.amdhsa_float_round_mode_16_64 0
		.amdhsa_float_denorm_mode_32 3
		.amdhsa_float_denorm_mode_16_64 3
		.amdhsa_fp16_overflow 0
		.amdhsa_memory_ordered 1
		.amdhsa_forward_progress 1
		.amdhsa_inst_pref_size 6
		.amdhsa_round_robin_scheduling 0
		.amdhsa_exception_fp_ieee_invalid_op 0
		.amdhsa_exception_fp_denorm_src 0
		.amdhsa_exception_fp_ieee_div_zero 0
		.amdhsa_exception_fp_ieee_overflow 0
		.amdhsa_exception_fp_ieee_underflow 0
		.amdhsa_exception_fp_ieee_inexact 0
		.amdhsa_exception_int_div_zero 0
	.end_amdhsa_kernel
	.section	.text._ZN2at6native14lpnorm_cleanupIN3c108BFloat16ELNS0_8NormTypeE0EfLb1EfEEvPKT3_NS0_19TensorListAddressesEi,"axG",@progbits,_ZN2at6native14lpnorm_cleanupIN3c108BFloat16ELNS0_8NormTypeE0EfLb1EfEEvPKT3_NS0_19TensorListAddressesEi,comdat
.Lfunc_end128:
	.size	_ZN2at6native14lpnorm_cleanupIN3c108BFloat16ELNS0_8NormTypeE0EfLb1EfEEvPKT3_NS0_19TensorListAddressesEi, .Lfunc_end128-_ZN2at6native14lpnorm_cleanupIN3c108BFloat16ELNS0_8NormTypeE0EfLb1EfEEvPKT3_NS0_19TensorListAddressesEi
                                        ; -- End function
	.set _ZN2at6native14lpnorm_cleanupIN3c108BFloat16ELNS0_8NormTypeE0EfLb1EfEEvPKT3_NS0_19TensorListAddressesEi.num_vgpr, 9
	.set _ZN2at6native14lpnorm_cleanupIN3c108BFloat16ELNS0_8NormTypeE0EfLb1EfEEvPKT3_NS0_19TensorListAddressesEi.num_agpr, 0
	.set _ZN2at6native14lpnorm_cleanupIN3c108BFloat16ELNS0_8NormTypeE0EfLb1EfEEvPKT3_NS0_19TensorListAddressesEi.numbered_sgpr, 12
	.set _ZN2at6native14lpnorm_cleanupIN3c108BFloat16ELNS0_8NormTypeE0EfLb1EfEEvPKT3_NS0_19TensorListAddressesEi.num_named_barrier, 0
	.set _ZN2at6native14lpnorm_cleanupIN3c108BFloat16ELNS0_8NormTypeE0EfLb1EfEEvPKT3_NS0_19TensorListAddressesEi.private_seg_size, 0
	.set _ZN2at6native14lpnorm_cleanupIN3c108BFloat16ELNS0_8NormTypeE0EfLb1EfEEvPKT3_NS0_19TensorListAddressesEi.uses_vcc, 1
	.set _ZN2at6native14lpnorm_cleanupIN3c108BFloat16ELNS0_8NormTypeE0EfLb1EfEEvPKT3_NS0_19TensorListAddressesEi.uses_flat_scratch, 0
	.set _ZN2at6native14lpnorm_cleanupIN3c108BFloat16ELNS0_8NormTypeE0EfLb1EfEEvPKT3_NS0_19TensorListAddressesEi.has_dyn_sized_stack, 0
	.set _ZN2at6native14lpnorm_cleanupIN3c108BFloat16ELNS0_8NormTypeE0EfLb1EfEEvPKT3_NS0_19TensorListAddressesEi.has_recursion, 0
	.set _ZN2at6native14lpnorm_cleanupIN3c108BFloat16ELNS0_8NormTypeE0EfLb1EfEEvPKT3_NS0_19TensorListAddressesEi.has_indirect_call, 0
	.section	.AMDGPU.csdata,"",@progbits
; Kernel info:
; codeLenInByte = 668
; TotalNumSgprs: 14
; NumVgprs: 9
; ScratchSize: 0
; MemoryBound: 0
; FloatMode: 240
; IeeeMode: 1
; LDSByteSize: 2048 bytes/workgroup (compile time only)
; SGPRBlocks: 0
; VGPRBlocks: 0
; NumSGPRsForWavesPerEU: 14
; NumVGPRsForWavesPerEU: 9
; NamedBarCnt: 0
; Occupancy: 16
; WaveLimiterHint : 0
; COMPUTE_PGM_RSRC2:SCRATCH_EN: 0
; COMPUTE_PGM_RSRC2:USER_SGPR: 2
; COMPUTE_PGM_RSRC2:TRAP_HANDLER: 0
; COMPUTE_PGM_RSRC2:TGID_X_EN: 1
; COMPUTE_PGM_RSRC2:TGID_Y_EN: 0
; COMPUTE_PGM_RSRC2:TGID_Z_EN: 0
; COMPUTE_PGM_RSRC2:TIDIG_COMP_CNT: 0
	.section	.text._ZN2at6native14lpnorm_cleanupIN3c108BFloat16ELNS0_8NormTypeE1EfLb1EfEEvPKT3_NS0_19TensorListAddressesEi,"axG",@progbits,_ZN2at6native14lpnorm_cleanupIN3c108BFloat16ELNS0_8NormTypeE1EfLb1EfEEvPKT3_NS0_19TensorListAddressesEi,comdat
	.protected	_ZN2at6native14lpnorm_cleanupIN3c108BFloat16ELNS0_8NormTypeE1EfLb1EfEEvPKT3_NS0_19TensorListAddressesEi ; -- Begin function _ZN2at6native14lpnorm_cleanupIN3c108BFloat16ELNS0_8NormTypeE1EfLb1EfEEvPKT3_NS0_19TensorListAddressesEi
	.globl	_ZN2at6native14lpnorm_cleanupIN3c108BFloat16ELNS0_8NormTypeE1EfLb1EfEEvPKT3_NS0_19TensorListAddressesEi
	.p2align	8
	.type	_ZN2at6native14lpnorm_cleanupIN3c108BFloat16ELNS0_8NormTypeE1EfLb1EfEEvPKT3_NS0_19TensorListAddressesEi,@function
_ZN2at6native14lpnorm_cleanupIN3c108BFloat16ELNS0_8NormTypeE1EfLb1EfEEvPKT3_NS0_19TensorListAddressesEi: ; @_ZN2at6native14lpnorm_cleanupIN3c108BFloat16ELNS0_8NormTypeE1EfLb1EfEEvPKT3_NS0_19TensorListAddressesEi
; %bb.0:
	s_load_b32 s2, s[0:1], 0xc88
	s_bfe_u32 s3, ttmp6, 0x4000c
	s_and_b32 s4, ttmp6, 15
	s_add_co_i32 s3, s3, 1
	s_getreg_b32 s5, hwreg(HW_REG_IB_STS2, 6, 4)
	s_mul_i32 s3, ttmp9, s3
	v_mov_b32_e32 v1, 0
	s_add_co_i32 s4, s4, s3
	s_cmp_eq_u32 s5, 0
	s_mov_b32 s5, 0
	s_cselect_b32 s8, ttmp9, s4
	s_mov_b32 s9, exec_lo
	s_wait_kmcnt 0x0
	v_cmpx_gt_u32_e64 s2, v0
	s_cbranch_execz .LBB129_4
; %bb.1:
	s_clause 0x1
	s_load_b64 s[6:7], s[0:1], 0x0
	s_load_b32 s4, s[0:1], 0xc9c
	v_dual_mov_b32 v1, 0 :: v_dual_lshlrev_b32 v2, 2, v0
	s_mul_i32 s10, s2, s8
	s_mov_b32 s11, s5
	s_ashr_i32 s3, s2, 31
	s_delay_alu instid0(VALU_DEP_1)
	v_mov_b32_e32 v3, v1
	s_lshl_b64 s[10:11], s[10:11], 2
	v_mov_b64_e32 v[4:5], v[0:1]
	s_wait_kmcnt 0x0
	s_add_nc_u64 s[6:7], s[6:7], s[10:11]
	s_and_b32 s4, s4, 0xffff
	v_add_nc_u64_e32 v[2:3], s[6:7], v[2:3]
	s_lshl_b32 s6, s4, 2
	s_mov_b32 s7, s5
	s_mov_b32 s10, s5
.LBB129_2:                              ; =>This Inner Loop Header: Depth=1
	global_load_b32 v6, v[2:3], off
	v_add_nc_u64_e32 v[4:5], s[4:5], v[4:5]
	s_wait_xcnt 0x0
	v_add_nc_u64_e32 v[2:3], s[6:7], v[2:3]
	s_delay_alu instid0(VALU_DEP_2)
	v_cmp_le_u64_e32 vcc_lo, s[2:3], v[4:5]
	s_or_b32 s10, vcc_lo, s10
	s_wait_loadcnt 0x0
	v_add_f32_e32 v1, v1, v6
	s_and_not1_b32 exec_lo, exec_lo, s10
	s_cbranch_execnz .LBB129_2
; %bb.3:
	s_or_b32 exec_lo, exec_lo, s10
.LBB129_4:
	s_delay_alu instid0(SALU_CYCLE_1) | instskip(SKIP_4) | instid1(VALU_DEP_1)
	s_or_b32 exec_lo, exec_lo, s9
	v_mbcnt_lo_u32_b32 v5, -1, 0
	s_mov_b32 s2, exec_lo
	s_barrier_signal -1
	s_barrier_wait -1
	v_lshl_or_b32 v2, v5, 2, 64
	v_cmp_gt_u32_e32 vcc_lo, 24, v5
	ds_bpermute_b32 v4, v2, v1
	v_cndmask_b32_e64 v3, 0, 8, vcc_lo
	v_cmp_gt_u32_e32 vcc_lo, 28, v5
	s_delay_alu instid0(VALU_DEP_2)
	v_add_lshl_u32 v3, v3, v5, 2
	s_wait_dscnt 0x0
	v_add_f32_e32 v4, v1, v4
	v_cndmask_b32_e64 v1, 0, 4, vcc_lo
	v_cmp_gt_u32_e32 vcc_lo, 30, v5
	ds_bpermute_b32 v6, v3, v4
	v_add_lshl_u32 v1, v1, v5, 2
	s_wait_dscnt 0x0
	v_add_f32_e32 v6, v4, v6
	v_cndmask_b32_e64 v4, 0, 2, vcc_lo
	v_cmp_ne_u32_e32 vcc_lo, 31, v5
	s_delay_alu instid0(VALU_DEP_2) | instskip(SKIP_1) | instid1(VALU_DEP_1)
	v_add_lshl_u32 v4, v4, v5, 2
	v_add_co_ci_u32_e64 v5, null, 0, v5, vcc_lo
	v_lshlrev_b32_e32 v5, 2, v5
	ds_bpermute_b32 v7, v1, v6
	s_wait_dscnt 0x0
	v_add_f32_e32 v6, v6, v7
	ds_bpermute_b32 v7, v4, v6
	s_wait_dscnt 0x0
	v_dual_add_f32 v7, v6, v7 :: v_dual_bitop2_b32 v6, 31, v0 bitop3:0x40
	ds_bpermute_b32 v8, v5, v7
	v_cmpx_eq_u32_e32 0, v6
	s_cbranch_execz .LBB129_6
; %bb.5:
	s_wait_dscnt 0x0
	v_add_f32_e32 v7, v7, v8
	v_lshrrev_b32_e32 v8, 3, v0
	ds_store_b32 v8, v7
.LBB129_6:
	s_or_b32 exec_lo, exec_lo, s2
	s_wait_dscnt 0x0
	s_barrier_signal -1
	s_barrier_wait -1
	s_load_b32 s2, s[0:1], 0xc9c
	v_mov_b32_e32 v7, 0
	s_wait_kmcnt 0x0
	s_bfe_u32 s2, s2, 0xb0005
	s_delay_alu instid0(SALU_CYCLE_1)
	v_cmp_gt_u32_e32 vcc_lo, s2, v0
	s_and_saveexec_b32 s2, vcc_lo
; %bb.7:
	v_lshlrev_b32_e32 v6, 2, v6
	ds_load_b32 v7, v6
; %bb.8:
	s_or_b32 exec_lo, exec_lo, s2
	s_delay_alu instid0(SALU_CYCLE_1)
	s_mov_b32 s2, exec_lo
	v_cmpx_gt_u32_e32 32, v0
	s_cbranch_execz .LBB129_10
; %bb.9:
	s_wait_dscnt 0x0
	ds_bpermute_b32 v2, v2, v7
	s_wait_dscnt 0x0
	v_add_f32_e32 v2, v7, v2
	ds_bpermute_b32 v3, v3, v2
	s_wait_dscnt 0x0
	v_add_f32_e32 v2, v2, v3
	;; [unrolled: 3-line block ×5, first 2 shown]
.LBB129_10:
	s_or_b32 exec_lo, exec_lo, s2
	s_delay_alu instid0(SALU_CYCLE_1)
	s_mov_b32 s2, exec_lo
	v_cmpx_eq_u32_e32 0, v0
	s_cbranch_execz .LBB129_12
; %bb.11:
	s_load_b64 s[0:1], s[0:1], s8 offset:0x8 scale_offset
	v_mov_b32_e32 v0, 0
	s_wait_dscnt 0x0
	s_wait_kmcnt 0x0
	global_store_b32 v0, v7, s[0:1]
.LBB129_12:
	s_endpgm
	.section	.rodata,"a",@progbits
	.p2align	6, 0x0
	.amdhsa_kernel _ZN2at6native14lpnorm_cleanupIN3c108BFloat16ELNS0_8NormTypeE1EfLb1EfEEvPKT3_NS0_19TensorListAddressesEi
		.amdhsa_group_segment_fixed_size 2048
		.amdhsa_private_segment_fixed_size 0
		.amdhsa_kernarg_size 3472
		.amdhsa_user_sgpr_count 2
		.amdhsa_user_sgpr_dispatch_ptr 0
		.amdhsa_user_sgpr_queue_ptr 0
		.amdhsa_user_sgpr_kernarg_segment_ptr 1
		.amdhsa_user_sgpr_dispatch_id 0
		.amdhsa_user_sgpr_kernarg_preload_length 0
		.amdhsa_user_sgpr_kernarg_preload_offset 0
		.amdhsa_user_sgpr_private_segment_size 0
		.amdhsa_wavefront_size32 1
		.amdhsa_uses_dynamic_stack 0
		.amdhsa_enable_private_segment 0
		.amdhsa_system_sgpr_workgroup_id_x 1
		.amdhsa_system_sgpr_workgroup_id_y 0
		.amdhsa_system_sgpr_workgroup_id_z 0
		.amdhsa_system_sgpr_workgroup_info 0
		.amdhsa_system_vgpr_workitem_id 0
		.amdhsa_next_free_vgpr 9
		.amdhsa_next_free_sgpr 12
		.amdhsa_named_barrier_count 0
		.amdhsa_reserve_vcc 1
		.amdhsa_float_round_mode_32 0
		.amdhsa_float_round_mode_16_64 0
		.amdhsa_float_denorm_mode_32 3
		.amdhsa_float_denorm_mode_16_64 3
		.amdhsa_fp16_overflow 0
		.amdhsa_memory_ordered 1
		.amdhsa_forward_progress 1
		.amdhsa_inst_pref_size 6
		.amdhsa_round_robin_scheduling 0
		.amdhsa_exception_fp_ieee_invalid_op 0
		.amdhsa_exception_fp_denorm_src 0
		.amdhsa_exception_fp_ieee_div_zero 0
		.amdhsa_exception_fp_ieee_overflow 0
		.amdhsa_exception_fp_ieee_underflow 0
		.amdhsa_exception_fp_ieee_inexact 0
		.amdhsa_exception_int_div_zero 0
	.end_amdhsa_kernel
	.section	.text._ZN2at6native14lpnorm_cleanupIN3c108BFloat16ELNS0_8NormTypeE1EfLb1EfEEvPKT3_NS0_19TensorListAddressesEi,"axG",@progbits,_ZN2at6native14lpnorm_cleanupIN3c108BFloat16ELNS0_8NormTypeE1EfLb1EfEEvPKT3_NS0_19TensorListAddressesEi,comdat
.Lfunc_end129:
	.size	_ZN2at6native14lpnorm_cleanupIN3c108BFloat16ELNS0_8NormTypeE1EfLb1EfEEvPKT3_NS0_19TensorListAddressesEi, .Lfunc_end129-_ZN2at6native14lpnorm_cleanupIN3c108BFloat16ELNS0_8NormTypeE1EfLb1EfEEvPKT3_NS0_19TensorListAddressesEi
                                        ; -- End function
	.set _ZN2at6native14lpnorm_cleanupIN3c108BFloat16ELNS0_8NormTypeE1EfLb1EfEEvPKT3_NS0_19TensorListAddressesEi.num_vgpr, 9
	.set _ZN2at6native14lpnorm_cleanupIN3c108BFloat16ELNS0_8NormTypeE1EfLb1EfEEvPKT3_NS0_19TensorListAddressesEi.num_agpr, 0
	.set _ZN2at6native14lpnorm_cleanupIN3c108BFloat16ELNS0_8NormTypeE1EfLb1EfEEvPKT3_NS0_19TensorListAddressesEi.numbered_sgpr, 12
	.set _ZN2at6native14lpnorm_cleanupIN3c108BFloat16ELNS0_8NormTypeE1EfLb1EfEEvPKT3_NS0_19TensorListAddressesEi.num_named_barrier, 0
	.set _ZN2at6native14lpnorm_cleanupIN3c108BFloat16ELNS0_8NormTypeE1EfLb1EfEEvPKT3_NS0_19TensorListAddressesEi.private_seg_size, 0
	.set _ZN2at6native14lpnorm_cleanupIN3c108BFloat16ELNS0_8NormTypeE1EfLb1EfEEvPKT3_NS0_19TensorListAddressesEi.uses_vcc, 1
	.set _ZN2at6native14lpnorm_cleanupIN3c108BFloat16ELNS0_8NormTypeE1EfLb1EfEEvPKT3_NS0_19TensorListAddressesEi.uses_flat_scratch, 0
	.set _ZN2at6native14lpnorm_cleanupIN3c108BFloat16ELNS0_8NormTypeE1EfLb1EfEEvPKT3_NS0_19TensorListAddressesEi.has_dyn_sized_stack, 0
	.set _ZN2at6native14lpnorm_cleanupIN3c108BFloat16ELNS0_8NormTypeE1EfLb1EfEEvPKT3_NS0_19TensorListAddressesEi.has_recursion, 0
	.set _ZN2at6native14lpnorm_cleanupIN3c108BFloat16ELNS0_8NormTypeE1EfLb1EfEEvPKT3_NS0_19TensorListAddressesEi.has_indirect_call, 0
	.section	.AMDGPU.csdata,"",@progbits
; Kernel info:
; codeLenInByte = 668
; TotalNumSgprs: 14
; NumVgprs: 9
; ScratchSize: 0
; MemoryBound: 0
; FloatMode: 240
; IeeeMode: 1
; LDSByteSize: 2048 bytes/workgroup (compile time only)
; SGPRBlocks: 0
; VGPRBlocks: 0
; NumSGPRsForWavesPerEU: 14
; NumVGPRsForWavesPerEU: 9
; NamedBarCnt: 0
; Occupancy: 16
; WaveLimiterHint : 0
; COMPUTE_PGM_RSRC2:SCRATCH_EN: 0
; COMPUTE_PGM_RSRC2:USER_SGPR: 2
; COMPUTE_PGM_RSRC2:TRAP_HANDLER: 0
; COMPUTE_PGM_RSRC2:TGID_X_EN: 1
; COMPUTE_PGM_RSRC2:TGID_Y_EN: 0
; COMPUTE_PGM_RSRC2:TGID_Z_EN: 0
; COMPUTE_PGM_RSRC2:TIDIG_COMP_CNT: 0
	.section	.text._ZN2at6native14lpnorm_cleanupIN3c108BFloat16ELNS0_8NormTypeE2EfLb1EfEEvPKT3_NS0_19TensorListAddressesEi,"axG",@progbits,_ZN2at6native14lpnorm_cleanupIN3c108BFloat16ELNS0_8NormTypeE2EfLb1EfEEvPKT3_NS0_19TensorListAddressesEi,comdat
	.protected	_ZN2at6native14lpnorm_cleanupIN3c108BFloat16ELNS0_8NormTypeE2EfLb1EfEEvPKT3_NS0_19TensorListAddressesEi ; -- Begin function _ZN2at6native14lpnorm_cleanupIN3c108BFloat16ELNS0_8NormTypeE2EfLb1EfEEvPKT3_NS0_19TensorListAddressesEi
	.globl	_ZN2at6native14lpnorm_cleanupIN3c108BFloat16ELNS0_8NormTypeE2EfLb1EfEEvPKT3_NS0_19TensorListAddressesEi
	.p2align	8
	.type	_ZN2at6native14lpnorm_cleanupIN3c108BFloat16ELNS0_8NormTypeE2EfLb1EfEEvPKT3_NS0_19TensorListAddressesEi,@function
_ZN2at6native14lpnorm_cleanupIN3c108BFloat16ELNS0_8NormTypeE2EfLb1EfEEvPKT3_NS0_19TensorListAddressesEi: ; @_ZN2at6native14lpnorm_cleanupIN3c108BFloat16ELNS0_8NormTypeE2EfLb1EfEEvPKT3_NS0_19TensorListAddressesEi
; %bb.0:
	s_load_b32 s2, s[0:1], 0xc88
	s_bfe_u32 s3, ttmp6, 0x4000c
	s_and_b32 s4, ttmp6, 15
	s_add_co_i32 s3, s3, 1
	s_getreg_b32 s5, hwreg(HW_REG_IB_STS2, 6, 4)
	s_mul_i32 s3, ttmp9, s3
	v_mov_b32_e32 v1, 0
	s_add_co_i32 s4, s4, s3
	s_cmp_eq_u32 s5, 0
	s_mov_b32 s5, 0
	s_cselect_b32 s8, ttmp9, s4
	s_mov_b32 s9, exec_lo
	s_wait_kmcnt 0x0
	v_cmpx_gt_u32_e64 s2, v0
	s_cbranch_execz .LBB130_4
; %bb.1:
	s_clause 0x1
	s_load_b64 s[6:7], s[0:1], 0x0
	s_load_b32 s4, s[0:1], 0xc9c
	v_dual_mov_b32 v1, 0 :: v_dual_lshlrev_b32 v2, 2, v0
	s_mul_i32 s10, s2, s8
	s_mov_b32 s11, s5
	s_ashr_i32 s3, s2, 31
	s_delay_alu instid0(VALU_DEP_1)
	v_mov_b32_e32 v3, v1
	s_lshl_b64 s[10:11], s[10:11], 2
	v_mov_b64_e32 v[4:5], v[0:1]
	s_wait_kmcnt 0x0
	s_add_nc_u64 s[6:7], s[6:7], s[10:11]
	s_and_b32 s4, s4, 0xffff
	v_add_nc_u64_e32 v[2:3], s[6:7], v[2:3]
	s_lshl_b32 s6, s4, 2
	s_mov_b32 s7, s5
	s_mov_b32 s10, s5
.LBB130_2:                              ; =>This Inner Loop Header: Depth=1
	global_load_b32 v6, v[2:3], off
	v_add_nc_u64_e32 v[4:5], s[4:5], v[4:5]
	s_wait_xcnt 0x0
	v_add_nc_u64_e32 v[2:3], s[6:7], v[2:3]
	s_delay_alu instid0(VALU_DEP_2)
	v_cmp_le_u64_e32 vcc_lo, s[2:3], v[4:5]
	s_or_b32 s10, vcc_lo, s10
	s_wait_loadcnt 0x0
	v_add_f32_e32 v1, v1, v6
	s_and_not1_b32 exec_lo, exec_lo, s10
	s_cbranch_execnz .LBB130_2
; %bb.3:
	s_or_b32 exec_lo, exec_lo, s10
.LBB130_4:
	s_delay_alu instid0(SALU_CYCLE_1) | instskip(SKIP_4) | instid1(VALU_DEP_1)
	s_or_b32 exec_lo, exec_lo, s9
	v_mbcnt_lo_u32_b32 v5, -1, 0
	s_mov_b32 s2, exec_lo
	s_barrier_signal -1
	s_barrier_wait -1
	v_lshl_or_b32 v2, v5, 2, 64
	v_cmp_gt_u32_e32 vcc_lo, 24, v5
	ds_bpermute_b32 v4, v2, v1
	v_cndmask_b32_e64 v3, 0, 8, vcc_lo
	v_cmp_gt_u32_e32 vcc_lo, 28, v5
	s_delay_alu instid0(VALU_DEP_2)
	v_add_lshl_u32 v3, v3, v5, 2
	s_wait_dscnt 0x0
	v_add_f32_e32 v4, v1, v4
	v_cndmask_b32_e64 v1, 0, 4, vcc_lo
	v_cmp_gt_u32_e32 vcc_lo, 30, v5
	ds_bpermute_b32 v6, v3, v4
	v_add_lshl_u32 v1, v1, v5, 2
	s_wait_dscnt 0x0
	v_add_f32_e32 v6, v4, v6
	v_cndmask_b32_e64 v4, 0, 2, vcc_lo
	v_cmp_ne_u32_e32 vcc_lo, 31, v5
	s_delay_alu instid0(VALU_DEP_2) | instskip(SKIP_1) | instid1(VALU_DEP_1)
	v_add_lshl_u32 v4, v4, v5, 2
	v_add_co_ci_u32_e64 v5, null, 0, v5, vcc_lo
	v_lshlrev_b32_e32 v5, 2, v5
	ds_bpermute_b32 v7, v1, v6
	s_wait_dscnt 0x0
	v_add_f32_e32 v6, v6, v7
	ds_bpermute_b32 v7, v4, v6
	s_wait_dscnt 0x0
	v_dual_add_f32 v7, v6, v7 :: v_dual_bitop2_b32 v6, 31, v0 bitop3:0x40
	ds_bpermute_b32 v8, v5, v7
	v_cmpx_eq_u32_e32 0, v6
	s_cbranch_execz .LBB130_6
; %bb.5:
	s_wait_dscnt 0x0
	v_add_f32_e32 v7, v7, v8
	v_lshrrev_b32_e32 v8, 3, v0
	ds_store_b32 v8, v7
.LBB130_6:
	s_or_b32 exec_lo, exec_lo, s2
	s_wait_dscnt 0x0
	s_barrier_signal -1
	s_barrier_wait -1
	s_load_b32 s2, s[0:1], 0xc9c
	v_mov_b32_e32 v7, 0
	s_wait_kmcnt 0x0
	s_bfe_u32 s2, s2, 0xb0005
	s_delay_alu instid0(SALU_CYCLE_1)
	v_cmp_gt_u32_e32 vcc_lo, s2, v0
	s_and_saveexec_b32 s2, vcc_lo
; %bb.7:
	v_lshlrev_b32_e32 v6, 2, v6
	ds_load_b32 v7, v6
; %bb.8:
	s_or_b32 exec_lo, exec_lo, s2
	s_delay_alu instid0(SALU_CYCLE_1)
	s_mov_b32 s2, exec_lo
	v_cmpx_gt_u32_e32 32, v0
	s_cbranch_execz .LBB130_10
; %bb.9:
	s_wait_dscnt 0x0
	ds_bpermute_b32 v2, v2, v7
	s_wait_dscnt 0x0
	v_add_f32_e32 v2, v7, v2
	ds_bpermute_b32 v3, v3, v2
	s_wait_dscnt 0x0
	v_add_f32_e32 v2, v2, v3
	;; [unrolled: 3-line block ×5, first 2 shown]
.LBB130_10:
	s_or_b32 exec_lo, exec_lo, s2
	s_delay_alu instid0(SALU_CYCLE_1)
	s_mov_b32 s2, exec_lo
	v_cmpx_eq_u32_e32 0, v0
	s_cbranch_execz .LBB130_12
; %bb.11:
	s_wait_dscnt 0x0
	v_mul_f32_e32 v0, 0x4f800000, v7
	v_cmp_gt_f32_e32 vcc_lo, 0xf800000, v7
	s_load_b64 s[0:1], s[0:1], s8 offset:0x8 scale_offset
	s_delay_alu instid0(VALU_DEP_2) | instskip(NEXT) | instid1(VALU_DEP_1)
	v_cndmask_b32_e32 v0, v7, v0, vcc_lo
	v_sqrt_f32_e32 v1, v0
	v_nop
	s_delay_alu instid0(TRANS32_DEP_1) | instskip(NEXT) | instid1(VALU_DEP_1)
	v_dual_add_nc_u32 v2, -1, v1 :: v_dual_add_nc_u32 v3, 1, v1
	v_dual_fma_f32 v4, -v2, v1, v0 :: v_dual_fma_f32 v5, -v3, v1, v0
	s_delay_alu instid0(VALU_DEP_1) | instskip(NEXT) | instid1(VALU_DEP_1)
	v_cmp_ge_f32_e64 s2, 0, v4
	v_cndmask_b32_e64 v1, v1, v2, s2
	s_delay_alu instid0(VALU_DEP_3) | instskip(NEXT) | instid1(VALU_DEP_1)
	v_cmp_lt_f32_e64 s2, 0, v5
	v_cndmask_b32_e64 v1, v1, v3, s2
	s_delay_alu instid0(VALU_DEP_1) | instskip(NEXT) | instid1(VALU_DEP_1)
	v_mul_f32_e32 v2, 0x37800000, v1
	v_cndmask_b32_e32 v1, v1, v2, vcc_lo
	v_cmp_class_f32_e64 vcc_lo, v0, 0x260
	s_delay_alu instid0(VALU_DEP_2)
	v_dual_cndmask_b32 v0, v1, v0 :: v_dual_mov_b32 v1, 0
	s_wait_kmcnt 0x0
	global_store_b32 v1, v0, s[0:1]
.LBB130_12:
	s_endpgm
	.section	.rodata,"a",@progbits
	.p2align	6, 0x0
	.amdhsa_kernel _ZN2at6native14lpnorm_cleanupIN3c108BFloat16ELNS0_8NormTypeE2EfLb1EfEEvPKT3_NS0_19TensorListAddressesEi
		.amdhsa_group_segment_fixed_size 2048
		.amdhsa_private_segment_fixed_size 0
		.amdhsa_kernarg_size 3472
		.amdhsa_user_sgpr_count 2
		.amdhsa_user_sgpr_dispatch_ptr 0
		.amdhsa_user_sgpr_queue_ptr 0
		.amdhsa_user_sgpr_kernarg_segment_ptr 1
		.amdhsa_user_sgpr_dispatch_id 0
		.amdhsa_user_sgpr_kernarg_preload_length 0
		.amdhsa_user_sgpr_kernarg_preload_offset 0
		.amdhsa_user_sgpr_private_segment_size 0
		.amdhsa_wavefront_size32 1
		.amdhsa_uses_dynamic_stack 0
		.amdhsa_enable_private_segment 0
		.amdhsa_system_sgpr_workgroup_id_x 1
		.amdhsa_system_sgpr_workgroup_id_y 0
		.amdhsa_system_sgpr_workgroup_id_z 0
		.amdhsa_system_sgpr_workgroup_info 0
		.amdhsa_system_vgpr_workitem_id 0
		.amdhsa_next_free_vgpr 9
		.amdhsa_next_free_sgpr 12
		.amdhsa_named_barrier_count 0
		.amdhsa_reserve_vcc 1
		.amdhsa_float_round_mode_32 0
		.amdhsa_float_round_mode_16_64 0
		.amdhsa_float_denorm_mode_32 3
		.amdhsa_float_denorm_mode_16_64 3
		.amdhsa_fp16_overflow 0
		.amdhsa_memory_ordered 1
		.amdhsa_forward_progress 1
		.amdhsa_inst_pref_size 7
		.amdhsa_round_robin_scheduling 0
		.amdhsa_exception_fp_ieee_invalid_op 0
		.amdhsa_exception_fp_denorm_src 0
		.amdhsa_exception_fp_ieee_div_zero 0
		.amdhsa_exception_fp_ieee_overflow 0
		.amdhsa_exception_fp_ieee_underflow 0
		.amdhsa_exception_fp_ieee_inexact 0
		.amdhsa_exception_int_div_zero 0
	.end_amdhsa_kernel
	.section	.text._ZN2at6native14lpnorm_cleanupIN3c108BFloat16ELNS0_8NormTypeE2EfLb1EfEEvPKT3_NS0_19TensorListAddressesEi,"axG",@progbits,_ZN2at6native14lpnorm_cleanupIN3c108BFloat16ELNS0_8NormTypeE2EfLb1EfEEvPKT3_NS0_19TensorListAddressesEi,comdat
.Lfunc_end130:
	.size	_ZN2at6native14lpnorm_cleanupIN3c108BFloat16ELNS0_8NormTypeE2EfLb1EfEEvPKT3_NS0_19TensorListAddressesEi, .Lfunc_end130-_ZN2at6native14lpnorm_cleanupIN3c108BFloat16ELNS0_8NormTypeE2EfLb1EfEEvPKT3_NS0_19TensorListAddressesEi
                                        ; -- End function
	.set _ZN2at6native14lpnorm_cleanupIN3c108BFloat16ELNS0_8NormTypeE2EfLb1EfEEvPKT3_NS0_19TensorListAddressesEi.num_vgpr, 9
	.set _ZN2at6native14lpnorm_cleanupIN3c108BFloat16ELNS0_8NormTypeE2EfLb1EfEEvPKT3_NS0_19TensorListAddressesEi.num_agpr, 0
	.set _ZN2at6native14lpnorm_cleanupIN3c108BFloat16ELNS0_8NormTypeE2EfLb1EfEEvPKT3_NS0_19TensorListAddressesEi.numbered_sgpr, 12
	.set _ZN2at6native14lpnorm_cleanupIN3c108BFloat16ELNS0_8NormTypeE2EfLb1EfEEvPKT3_NS0_19TensorListAddressesEi.num_named_barrier, 0
	.set _ZN2at6native14lpnorm_cleanupIN3c108BFloat16ELNS0_8NormTypeE2EfLb1EfEEvPKT3_NS0_19TensorListAddressesEi.private_seg_size, 0
	.set _ZN2at6native14lpnorm_cleanupIN3c108BFloat16ELNS0_8NormTypeE2EfLb1EfEEvPKT3_NS0_19TensorListAddressesEi.uses_vcc, 1
	.set _ZN2at6native14lpnorm_cleanupIN3c108BFloat16ELNS0_8NormTypeE2EfLb1EfEEvPKT3_NS0_19TensorListAddressesEi.uses_flat_scratch, 0
	.set _ZN2at6native14lpnorm_cleanupIN3c108BFloat16ELNS0_8NormTypeE2EfLb1EfEEvPKT3_NS0_19TensorListAddressesEi.has_dyn_sized_stack, 0
	.set _ZN2at6native14lpnorm_cleanupIN3c108BFloat16ELNS0_8NormTypeE2EfLb1EfEEvPKT3_NS0_19TensorListAddressesEi.has_recursion, 0
	.set _ZN2at6native14lpnorm_cleanupIN3c108BFloat16ELNS0_8NormTypeE2EfLb1EfEEvPKT3_NS0_19TensorListAddressesEi.has_indirect_call, 0
	.section	.AMDGPU.csdata,"",@progbits
; Kernel info:
; codeLenInByte = 804
; TotalNumSgprs: 14
; NumVgprs: 9
; ScratchSize: 0
; MemoryBound: 0
; FloatMode: 240
; IeeeMode: 1
; LDSByteSize: 2048 bytes/workgroup (compile time only)
; SGPRBlocks: 0
; VGPRBlocks: 0
; NumSGPRsForWavesPerEU: 14
; NumVGPRsForWavesPerEU: 9
; NamedBarCnt: 0
; Occupancy: 16
; WaveLimiterHint : 0
; COMPUTE_PGM_RSRC2:SCRATCH_EN: 0
; COMPUTE_PGM_RSRC2:USER_SGPR: 2
; COMPUTE_PGM_RSRC2:TRAP_HANDLER: 0
; COMPUTE_PGM_RSRC2:TGID_X_EN: 1
; COMPUTE_PGM_RSRC2:TGID_Y_EN: 0
; COMPUTE_PGM_RSRC2:TGID_Z_EN: 0
; COMPUTE_PGM_RSRC2:TIDIG_COMP_CNT: 0
	.section	.text._ZN2at6native14lpnorm_cleanupIN3c108BFloat16ELNS0_8NormTypeE3EfLb1EfEEvPKT3_NS0_19TensorListAddressesEi,"axG",@progbits,_ZN2at6native14lpnorm_cleanupIN3c108BFloat16ELNS0_8NormTypeE3EfLb1EfEEvPKT3_NS0_19TensorListAddressesEi,comdat
	.protected	_ZN2at6native14lpnorm_cleanupIN3c108BFloat16ELNS0_8NormTypeE3EfLb1EfEEvPKT3_NS0_19TensorListAddressesEi ; -- Begin function _ZN2at6native14lpnorm_cleanupIN3c108BFloat16ELNS0_8NormTypeE3EfLb1EfEEvPKT3_NS0_19TensorListAddressesEi
	.globl	_ZN2at6native14lpnorm_cleanupIN3c108BFloat16ELNS0_8NormTypeE3EfLb1EfEEvPKT3_NS0_19TensorListAddressesEi
	.p2align	8
	.type	_ZN2at6native14lpnorm_cleanupIN3c108BFloat16ELNS0_8NormTypeE3EfLb1EfEEvPKT3_NS0_19TensorListAddressesEi,@function
_ZN2at6native14lpnorm_cleanupIN3c108BFloat16ELNS0_8NormTypeE3EfLb1EfEEvPKT3_NS0_19TensorListAddressesEi: ; @_ZN2at6native14lpnorm_cleanupIN3c108BFloat16ELNS0_8NormTypeE3EfLb1EfEEvPKT3_NS0_19TensorListAddressesEi
; %bb.0:
	s_load_b32 s4, s[0:1], 0xc88
	s_bfe_u32 s2, ttmp6, 0x4000c
	s_and_b32 s3, ttmp6, 15
	s_add_co_i32 s2, s2, 1
	s_getreg_b32 s5, hwreg(HW_REG_IB_STS2, 6, 4)
	s_mul_i32 s2, ttmp9, s2
	v_mov_b32_e32 v1, 0
	s_add_co_i32 s3, s3, s2
	s_cmp_eq_u32 s5, 0
	s_mov_b32 s7, 0
	s_cselect_b32 s10, ttmp9, s3
	s_mov_b32 s11, exec_lo
	s_wait_kmcnt 0x0
	v_cmpx_gt_u32_e64 s4, v0
	s_cbranch_execz .LBB131_4
; %bb.1:
	s_clause 0x1
	s_load_b64 s[2:3], s[0:1], 0x0
	s_load_b32 s6, s[0:1], 0xc9c
	v_dual_mov_b32 v1, 0 :: v_dual_lshlrev_b32 v2, 2, v0
	s_mul_i32 s8, s4, s10
	s_mov_b32 s9, s7
	s_ashr_i32 s5, s4, 31
	s_delay_alu instid0(VALU_DEP_1)
	v_mov_b32_e32 v3, v1
	s_lshl_b64 s[8:9], s[8:9], 2
	v_mov_b64_e32 v[4:5], v[0:1]
	s_mov_b32 s12, s7
	s_wait_kmcnt 0x0
	s_add_nc_u64 s[2:3], s[2:3], s[8:9]
	s_and_b32 s6, s6, 0xffff
	v_add_nc_u64_e32 v[2:3], s[2:3], v[2:3]
	s_lshl_b32 s8, s6, 2
	s_mov_b32 s9, s7
.LBB131_2:                              ; =>This Inner Loop Header: Depth=1
	global_load_b32 v6, v[2:3], off
	v_add_nc_u64_e32 v[4:5], s[6:7], v[4:5]
	s_wait_xcnt 0x0
	v_add_nc_u64_e32 v[2:3], s[8:9], v[2:3]
	s_delay_alu instid0(VALU_DEP_2)
	v_cmp_le_u64_e32 vcc_lo, s[4:5], v[4:5]
	s_wait_loadcnt 0x0
	v_cmp_u_f32_e64 s2, v6, v6
	v_cmp_lt_f32_e64 s3, v1, v6
	s_or_b32 s2, s2, s3
	s_or_b32 s12, vcc_lo, s12
	v_cndmask_b32_e64 v1, v1, v6, s2
	s_and_not1_b32 exec_lo, exec_lo, s12
	s_cbranch_execnz .LBB131_2
; %bb.3:
	s_or_b32 exec_lo, exec_lo, s12
.LBB131_4:
	s_delay_alu instid0(SALU_CYCLE_1) | instskip(SKIP_3) | instid1(VALU_DEP_1)
	s_or_b32 exec_lo, exec_lo, s11
	v_mbcnt_lo_u32_b32 v5, -1, 0
	s_barrier_signal -1
	s_barrier_wait -1
	v_lshl_or_b32 v2, v5, 2, 64
	v_cmp_gt_u32_e32 vcc_lo, 24, v5
	v_cmp_ne_u32_e64 s3, 31, v5
	ds_bpermute_b32 v4, v2, v1
	v_cndmask_b32_e64 v3, 0, 8, vcc_lo
	s_delay_alu instid0(VALU_DEP_1)
	v_add_lshl_u32 v3, v3, v5, 2
	s_wait_dscnt 0x0
	v_cmp_u_f32_e32 vcc_lo, v4, v4
	v_cmp_lt_f32_e64 s2, v1, v4
	s_or_b32 vcc_lo, vcc_lo, s2
	v_cndmask_b32_e32 v4, v1, v4, vcc_lo
	v_cmp_gt_u32_e32 vcc_lo, 28, v5
	ds_bpermute_b32 v6, v3, v4
	v_cndmask_b32_e64 v1, 0, 4, vcc_lo
	s_delay_alu instid0(VALU_DEP_1)
	v_add_lshl_u32 v1, v1, v5, 2
	s_wait_dscnt 0x0
	v_cmp_u_f32_e32 vcc_lo, v6, v6
	v_cmp_lt_f32_e64 s2, v4, v6
	s_or_b32 vcc_lo, vcc_lo, s2
	v_cndmask_b32_e32 v6, v4, v6, vcc_lo
	v_cmp_gt_u32_e32 vcc_lo, 30, v5
	v_cndmask_b32_e64 v4, 0, 2, vcc_lo
	s_delay_alu instid0(VALU_DEP_1)
	v_add_lshl_u32 v4, v4, v5, 2
	v_add_co_ci_u32_e64 v5, null, 0, v5, s3
	s_mov_b32 s3, exec_lo
	v_lshlrev_b32_e32 v5, 2, v5
	ds_bpermute_b32 v7, v1, v6
	s_wait_dscnt 0x0
	v_cmp_u_f32_e32 vcc_lo, v7, v7
	v_cmp_lt_f32_e64 s2, v6, v7
	s_or_b32 vcc_lo, vcc_lo, s2
	v_cndmask_b32_e32 v6, v6, v7, vcc_lo
	ds_bpermute_b32 v7, v4, v6
	s_wait_dscnt 0x0
	v_cmp_u_f32_e32 vcc_lo, v7, v7
	v_cmp_lt_f32_e64 s2, v6, v7
	s_or_b32 vcc_lo, vcc_lo, s2
	s_delay_alu instid0(SALU_CYCLE_1)
	v_dual_cndmask_b32 v7, v6, v7, vcc_lo :: v_dual_bitop2_b32 v6, 31, v0 bitop3:0x40
	ds_bpermute_b32 v8, v5, v7
	v_cmpx_eq_u32_e32 0, v6
	s_cbranch_execz .LBB131_6
; %bb.5:
	s_wait_dscnt 0x0
	v_cmp_u_f32_e32 vcc_lo, v8, v8
	v_cmp_lt_f32_e64 s2, v7, v8
	s_or_b32 vcc_lo, vcc_lo, s2
	v_cndmask_b32_e32 v7, v7, v8, vcc_lo
	v_lshrrev_b32_e32 v8, 3, v0
	ds_store_b32 v8, v7
.LBB131_6:
	s_or_b32 exec_lo, exec_lo, s3
	s_wait_dscnt 0x0
	s_barrier_signal -1
	s_barrier_wait -1
	s_load_b32 s2, s[0:1], 0xc9c
	v_mov_b32_e32 v7, 0xff7fffff
	s_wait_kmcnt 0x0
	s_bfe_u32 s2, s2, 0xb0005
	s_delay_alu instid0(SALU_CYCLE_1)
	v_cmp_gt_u32_e32 vcc_lo, s2, v0
	s_and_saveexec_b32 s2, vcc_lo
; %bb.7:
	v_lshlrev_b32_e32 v6, 2, v6
	ds_load_b32 v7, v6
; %bb.8:
	s_or_b32 exec_lo, exec_lo, s2
	s_delay_alu instid0(SALU_CYCLE_1)
	s_mov_b32 s3, exec_lo
	v_cmpx_gt_u32_e32 32, v0
	s_cbranch_execz .LBB131_10
; %bb.9:
	s_wait_dscnt 0x0
	ds_bpermute_b32 v2, v2, v7
	s_wait_dscnt 0x0
	v_cmp_u_f32_e32 vcc_lo, v2, v2
	v_cmp_lt_f32_e64 s2, v7, v2
	s_or_b32 vcc_lo, vcc_lo, s2
	v_cndmask_b32_e32 v2, v7, v2, vcc_lo
	ds_bpermute_b32 v3, v3, v2
	s_wait_dscnt 0x0
	v_cmp_u_f32_e32 vcc_lo, v3, v3
	v_cmp_lt_f32_e64 s2, v2, v3
	s_or_b32 vcc_lo, vcc_lo, s2
	v_cndmask_b32_e32 v2, v2, v3, vcc_lo
	;; [unrolled: 6-line block ×5, first 2 shown]
.LBB131_10:
	s_or_b32 exec_lo, exec_lo, s3
	s_delay_alu instid0(SALU_CYCLE_1)
	s_mov_b32 s2, exec_lo
	v_cmpx_eq_u32_e32 0, v0
	s_cbranch_execz .LBB131_12
; %bb.11:
	s_load_b64 s[0:1], s[0:1], s10 offset:0x8 scale_offset
	v_mov_b32_e32 v0, 0
	s_wait_dscnt 0x0
	s_wait_kmcnt 0x0
	global_store_b32 v0, v7, s[0:1]
.LBB131_12:
	s_endpgm
	.section	.rodata,"a",@progbits
	.p2align	6, 0x0
	.amdhsa_kernel _ZN2at6native14lpnorm_cleanupIN3c108BFloat16ELNS0_8NormTypeE3EfLb1EfEEvPKT3_NS0_19TensorListAddressesEi
		.amdhsa_group_segment_fixed_size 2048
		.amdhsa_private_segment_fixed_size 0
		.amdhsa_kernarg_size 3472
		.amdhsa_user_sgpr_count 2
		.amdhsa_user_sgpr_dispatch_ptr 0
		.amdhsa_user_sgpr_queue_ptr 0
		.amdhsa_user_sgpr_kernarg_segment_ptr 1
		.amdhsa_user_sgpr_dispatch_id 0
		.amdhsa_user_sgpr_kernarg_preload_length 0
		.amdhsa_user_sgpr_kernarg_preload_offset 0
		.amdhsa_user_sgpr_private_segment_size 0
		.amdhsa_wavefront_size32 1
		.amdhsa_uses_dynamic_stack 0
		.amdhsa_enable_private_segment 0
		.amdhsa_system_sgpr_workgroup_id_x 1
		.amdhsa_system_sgpr_workgroup_id_y 0
		.amdhsa_system_sgpr_workgroup_id_z 0
		.amdhsa_system_sgpr_workgroup_info 0
		.amdhsa_system_vgpr_workitem_id 0
		.amdhsa_next_free_vgpr 9
		.amdhsa_next_free_sgpr 13
		.amdhsa_named_barrier_count 0
		.amdhsa_reserve_vcc 1
		.amdhsa_float_round_mode_32 0
		.amdhsa_float_round_mode_16_64 0
		.amdhsa_float_denorm_mode_32 3
		.amdhsa_float_denorm_mode_16_64 3
		.amdhsa_fp16_overflow 0
		.amdhsa_memory_ordered 1
		.amdhsa_forward_progress 1
		.amdhsa_inst_pref_size 7
		.amdhsa_round_robin_scheduling 0
		.amdhsa_exception_fp_ieee_invalid_op 0
		.amdhsa_exception_fp_denorm_src 0
		.amdhsa_exception_fp_ieee_div_zero 0
		.amdhsa_exception_fp_ieee_overflow 0
		.amdhsa_exception_fp_ieee_underflow 0
		.amdhsa_exception_fp_ieee_inexact 0
		.amdhsa_exception_int_div_zero 0
	.end_amdhsa_kernel
	.section	.text._ZN2at6native14lpnorm_cleanupIN3c108BFloat16ELNS0_8NormTypeE3EfLb1EfEEvPKT3_NS0_19TensorListAddressesEi,"axG",@progbits,_ZN2at6native14lpnorm_cleanupIN3c108BFloat16ELNS0_8NormTypeE3EfLb1EfEEvPKT3_NS0_19TensorListAddressesEi,comdat
.Lfunc_end131:
	.size	_ZN2at6native14lpnorm_cleanupIN3c108BFloat16ELNS0_8NormTypeE3EfLb1EfEEvPKT3_NS0_19TensorListAddressesEi, .Lfunc_end131-_ZN2at6native14lpnorm_cleanupIN3c108BFloat16ELNS0_8NormTypeE3EfLb1EfEEvPKT3_NS0_19TensorListAddressesEi
                                        ; -- End function
	.set _ZN2at6native14lpnorm_cleanupIN3c108BFloat16ELNS0_8NormTypeE3EfLb1EfEEvPKT3_NS0_19TensorListAddressesEi.num_vgpr, 9
	.set _ZN2at6native14lpnorm_cleanupIN3c108BFloat16ELNS0_8NormTypeE3EfLb1EfEEvPKT3_NS0_19TensorListAddressesEi.num_agpr, 0
	.set _ZN2at6native14lpnorm_cleanupIN3c108BFloat16ELNS0_8NormTypeE3EfLb1EfEEvPKT3_NS0_19TensorListAddressesEi.numbered_sgpr, 13
	.set _ZN2at6native14lpnorm_cleanupIN3c108BFloat16ELNS0_8NormTypeE3EfLb1EfEEvPKT3_NS0_19TensorListAddressesEi.num_named_barrier, 0
	.set _ZN2at6native14lpnorm_cleanupIN3c108BFloat16ELNS0_8NormTypeE3EfLb1EfEEvPKT3_NS0_19TensorListAddressesEi.private_seg_size, 0
	.set _ZN2at6native14lpnorm_cleanupIN3c108BFloat16ELNS0_8NormTypeE3EfLb1EfEEvPKT3_NS0_19TensorListAddressesEi.uses_vcc, 1
	.set _ZN2at6native14lpnorm_cleanupIN3c108BFloat16ELNS0_8NormTypeE3EfLb1EfEEvPKT3_NS0_19TensorListAddressesEi.uses_flat_scratch, 0
	.set _ZN2at6native14lpnorm_cleanupIN3c108BFloat16ELNS0_8NormTypeE3EfLb1EfEEvPKT3_NS0_19TensorListAddressesEi.has_dyn_sized_stack, 0
	.set _ZN2at6native14lpnorm_cleanupIN3c108BFloat16ELNS0_8NormTypeE3EfLb1EfEEvPKT3_NS0_19TensorListAddressesEi.has_recursion, 0
	.set _ZN2at6native14lpnorm_cleanupIN3c108BFloat16ELNS0_8NormTypeE3EfLb1EfEEvPKT3_NS0_19TensorListAddressesEi.has_indirect_call, 0
	.section	.AMDGPU.csdata,"",@progbits
; Kernel info:
; codeLenInByte = 868
; TotalNumSgprs: 15
; NumVgprs: 9
; ScratchSize: 0
; MemoryBound: 0
; FloatMode: 240
; IeeeMode: 1
; LDSByteSize: 2048 bytes/workgroup (compile time only)
; SGPRBlocks: 0
; VGPRBlocks: 0
; NumSGPRsForWavesPerEU: 15
; NumVGPRsForWavesPerEU: 9
; NamedBarCnt: 0
; Occupancy: 16
; WaveLimiterHint : 0
; COMPUTE_PGM_RSRC2:SCRATCH_EN: 0
; COMPUTE_PGM_RSRC2:USER_SGPR: 2
; COMPUTE_PGM_RSRC2:TRAP_HANDLER: 0
; COMPUTE_PGM_RSRC2:TGID_X_EN: 1
; COMPUTE_PGM_RSRC2:TGID_Y_EN: 0
; COMPUTE_PGM_RSRC2:TGID_Z_EN: 0
; COMPUTE_PGM_RSRC2:TIDIG_COMP_CNT: 0
	.section	.text._ZN2at6native12_GLOBAL__N_125multi_tensor_apply_kernelINS1_18TensorListMetadataILi1EEENS0_13LpNormFunctorIN3c108BFloat16ELNS0_8NormTypeE0ENS6_4HalfELi1ELi1ELi0EEEJPfiEEEvT_T0_DpT1_,"axG",@progbits,_ZN2at6native12_GLOBAL__N_125multi_tensor_apply_kernelINS1_18TensorListMetadataILi1EEENS0_13LpNormFunctorIN3c108BFloat16ELNS0_8NormTypeE0ENS6_4HalfELi1ELi1ELi0EEEJPfiEEEvT_T0_DpT1_,comdat
	.globl	_ZN2at6native12_GLOBAL__N_125multi_tensor_apply_kernelINS1_18TensorListMetadataILi1EEENS0_13LpNormFunctorIN3c108BFloat16ELNS0_8NormTypeE0ENS6_4HalfELi1ELi1ELi0EEEJPfiEEEvT_T0_DpT1_ ; -- Begin function _ZN2at6native12_GLOBAL__N_125multi_tensor_apply_kernelINS1_18TensorListMetadataILi1EEENS0_13LpNormFunctorIN3c108BFloat16ELNS0_8NormTypeE0ENS6_4HalfELi1ELi1ELi0EEEJPfiEEEvT_T0_DpT1_
	.p2align	8
	.type	_ZN2at6native12_GLOBAL__N_125multi_tensor_apply_kernelINS1_18TensorListMetadataILi1EEENS0_13LpNormFunctorIN3c108BFloat16ELNS0_8NormTypeE0ENS6_4HalfELi1ELi1ELi0EEEJPfiEEEvT_T0_DpT1_,@function
_ZN2at6native12_GLOBAL__N_125multi_tensor_apply_kernelINS1_18TensorListMetadataILi1EEENS0_13LpNormFunctorIN3c108BFloat16ELNS0_8NormTypeE0ENS6_4HalfELi1ELi1ELi0EEEJPfiEEEvT_T0_DpT1_: ; @_ZN2at6native12_GLOBAL__N_125multi_tensor_apply_kernelINS1_18TensorListMetadataILi1EEENS0_13LpNormFunctorIN3c108BFloat16ELNS0_8NormTypeE0ENS6_4HalfELi1ELi1ELi0EEEJPfiEEEvT_T0_DpT1_
; %bb.0:
	s_bfe_u32 s2, ttmp6, 0x4000c
	s_and_b32 s3, ttmp6, 15
	s_add_co_i32 s2, s2, 1
	s_getreg_b32 s4, hwreg(HW_REG_IB_STS2, 6, 4)
	s_mul_i32 s2, ttmp9, s2
	s_delay_alu instid0(SALU_CYCLE_1)
	s_add_co_i32 s3, s3, s2
	s_cmp_eq_u32 s4, 0
	s_cselect_b32 s2, ttmp9, s3
	s_mov_b32 s3, 0
	v_mov_b32_e32 v1, s2
	s_add_nc_u64 s[4:5], s[0:1], s[2:3]
	s_mul_u64 s[6:7], s[2:3], 3
	s_delay_alu instid0(SALU_CYCLE_1) | instskip(SKIP_4) | instid1(SALU_CYCLE_1)
	s_add_nc_u64 s[4:5], s[4:5], s[6:7]
	global_load_u8 v15, v1, s[0:1] offset:1760
	s_load_b32 s4, s[4:5], 0x820
	s_wait_kmcnt 0x0
	s_ashr_i32 s5, s4, 31
	s_lshl_b64 s[10:11], s[4:5], 17
	s_lshl_b64 s[12:13], s[4:5], 16
	s_wait_loadcnt 0x0
	v_readfirstlane_b32 s2, v15
	s_and_b32 s2, s2, 0xff
	s_clause 0x1
	s_load_b64 s[6:7], s[0:1], s2 offset:0x0 scale_offset
	s_load_b64 s[8:9], s[0:1], s2 offset:0x370 scale_offset
	s_wait_kmcnt 0x0
	s_add_nc_u64 s[6:7], s[6:7], s[10:11]
	s_and_b32 s2, s8, 3
	s_and_b64 s[10:11], s[6:7], 7
	s_sub_nc_u64 s[8:9], s[8:9], s[12:13]
	s_or_b64 s[10:11], s[2:3], s[10:11]
	s_delay_alu instid0(SALU_CYCLE_1)
	s_cmp_eq_u64 s[10:11], 0
	s_cbranch_scc1 .LBB132_12
; %bb.1:
	v_cmp_lt_i64_e64 s2, s[8:9], 1
	s_and_b32 vcc_lo, exec_lo, s2
	s_cbranch_vccnz .LBB132_28
; %bb.2:
	s_load_b32 s2, s[0:1], 0xd4c
	v_min_i64 v[10:11], 0x10000, s[8:9]
	s_mov_b32 s11, 0
	s_mov_b64 s[12:13], 0
	s_wait_kmcnt 0x0
	s_and_b32 s2, s2, 0xffff
	s_delay_alu instid0(SALU_CYCLE_1) | instskip(SKIP_3) | instid1(VALU_DEP_3)
	v_dual_mov_b32 v7, 0 :: v_dual_add_nc_u32 v16, s2, v0
	v_mad_u32 v12, s2, 3, v0
	v_lshl_add_u32 v14, s2, 1, v0
	s_lshl_b32 s10, s2, 2
	v_dual_mov_b32 v6, v7 :: v_dual_mov_b32 v8, v7
	v_mov_b32_e32 v9, v7
	s_delay_alu instid0(VALU_DEP_2) | instskip(NEXT) | instid1(VALU_DEP_2)
	v_mov_b64_e32 v[2:3], v[6:7]
	v_mov_b64_e32 v[4:5], v[8:9]
	s_branch .LBB132_4
.LBB132_3:                              ;   in Loop: Header=BB132_4 Depth=1
	s_or_b32 exec_lo, exec_lo, s2
	s_add_nc_u64 s[12:13], s[12:13], s[10:11]
	s_delay_alu instid0(SALU_CYCLE_1)
	v_cmp_lt_i64_e32 vcc_lo, s[12:13], v[10:11]
	s_cbranch_vccz .LBB132_13
.LBB132_4:                              ; =>This Inner Loop Header: Depth=1
	v_add_nc_u32_e32 v6, s12, v0
	s_delay_alu instid0(VALU_DEP_1) | instskip(SKIP_2) | instid1(SALU_CYCLE_1)
	v_cmp_gt_i64_e32 vcc_lo, s[8:9], v[6:7]
	v_cmp_gt_u32_e64 s2, 0x10000, v6
	s_and_b32 s5, s2, vcc_lo
	s_and_saveexec_b32 s2, s5
	s_cbranch_execz .LBB132_6
; %bb.5:                                ;   in Loop: Header=BB132_4 Depth=1
	v_lshl_add_u64 v[8:9], v[6:7], 1, s[6:7]
	global_load_u16 v1, v[8:9], off
	s_wait_loadcnt 0x0
	v_and_b32_e32 v1, 0x7fff, v1
	s_delay_alu instid0(VALU_DEP_1) | instskip(SKIP_1) | instid1(VALU_DEP_1)
	v_cmp_eq_u16_e32 vcc_lo, 0, v1
	v_cndmask_b32_e64 v1, 1.0, 0, vcc_lo
	v_add_f32_e32 v2, v2, v1
.LBB132_6:                              ;   in Loop: Header=BB132_4 Depth=1
	s_or_b32 exec_lo, exec_lo, s2
	v_add_nc_u32_e32 v6, s12, v16
	s_delay_alu instid0(VALU_DEP_1) | instskip(SKIP_2) | instid1(SALU_CYCLE_1)
	v_cmp_gt_i64_e32 vcc_lo, s[8:9], v[6:7]
	v_cmp_gt_u32_e64 s2, 0x10000, v6
	s_and_b32 s5, s2, vcc_lo
	s_and_saveexec_b32 s2, s5
	s_cbranch_execz .LBB132_8
; %bb.7:                                ;   in Loop: Header=BB132_4 Depth=1
	v_lshl_add_u64 v[8:9], v[6:7], 1, s[6:7]
	global_load_u16 v1, v[8:9], off
	s_wait_loadcnt 0x0
	v_and_b32_e32 v1, 0x7fff, v1
	s_delay_alu instid0(VALU_DEP_1) | instskip(SKIP_1) | instid1(VALU_DEP_1)
	v_cmp_eq_u16_e32 vcc_lo, 0, v1
	v_cndmask_b32_e64 v1, 1.0, 0, vcc_lo
	v_add_f32_e32 v3, v3, v1
.LBB132_8:                              ;   in Loop: Header=BB132_4 Depth=1
	s_or_b32 exec_lo, exec_lo, s2
	v_add_nc_u32_e32 v6, s12, v14
	s_delay_alu instid0(VALU_DEP_1) | instskip(SKIP_2) | instid1(SALU_CYCLE_1)
	v_cmp_gt_i64_e32 vcc_lo, s[8:9], v[6:7]
	v_cmp_gt_u32_e64 s2, 0x10000, v6
	s_and_b32 s5, s2, vcc_lo
	s_and_saveexec_b32 s2, s5
	s_cbranch_execz .LBB132_10
; %bb.9:                                ;   in Loop: Header=BB132_4 Depth=1
	v_lshl_add_u64 v[8:9], v[6:7], 1, s[6:7]
	global_load_u16 v1, v[8:9], off
	s_wait_loadcnt 0x0
	v_and_b32_e32 v1, 0x7fff, v1
	s_delay_alu instid0(VALU_DEP_1) | instskip(SKIP_1) | instid1(VALU_DEP_1)
	v_cmp_eq_u16_e32 vcc_lo, 0, v1
	v_cndmask_b32_e64 v1, 1.0, 0, vcc_lo
	v_add_f32_e32 v4, v4, v1
.LBB132_10:                             ;   in Loop: Header=BB132_4 Depth=1
	s_or_b32 exec_lo, exec_lo, s2
	v_add_nc_u32_e32 v6, s12, v12
	s_delay_alu instid0(VALU_DEP_1) | instskip(SKIP_2) | instid1(SALU_CYCLE_1)
	v_cmp_gt_i64_e32 vcc_lo, s[8:9], v[6:7]
	v_cmp_gt_u32_e64 s2, 0x10000, v6
	s_and_b32 s5, s2, vcc_lo
	s_and_saveexec_b32 s2, s5
	s_cbranch_execz .LBB132_3
; %bb.11:                               ;   in Loop: Header=BB132_4 Depth=1
	v_lshl_add_u64 v[8:9], v[6:7], 1, s[6:7]
	global_load_u16 v1, v[8:9], off
	s_wait_loadcnt 0x0
	v_and_b32_e32 v1, 0x7fff, v1
	s_delay_alu instid0(VALU_DEP_1) | instskip(SKIP_1) | instid1(VALU_DEP_1)
	v_cmp_eq_u16_e32 vcc_lo, 0, v1
	v_cndmask_b32_e64 v1, 1.0, 0, vcc_lo
	v_add_f32_e32 v5, v5, v1
	s_branch .LBB132_3
.LBB132_12:
	s_mov_b32 s3, -1
                                        ; implicit-def: $vgpr2_vgpr3_vgpr4_vgpr5
.LBB132_13:
	s_delay_alu instid0(SALU_CYCLE_1)
	s_and_not1_b32 vcc_lo, exec_lo, s3
	s_cbranch_vccnz .LBB132_19
.LBB132_14:
	v_min_i64 v[8:9], 0x10000, s[8:9]
	v_dual_mov_b32 v3, 0 :: v_dual_lshlrev_b32 v2, 2, v0
	s_mov_b32 s9, 0
	s_delay_alu instid0(VALU_DEP_1) | instskip(NEXT) | instid1(VALU_DEP_2)
	v_dual_mov_b32 v5, v3 :: v_dual_mov_b32 v4, v3
	v_cmp_lt_i64_e32 vcc_lo, v[2:3], v[8:9]
	v_mov_b32_e32 v2, v3
	s_and_saveexec_b32 s3, vcc_lo
	s_cbranch_execz .LBB132_18
; %bb.15:
	s_load_b32 s2, s[0:1], 0xd4c
	v_dual_mov_b32 v1, v3 :: v_dual_lshlrev_b32 v2, 3, v0
	v_dual_mov_b32 v4, 0 :: v_dual_mov_b32 v5, 0
	v_dual_mov_b32 v6, 0 :: v_dual_mov_b32 v7, 0
	s_delay_alu instid0(VALU_DEP_3) | instskip(NEXT) | instid1(VALU_DEP_4)
	v_add_nc_u64_e32 v[10:11], s[6:7], v[2:3]
	v_mov_b64_e32 v[12:13], v[0:1]
	s_mov_b32 s7, s9
	s_mov_b32 s5, s9
	s_wait_kmcnt 0x0
	s_and_b32 s8, s2, 0xffff
	s_delay_alu instid0(SALU_CYCLE_1)
	s_lshl_b32 s6, s8, 3
.LBB132_16:                             ; =>This Inner Loop Header: Depth=1
	global_load_b64 v[16:17], v[10:11], off
	v_dual_mov_b32 v18, v3 :: v_dual_mov_b32 v20, v3
	v_add_nc_u64_e32 v[12:13], s[8:9], v[12:13]
	s_wait_xcnt 0x0
	v_add_nc_u64_e32 v[10:11], s[6:7], v[10:11]
	s_delay_alu instid0(VALU_DEP_2) | instskip(NEXT) | instid1(VALU_DEP_1)
	v_lshlrev_b64_e32 v[22:23], 2, v[12:13]
	v_cmp_ge_i64_e32 vcc_lo, v[22:23], v[8:9]
	s_or_b32 s5, vcc_lo, s5
	s_wait_loadcnt 0x0
	v_and_b32_e32 v2, 0x7fff, v16
	v_and_b32_e32 v19, 0x7fff, v17
	;; [unrolled: 1-line block ×3, first 2 shown]
	s_delay_alu instid0(VALU_DEP_3) | instskip(SKIP_1) | instid1(VALU_DEP_2)
	v_cmp_eq_u64_e64 s2, 0, v[2:3]
	v_and_b32_e32 v2, 0x7fff0000, v16
	v_cndmask_b32_e64 v1, 1.0, 0, s2
	v_cmp_eq_u64_e64 s2, 0, v[18:19]
	s_delay_alu instid0(VALU_DEP_1) | instskip(SKIP_1) | instid1(VALU_DEP_2)
	v_cndmask_b32_e64 v14, 1.0, 0, s2
	v_cmp_eq_u64_e64 s2, 0, v[20:21]
	v_dual_add_f32 v4, v4, v1 :: v_dual_add_f32 v6, v6, v14
	s_delay_alu instid0(VALU_DEP_2) | instskip(SKIP_1) | instid1(VALU_DEP_1)
	v_cndmask_b32_e64 v16, 1.0, 0, s2
	v_cmp_eq_u64_e64 s2, 0, v[2:3]
	v_cndmask_b32_e64 v2, 1.0, 0, s2
	s_delay_alu instid0(VALU_DEP_1)
	v_dual_add_f32 v7, v7, v16 :: v_dual_add_f32 v5, v5, v2
	s_and_not1_b32 exec_lo, exec_lo, s5
	s_cbranch_execnz .LBB132_16
; %bb.17:
	s_or_b32 exec_lo, exec_lo, s5
	s_delay_alu instid0(VALU_DEP_1)
	v_mov_b64_e32 v[2:3], v[4:5]
	v_mov_b64_e32 v[4:5], v[6:7]
.LBB132_18:
	s_or_b32 exec_lo, exec_lo, s3
.LBB132_19:
	s_delay_alu instid0(VALU_DEP_1) | instskip(SKIP_3) | instid1(VALU_DEP_2)
	v_add_f32_e32 v1, 0, v2
	v_mbcnt_lo_u32_b32 v6, -1, 0
	s_mov_b32 s2, exec_lo
	s_barrier_signal -1
	v_add_f32_e32 v1, v3, v1
	s_delay_alu instid0(VALU_DEP_2) | instskip(SKIP_1) | instid1(VALU_DEP_2)
	v_cmp_gt_u32_e32 vcc_lo, 24, v6
	s_barrier_wait -1
	v_add_f32_e32 v2, v4, v1
	v_lshl_or_b32 v1, v6, 2, 64
	s_delay_alu instid0(VALU_DEP_2)
	v_add_f32_e32 v3, v5, v2
	v_cndmask_b32_e64 v2, 0, 8, vcc_lo
	v_cmp_gt_u32_e32 vcc_lo, 28, v6
	ds_bpermute_b32 v4, v1, v3
	v_add_lshl_u32 v2, v2, v6, 2
	s_wait_dscnt 0x0
	v_add_f32_e32 v4, v3, v4
	v_cndmask_b32_e64 v3, 0, 4, vcc_lo
	v_cmp_gt_u32_e32 vcc_lo, 30, v6
	ds_bpermute_b32 v5, v2, v4
	v_add_lshl_u32 v3, v3, v6, 2
	s_wait_dscnt 0x0
	v_add_f32_e32 v5, v4, v5
	v_cndmask_b32_e64 v4, 0, 2, vcc_lo
	v_cmp_ne_u32_e32 vcc_lo, 31, v6
	ds_bpermute_b32 v7, v3, v5
	v_add_lshl_u32 v4, v4, v6, 2
	v_add_co_ci_u32_e64 v8, null, 0, v6, vcc_lo
	s_wait_dscnt 0x0
	v_add_f32_e32 v5, v5, v7
	ds_bpermute_b32 v7, v4, v5
	s_wait_dscnt 0x0
	v_dual_add_f32 v6, v5, v7 :: v_dual_lshlrev_b32 v5, 2, v8
	v_and_b32_e32 v7, 31, v0
	ds_bpermute_b32 v8, v5, v6
	v_cmpx_eq_u32_e32 0, v7
	s_cbranch_execz .LBB132_21
; %bb.20:
	v_lshrrev_b32_e32 v9, 3, v0
	s_wait_dscnt 0x0
	v_add_f32_e32 v6, v6, v8
	ds_store_b32 v9, v6
.LBB132_21:
	s_or_b32 exec_lo, exec_lo, s2
	s_wait_dscnt 0x0
	s_barrier_signal -1
	s_barrier_wait -1
	s_load_b32 s2, s[0:1], 0xd4c
	v_mov_b32_e32 v6, 0
	s_wait_kmcnt 0x0
	s_bfe_u32 s2, s2, 0xb0005
	s_delay_alu instid0(SALU_CYCLE_1)
	v_cmp_gt_u32_e32 vcc_lo, s2, v0
	s_and_saveexec_b32 s2, vcc_lo
; %bb.22:
	v_lshlrev_b32_e32 v6, 2, v7
	ds_load_b32 v6, v6
; %bb.23:
	s_or_b32 exec_lo, exec_lo, s2
	s_delay_alu instid0(SALU_CYCLE_1)
	s_mov_b32 s2, exec_lo
	v_cmpx_gt_u32_e32 32, v0
	s_cbranch_execz .LBB132_25
; %bb.24:
	s_wait_dscnt 0x0
	ds_bpermute_b32 v1, v1, v6
	s_wait_dscnt 0x0
	v_add_f32_e32 v1, v6, v1
	ds_bpermute_b32 v2, v2, v1
	s_wait_dscnt 0x0
	v_add_f32_e32 v1, v1, v2
	;; [unrolled: 3-line block ×5, first 2 shown]
.LBB132_25:
	s_or_b32 exec_lo, exec_lo, s2
	s_delay_alu instid0(SALU_CYCLE_1)
	s_mov_b32 s2, exec_lo
	v_cmpx_eq_u32_e32 0, v0
	s_cbranch_execz .LBB132_27
; %bb.26:
	s_clause 0x1
	s_load_b32 s2, s[0:1], 0xd20
	s_load_b96 s[8:10], s[0:1], 0xd30
	v_and_b32_e32 v0, 0xff, v15
	s_wait_kmcnt 0x0
	s_delay_alu instid0(VALU_DEP_1) | instskip(NEXT) | instid1(VALU_DEP_1)
	v_add_nc_u32_e32 v0, s2, v0
	v_mul_lo_u32 v0, v0, s10
	s_delay_alu instid0(VALU_DEP_1)
	v_add_nc_u32_e32 v0, s4, v0
	s_wait_dscnt 0x0
	global_store_b32 v0, v6, s[8:9] scale_offset
.LBB132_27:
	s_endpgm
.LBB132_28:
	v_mov_b32_e32 v2, 0
	s_delay_alu instid0(VALU_DEP_1)
	v_dual_mov_b32 v3, v2 :: v_dual_mov_b32 v4, v2
	v_mov_b32_e32 v5, v2
	s_and_not1_b32 vcc_lo, exec_lo, s3
	s_cbranch_vccz .LBB132_14
	s_branch .LBB132_19
	.section	.rodata,"a",@progbits
	.p2align	6, 0x0
	.amdhsa_kernel _ZN2at6native12_GLOBAL__N_125multi_tensor_apply_kernelINS1_18TensorListMetadataILi1EEENS0_13LpNormFunctorIN3c108BFloat16ELNS0_8NormTypeE0ENS6_4HalfELi1ELi1ELi0EEEJPfiEEEvT_T0_DpT1_
		.amdhsa_group_segment_fixed_size 2048
		.amdhsa_private_segment_fixed_size 0
		.amdhsa_kernarg_size 3648
		.amdhsa_user_sgpr_count 2
		.amdhsa_user_sgpr_dispatch_ptr 0
		.amdhsa_user_sgpr_queue_ptr 0
		.amdhsa_user_sgpr_kernarg_segment_ptr 1
		.amdhsa_user_sgpr_dispatch_id 0
		.amdhsa_user_sgpr_kernarg_preload_length 0
		.amdhsa_user_sgpr_kernarg_preload_offset 0
		.amdhsa_user_sgpr_private_segment_size 0
		.amdhsa_wavefront_size32 1
		.amdhsa_uses_dynamic_stack 0
		.amdhsa_enable_private_segment 0
		.amdhsa_system_sgpr_workgroup_id_x 1
		.amdhsa_system_sgpr_workgroup_id_y 0
		.amdhsa_system_sgpr_workgroup_id_z 0
		.amdhsa_system_sgpr_workgroup_info 0
		.amdhsa_system_vgpr_workitem_id 0
		.amdhsa_next_free_vgpr 24
		.amdhsa_next_free_sgpr 14
		.amdhsa_named_barrier_count 0
		.amdhsa_reserve_vcc 1
		.amdhsa_float_round_mode_32 0
		.amdhsa_float_round_mode_16_64 0
		.amdhsa_float_denorm_mode_32 3
		.amdhsa_float_denorm_mode_16_64 3
		.amdhsa_fp16_overflow 0
		.amdhsa_memory_ordered 1
		.amdhsa_forward_progress 1
		.amdhsa_inst_pref_size 13
		.amdhsa_round_robin_scheduling 0
		.amdhsa_exception_fp_ieee_invalid_op 0
		.amdhsa_exception_fp_denorm_src 0
		.amdhsa_exception_fp_ieee_div_zero 0
		.amdhsa_exception_fp_ieee_overflow 0
		.amdhsa_exception_fp_ieee_underflow 0
		.amdhsa_exception_fp_ieee_inexact 0
		.amdhsa_exception_int_div_zero 0
	.end_amdhsa_kernel
	.section	.text._ZN2at6native12_GLOBAL__N_125multi_tensor_apply_kernelINS1_18TensorListMetadataILi1EEENS0_13LpNormFunctorIN3c108BFloat16ELNS0_8NormTypeE0ENS6_4HalfELi1ELi1ELi0EEEJPfiEEEvT_T0_DpT1_,"axG",@progbits,_ZN2at6native12_GLOBAL__N_125multi_tensor_apply_kernelINS1_18TensorListMetadataILi1EEENS0_13LpNormFunctorIN3c108BFloat16ELNS0_8NormTypeE0ENS6_4HalfELi1ELi1ELi0EEEJPfiEEEvT_T0_DpT1_,comdat
.Lfunc_end132:
	.size	_ZN2at6native12_GLOBAL__N_125multi_tensor_apply_kernelINS1_18TensorListMetadataILi1EEENS0_13LpNormFunctorIN3c108BFloat16ELNS0_8NormTypeE0ENS6_4HalfELi1ELi1ELi0EEEJPfiEEEvT_T0_DpT1_, .Lfunc_end132-_ZN2at6native12_GLOBAL__N_125multi_tensor_apply_kernelINS1_18TensorListMetadataILi1EEENS0_13LpNormFunctorIN3c108BFloat16ELNS0_8NormTypeE0ENS6_4HalfELi1ELi1ELi0EEEJPfiEEEvT_T0_DpT1_
                                        ; -- End function
	.set _ZN2at6native12_GLOBAL__N_125multi_tensor_apply_kernelINS1_18TensorListMetadataILi1EEENS0_13LpNormFunctorIN3c108BFloat16ELNS0_8NormTypeE0ENS6_4HalfELi1ELi1ELi0EEEJPfiEEEvT_T0_DpT1_.num_vgpr, 24
	.set _ZN2at6native12_GLOBAL__N_125multi_tensor_apply_kernelINS1_18TensorListMetadataILi1EEENS0_13LpNormFunctorIN3c108BFloat16ELNS0_8NormTypeE0ENS6_4HalfELi1ELi1ELi0EEEJPfiEEEvT_T0_DpT1_.num_agpr, 0
	.set _ZN2at6native12_GLOBAL__N_125multi_tensor_apply_kernelINS1_18TensorListMetadataILi1EEENS0_13LpNormFunctorIN3c108BFloat16ELNS0_8NormTypeE0ENS6_4HalfELi1ELi1ELi0EEEJPfiEEEvT_T0_DpT1_.numbered_sgpr, 14
	.set _ZN2at6native12_GLOBAL__N_125multi_tensor_apply_kernelINS1_18TensorListMetadataILi1EEENS0_13LpNormFunctorIN3c108BFloat16ELNS0_8NormTypeE0ENS6_4HalfELi1ELi1ELi0EEEJPfiEEEvT_T0_DpT1_.num_named_barrier, 0
	.set _ZN2at6native12_GLOBAL__N_125multi_tensor_apply_kernelINS1_18TensorListMetadataILi1EEENS0_13LpNormFunctorIN3c108BFloat16ELNS0_8NormTypeE0ENS6_4HalfELi1ELi1ELi0EEEJPfiEEEvT_T0_DpT1_.private_seg_size, 0
	.set _ZN2at6native12_GLOBAL__N_125multi_tensor_apply_kernelINS1_18TensorListMetadataILi1EEENS0_13LpNormFunctorIN3c108BFloat16ELNS0_8NormTypeE0ENS6_4HalfELi1ELi1ELi0EEEJPfiEEEvT_T0_DpT1_.uses_vcc, 1
	.set _ZN2at6native12_GLOBAL__N_125multi_tensor_apply_kernelINS1_18TensorListMetadataILi1EEENS0_13LpNormFunctorIN3c108BFloat16ELNS0_8NormTypeE0ENS6_4HalfELi1ELi1ELi0EEEJPfiEEEvT_T0_DpT1_.uses_flat_scratch, 0
	.set _ZN2at6native12_GLOBAL__N_125multi_tensor_apply_kernelINS1_18TensorListMetadataILi1EEENS0_13LpNormFunctorIN3c108BFloat16ELNS0_8NormTypeE0ENS6_4HalfELi1ELi1ELi0EEEJPfiEEEvT_T0_DpT1_.has_dyn_sized_stack, 0
	.set _ZN2at6native12_GLOBAL__N_125multi_tensor_apply_kernelINS1_18TensorListMetadataILi1EEENS0_13LpNormFunctorIN3c108BFloat16ELNS0_8NormTypeE0ENS6_4HalfELi1ELi1ELi0EEEJPfiEEEvT_T0_DpT1_.has_recursion, 0
	.set _ZN2at6native12_GLOBAL__N_125multi_tensor_apply_kernelINS1_18TensorListMetadataILi1EEENS0_13LpNormFunctorIN3c108BFloat16ELNS0_8NormTypeE0ENS6_4HalfELi1ELi1ELi0EEEJPfiEEEvT_T0_DpT1_.has_indirect_call, 0
	.section	.AMDGPU.csdata,"",@progbits
; Kernel info:
; codeLenInByte = 1572
; TotalNumSgprs: 16
; NumVgprs: 24
; ScratchSize: 0
; MemoryBound: 0
; FloatMode: 240
; IeeeMode: 1
; LDSByteSize: 2048 bytes/workgroup (compile time only)
; SGPRBlocks: 0
; VGPRBlocks: 1
; NumSGPRsForWavesPerEU: 16
; NumVGPRsForWavesPerEU: 24
; NamedBarCnt: 0
; Occupancy: 16
; WaveLimiterHint : 0
; COMPUTE_PGM_RSRC2:SCRATCH_EN: 0
; COMPUTE_PGM_RSRC2:USER_SGPR: 2
; COMPUTE_PGM_RSRC2:TRAP_HANDLER: 0
; COMPUTE_PGM_RSRC2:TGID_X_EN: 1
; COMPUTE_PGM_RSRC2:TGID_Y_EN: 0
; COMPUTE_PGM_RSRC2:TGID_Z_EN: 0
; COMPUTE_PGM_RSRC2:TIDIG_COMP_CNT: 0
	.section	.text._ZN2at6native12_GLOBAL__N_125multi_tensor_apply_kernelINS1_18TensorListMetadataILi1EEENS0_13LpNormFunctorIN3c108BFloat16ELNS0_8NormTypeE1ENS6_4HalfELi1ELi1ELi0EEEJPfiEEEvT_T0_DpT1_,"axG",@progbits,_ZN2at6native12_GLOBAL__N_125multi_tensor_apply_kernelINS1_18TensorListMetadataILi1EEENS0_13LpNormFunctorIN3c108BFloat16ELNS0_8NormTypeE1ENS6_4HalfELi1ELi1ELi0EEEJPfiEEEvT_T0_DpT1_,comdat
	.globl	_ZN2at6native12_GLOBAL__N_125multi_tensor_apply_kernelINS1_18TensorListMetadataILi1EEENS0_13LpNormFunctorIN3c108BFloat16ELNS0_8NormTypeE1ENS6_4HalfELi1ELi1ELi0EEEJPfiEEEvT_T0_DpT1_ ; -- Begin function _ZN2at6native12_GLOBAL__N_125multi_tensor_apply_kernelINS1_18TensorListMetadataILi1EEENS0_13LpNormFunctorIN3c108BFloat16ELNS0_8NormTypeE1ENS6_4HalfELi1ELi1ELi0EEEJPfiEEEvT_T0_DpT1_
	.p2align	8
	.type	_ZN2at6native12_GLOBAL__N_125multi_tensor_apply_kernelINS1_18TensorListMetadataILi1EEENS0_13LpNormFunctorIN3c108BFloat16ELNS0_8NormTypeE1ENS6_4HalfELi1ELi1ELi0EEEJPfiEEEvT_T0_DpT1_,@function
_ZN2at6native12_GLOBAL__N_125multi_tensor_apply_kernelINS1_18TensorListMetadataILi1EEENS0_13LpNormFunctorIN3c108BFloat16ELNS0_8NormTypeE1ENS6_4HalfELi1ELi1ELi0EEEJPfiEEEvT_T0_DpT1_: ; @_ZN2at6native12_GLOBAL__N_125multi_tensor_apply_kernelINS1_18TensorListMetadataILi1EEENS0_13LpNormFunctorIN3c108BFloat16ELNS0_8NormTypeE1ENS6_4HalfELi1ELi1ELi0EEEJPfiEEEvT_T0_DpT1_
; %bb.0:
	s_bfe_u32 s2, ttmp6, 0x4000c
	s_and_b32 s3, ttmp6, 15
	s_add_co_i32 s2, s2, 1
	s_getreg_b32 s4, hwreg(HW_REG_IB_STS2, 6, 4)
	s_mul_i32 s2, ttmp9, s2
	s_delay_alu instid0(SALU_CYCLE_1)
	s_add_co_i32 s3, s3, s2
	s_cmp_eq_u32 s4, 0
	s_cselect_b32 s2, ttmp9, s3
	s_mov_b32 s3, 0
	v_mov_b32_e32 v1, s2
	s_add_nc_u64 s[4:5], s[0:1], s[2:3]
	s_mul_u64 s[6:7], s[2:3], 3
	s_delay_alu instid0(SALU_CYCLE_1) | instskip(SKIP_4) | instid1(SALU_CYCLE_1)
	s_add_nc_u64 s[4:5], s[4:5], s[6:7]
	global_load_u8 v13, v1, s[0:1] offset:1760
	s_load_b32 s4, s[4:5], 0x820
	s_wait_kmcnt 0x0
	s_ashr_i32 s5, s4, 31
	s_lshl_b64 s[10:11], s[4:5], 17
	s_lshl_b64 s[12:13], s[4:5], 16
	s_wait_loadcnt 0x0
	v_readfirstlane_b32 s2, v13
	s_and_b32 s2, s2, 0xff
	s_clause 0x1
	s_load_b64 s[6:7], s[0:1], s2 offset:0x0 scale_offset
	s_load_b64 s[8:9], s[0:1], s2 offset:0x370 scale_offset
	s_wait_kmcnt 0x0
	s_add_nc_u64 s[6:7], s[6:7], s[10:11]
	s_and_b32 s2, s8, 3
	s_and_b64 s[10:11], s[6:7], 7
	s_sub_nc_u64 s[8:9], s[8:9], s[12:13]
	s_or_b64 s[10:11], s[2:3], s[10:11]
	s_delay_alu instid0(SALU_CYCLE_1)
	s_cmp_eq_u64 s[10:11], 0
	s_cbranch_scc1 .LBB133_12
; %bb.1:
	v_cmp_lt_i64_e64 s2, s[8:9], 1
	s_and_b32 vcc_lo, exec_lo, s2
	s_cbranch_vccnz .LBB133_28
; %bb.2:
	s_load_b32 s2, s[0:1], 0xd4c
	v_min_i64 v[10:11], 0x10000, s[8:9]
	s_mov_b32 s11, 0
	s_mov_b64 s[12:13], 0
	s_wait_kmcnt 0x0
	s_and_b32 s2, s2, 0xffff
	s_delay_alu instid0(SALU_CYCLE_1) | instskip(SKIP_3) | instid1(VALU_DEP_3)
	v_dual_mov_b32 v7, 0 :: v_dual_add_nc_u32 v16, s2, v0
	v_mad_u32 v12, s2, 3, v0
	v_lshl_add_u32 v14, s2, 1, v0
	s_lshl_b32 s10, s2, 2
	v_dual_mov_b32 v6, v7 :: v_dual_mov_b32 v8, v7
	v_mov_b32_e32 v9, v7
	s_delay_alu instid0(VALU_DEP_2) | instskip(NEXT) | instid1(VALU_DEP_2)
	v_mov_b64_e32 v[2:3], v[6:7]
	v_mov_b64_e32 v[4:5], v[8:9]
	s_branch .LBB133_4
.LBB133_3:                              ;   in Loop: Header=BB133_4 Depth=1
	s_or_b32 exec_lo, exec_lo, s2
	s_add_nc_u64 s[12:13], s[12:13], s[10:11]
	s_delay_alu instid0(SALU_CYCLE_1)
	v_cmp_lt_i64_e32 vcc_lo, s[12:13], v[10:11]
	s_cbranch_vccz .LBB133_13
.LBB133_4:                              ; =>This Inner Loop Header: Depth=1
	v_add_nc_u32_e32 v6, s12, v0
	s_delay_alu instid0(VALU_DEP_1) | instskip(SKIP_2) | instid1(SALU_CYCLE_1)
	v_cmp_gt_i64_e32 vcc_lo, s[8:9], v[6:7]
	v_cmp_gt_u32_e64 s2, 0x10000, v6
	s_and_b32 s5, s2, vcc_lo
	s_and_saveexec_b32 s2, s5
	s_cbranch_execz .LBB133_6
; %bb.5:                                ;   in Loop: Header=BB133_4 Depth=1
	v_lshl_add_u64 v[8:9], v[6:7], 1, s[6:7]
	global_load_u16 v1, v[8:9], off
	s_wait_loadcnt 0x0
	v_lshlrev_b32_e32 v1, 16, v1
	s_delay_alu instid0(VALU_DEP_1)
	v_add_f32_e64 v2, v2, |v1|
.LBB133_6:                              ;   in Loop: Header=BB133_4 Depth=1
	s_or_b32 exec_lo, exec_lo, s2
	v_add_nc_u32_e32 v6, s12, v16
	s_delay_alu instid0(VALU_DEP_1) | instskip(SKIP_2) | instid1(SALU_CYCLE_1)
	v_cmp_gt_i64_e32 vcc_lo, s[8:9], v[6:7]
	v_cmp_gt_u32_e64 s2, 0x10000, v6
	s_and_b32 s5, s2, vcc_lo
	s_and_saveexec_b32 s2, s5
	s_cbranch_execz .LBB133_8
; %bb.7:                                ;   in Loop: Header=BB133_4 Depth=1
	v_lshl_add_u64 v[8:9], v[6:7], 1, s[6:7]
	global_load_u16 v1, v[8:9], off
	s_wait_loadcnt 0x0
	v_lshlrev_b32_e32 v1, 16, v1
	s_delay_alu instid0(VALU_DEP_1)
	v_add_f32_e64 v3, v3, |v1|
.LBB133_8:                              ;   in Loop: Header=BB133_4 Depth=1
	s_or_b32 exec_lo, exec_lo, s2
	v_add_nc_u32_e32 v6, s12, v14
	s_delay_alu instid0(VALU_DEP_1) | instskip(SKIP_2) | instid1(SALU_CYCLE_1)
	v_cmp_gt_i64_e32 vcc_lo, s[8:9], v[6:7]
	v_cmp_gt_u32_e64 s2, 0x10000, v6
	s_and_b32 s5, s2, vcc_lo
	s_and_saveexec_b32 s2, s5
	s_cbranch_execz .LBB133_10
; %bb.9:                                ;   in Loop: Header=BB133_4 Depth=1
	v_lshl_add_u64 v[8:9], v[6:7], 1, s[6:7]
	global_load_u16 v1, v[8:9], off
	s_wait_loadcnt 0x0
	v_lshlrev_b32_e32 v1, 16, v1
	s_delay_alu instid0(VALU_DEP_1)
	v_add_f32_e64 v4, v4, |v1|
.LBB133_10:                             ;   in Loop: Header=BB133_4 Depth=1
	s_or_b32 exec_lo, exec_lo, s2
	v_add_nc_u32_e32 v6, s12, v12
	s_delay_alu instid0(VALU_DEP_1) | instskip(SKIP_2) | instid1(SALU_CYCLE_1)
	v_cmp_gt_i64_e32 vcc_lo, s[8:9], v[6:7]
	v_cmp_gt_u32_e64 s2, 0x10000, v6
	s_and_b32 s5, s2, vcc_lo
	s_and_saveexec_b32 s2, s5
	s_cbranch_execz .LBB133_3
; %bb.11:                               ;   in Loop: Header=BB133_4 Depth=1
	v_lshl_add_u64 v[8:9], v[6:7], 1, s[6:7]
	global_load_u16 v1, v[8:9], off
	s_wait_loadcnt 0x0
	v_lshlrev_b32_e32 v1, 16, v1
	s_delay_alu instid0(VALU_DEP_1)
	v_add_f32_e64 v5, v5, |v1|
	s_branch .LBB133_3
.LBB133_12:
	s_mov_b32 s3, -1
                                        ; implicit-def: $vgpr2_vgpr3_vgpr4_vgpr5
.LBB133_13:
	s_delay_alu instid0(SALU_CYCLE_1)
	s_and_not1_b32 vcc_lo, exec_lo, s3
	s_cbranch_vccnz .LBB133_19
.LBB133_14:
	v_min_i64 v[6:7], 0x10000, s[8:9]
	v_dual_mov_b32 v2, 0 :: v_dual_lshlrev_b32 v4, 2, v0
	s_mov_b32 s3, 0
	s_delay_alu instid0(VALU_DEP_1) | instskip(NEXT) | instid1(VALU_DEP_1)
	v_dual_mov_b32 v5, v2 :: v_dual_mov_b32 v3, v2
	v_cmp_lt_i64_e32 vcc_lo, v[4:5], v[6:7]
	v_mov_b32_e32 v4, v2
	s_and_saveexec_b32 s5, vcc_lo
	s_cbranch_execz .LBB133_18
; %bb.15:
	s_load_b32 s2, s[0:1], 0xd4c
	v_dual_mov_b32 v9, v2 :: v_dual_lshlrev_b32 v8, 3, v0
	v_dual_mov_b32 v1, v2 :: v_dual_mov_b32 v3, v2
	v_dual_mov_b32 v4, v2 :: v_dual_mov_b32 v5, v2
	s_delay_alu instid0(VALU_DEP_3) | instskip(NEXT) | instid1(VALU_DEP_3)
	v_add_nc_u64_e32 v[8:9], s[6:7], v[8:9]
	v_mov_b64_e32 v[10:11], v[0:1]
	s_mov_b32 s7, s3
	s_mov_b32 s8, s3
	s_wait_kmcnt 0x0
	s_and_b32 s2, s2, 0xffff
	s_delay_alu instid0(SALU_CYCLE_1)
	s_lshl_b32 s6, s2, 3
.LBB133_16:                             ; =>This Inner Loop Header: Depth=1
	global_load_b64 v[14:15], v[8:9], off
	v_add_nc_u64_e32 v[10:11], s[2:3], v[10:11]
	s_wait_xcnt 0x0
	v_add_nc_u64_e32 v[8:9], s[6:7], v[8:9]
	s_delay_alu instid0(VALU_DEP_2) | instskip(NEXT) | instid1(VALU_DEP_1)
	v_lshlrev_b64_e32 v[16:17], 2, v[10:11]
	v_cmp_ge_i64_e32 vcc_lo, v[16:17], v[6:7]
	s_or_b32 s8, vcc_lo, s8
	s_wait_loadcnt 0x0
	v_alignbit_b32 v1, v15, v14, 16
	v_and_b32_e32 v12, 0xffff0000, v15
	v_and_b32_e32 v18, 0xffff0000, v14
	v_lshlrev_b32_e32 v14, 16, v14
	s_delay_alu instid0(VALU_DEP_4) | instskip(NEXT) | instid1(VALU_DEP_4)
	v_and_b32_e32 v1, 0xffff0000, v1
	v_and_b32_e32 v15, 0x7fffffff, v12
	s_delay_alu instid0(VALU_DEP_4) | instskip(NEXT) | instid1(VALU_DEP_4)
	v_and_b32_e32 v17, 0x7fffffff, v18
	v_and_b32_e32 v16, 0x7fffffff, v14
	s_delay_alu instid0(VALU_DEP_4) | instskip(NEXT) | instid1(VALU_DEP_2)
	v_and_b32_e32 v14, 0x7fffffff, v1
	v_pk_add_f32 v[2:3], v[2:3], v[16:17]
	s_delay_alu instid0(VALU_DEP_2)
	v_pk_add_f32 v[4:5], v[4:5], v[14:15]
	s_and_not1_b32 exec_lo, exec_lo, s8
	s_cbranch_execnz .LBB133_16
; %bb.17:
	s_or_b32 exec_lo, exec_lo, s8
.LBB133_18:
	s_delay_alu instid0(SALU_CYCLE_1)
	s_or_b32 exec_lo, exec_lo, s5
.LBB133_19:
	v_add_f32_e32 v1, 0, v2
	v_mbcnt_lo_u32_b32 v6, -1, 0
	s_mov_b32 s2, exec_lo
	s_barrier_signal -1
	s_delay_alu instid0(VALU_DEP_2) | instskip(NEXT) | instid1(VALU_DEP_2)
	v_add_f32_e32 v1, v3, v1
	v_cmp_gt_u32_e32 vcc_lo, 24, v6
	s_barrier_wait -1
	s_delay_alu instid0(VALU_DEP_2) | instskip(SKIP_1) | instid1(VALU_DEP_2)
	v_add_f32_e32 v2, v4, v1
	v_lshl_or_b32 v1, v6, 2, 64
	v_add_f32_e32 v3, v5, v2
	v_cndmask_b32_e64 v2, 0, 8, vcc_lo
	v_cmp_gt_u32_e32 vcc_lo, 28, v6
	ds_bpermute_b32 v4, v1, v3
	v_add_lshl_u32 v2, v2, v6, 2
	s_wait_dscnt 0x0
	v_add_f32_e32 v4, v3, v4
	v_cndmask_b32_e64 v3, 0, 4, vcc_lo
	v_cmp_gt_u32_e32 vcc_lo, 30, v6
	ds_bpermute_b32 v5, v2, v4
	v_add_lshl_u32 v3, v3, v6, 2
	s_wait_dscnt 0x0
	v_add_f32_e32 v5, v4, v5
	v_cndmask_b32_e64 v4, 0, 2, vcc_lo
	v_cmp_ne_u32_e32 vcc_lo, 31, v6
	ds_bpermute_b32 v7, v3, v5
	v_add_lshl_u32 v4, v4, v6, 2
	v_add_co_ci_u32_e64 v8, null, 0, v6, vcc_lo
	s_wait_dscnt 0x0
	v_add_f32_e32 v5, v5, v7
	ds_bpermute_b32 v7, v4, v5
	s_wait_dscnt 0x0
	v_dual_add_f32 v6, v5, v7 :: v_dual_lshlrev_b32 v5, 2, v8
	v_and_b32_e32 v7, 31, v0
	ds_bpermute_b32 v8, v5, v6
	v_cmpx_eq_u32_e32 0, v7
	s_cbranch_execz .LBB133_21
; %bb.20:
	v_lshrrev_b32_e32 v9, 3, v0
	s_wait_dscnt 0x0
	v_add_f32_e32 v6, v6, v8
	ds_store_b32 v9, v6
.LBB133_21:
	s_or_b32 exec_lo, exec_lo, s2
	s_wait_dscnt 0x0
	s_barrier_signal -1
	s_barrier_wait -1
	s_load_b32 s2, s[0:1], 0xd4c
	v_mov_b32_e32 v6, 0
	s_wait_kmcnt 0x0
	s_bfe_u32 s2, s2, 0xb0005
	s_delay_alu instid0(SALU_CYCLE_1)
	v_cmp_gt_u32_e32 vcc_lo, s2, v0
	s_and_saveexec_b32 s2, vcc_lo
; %bb.22:
	v_lshlrev_b32_e32 v6, 2, v7
	ds_load_b32 v6, v6
; %bb.23:
	s_or_b32 exec_lo, exec_lo, s2
	s_delay_alu instid0(SALU_CYCLE_1)
	s_mov_b32 s2, exec_lo
	v_cmpx_gt_u32_e32 32, v0
	s_cbranch_execz .LBB133_25
; %bb.24:
	s_wait_dscnt 0x0
	ds_bpermute_b32 v1, v1, v6
	s_wait_dscnt 0x0
	v_add_f32_e32 v1, v6, v1
	ds_bpermute_b32 v2, v2, v1
	s_wait_dscnt 0x0
	v_add_f32_e32 v1, v1, v2
	;; [unrolled: 3-line block ×5, first 2 shown]
.LBB133_25:
	s_or_b32 exec_lo, exec_lo, s2
	s_delay_alu instid0(SALU_CYCLE_1)
	s_mov_b32 s2, exec_lo
	v_cmpx_eq_u32_e32 0, v0
	s_cbranch_execz .LBB133_27
; %bb.26:
	s_clause 0x1
	s_load_b32 s2, s[0:1], 0xd20
	s_load_b96 s[8:10], s[0:1], 0xd30
	v_and_b32_e32 v0, 0xff, v13
	s_wait_kmcnt 0x0
	s_delay_alu instid0(VALU_DEP_1) | instskip(NEXT) | instid1(VALU_DEP_1)
	v_add_nc_u32_e32 v0, s2, v0
	v_mul_lo_u32 v0, v0, s10
	s_delay_alu instid0(VALU_DEP_1)
	v_add_nc_u32_e32 v0, s4, v0
	s_wait_dscnt 0x0
	global_store_b32 v0, v6, s[8:9] scale_offset
.LBB133_27:
	s_endpgm
.LBB133_28:
	v_mov_b32_e32 v2, 0
	s_delay_alu instid0(VALU_DEP_1)
	v_dual_mov_b32 v3, v2 :: v_dual_mov_b32 v4, v2
	v_mov_b32_e32 v5, v2
	s_and_not1_b32 vcc_lo, exec_lo, s3
	s_cbranch_vccz .LBB133_14
	s_branch .LBB133_19
	.section	.rodata,"a",@progbits
	.p2align	6, 0x0
	.amdhsa_kernel _ZN2at6native12_GLOBAL__N_125multi_tensor_apply_kernelINS1_18TensorListMetadataILi1EEENS0_13LpNormFunctorIN3c108BFloat16ELNS0_8NormTypeE1ENS6_4HalfELi1ELi1ELi0EEEJPfiEEEvT_T0_DpT1_
		.amdhsa_group_segment_fixed_size 2048
		.amdhsa_private_segment_fixed_size 0
		.amdhsa_kernarg_size 3648
		.amdhsa_user_sgpr_count 2
		.amdhsa_user_sgpr_dispatch_ptr 0
		.amdhsa_user_sgpr_queue_ptr 0
		.amdhsa_user_sgpr_kernarg_segment_ptr 1
		.amdhsa_user_sgpr_dispatch_id 0
		.amdhsa_user_sgpr_kernarg_preload_length 0
		.amdhsa_user_sgpr_kernarg_preload_offset 0
		.amdhsa_user_sgpr_private_segment_size 0
		.amdhsa_wavefront_size32 1
		.amdhsa_uses_dynamic_stack 0
		.amdhsa_enable_private_segment 0
		.amdhsa_system_sgpr_workgroup_id_x 1
		.amdhsa_system_sgpr_workgroup_id_y 0
		.amdhsa_system_sgpr_workgroup_id_z 0
		.amdhsa_system_sgpr_workgroup_info 0
		.amdhsa_system_vgpr_workitem_id 0
		.amdhsa_next_free_vgpr 19
		.amdhsa_next_free_sgpr 14
		.amdhsa_named_barrier_count 0
		.amdhsa_reserve_vcc 1
		.amdhsa_float_round_mode_32 0
		.amdhsa_float_round_mode_16_64 0
		.amdhsa_float_denorm_mode_32 3
		.amdhsa_float_denorm_mode_16_64 3
		.amdhsa_fp16_overflow 0
		.amdhsa_memory_ordered 1
		.amdhsa_forward_progress 1
		.amdhsa_inst_pref_size 12
		.amdhsa_round_robin_scheduling 0
		.amdhsa_exception_fp_ieee_invalid_op 0
		.amdhsa_exception_fp_denorm_src 0
		.amdhsa_exception_fp_ieee_div_zero 0
		.amdhsa_exception_fp_ieee_overflow 0
		.amdhsa_exception_fp_ieee_underflow 0
		.amdhsa_exception_fp_ieee_inexact 0
		.amdhsa_exception_int_div_zero 0
	.end_amdhsa_kernel
	.section	.text._ZN2at6native12_GLOBAL__N_125multi_tensor_apply_kernelINS1_18TensorListMetadataILi1EEENS0_13LpNormFunctorIN3c108BFloat16ELNS0_8NormTypeE1ENS6_4HalfELi1ELi1ELi0EEEJPfiEEEvT_T0_DpT1_,"axG",@progbits,_ZN2at6native12_GLOBAL__N_125multi_tensor_apply_kernelINS1_18TensorListMetadataILi1EEENS0_13LpNormFunctorIN3c108BFloat16ELNS0_8NormTypeE1ENS6_4HalfELi1ELi1ELi0EEEJPfiEEEvT_T0_DpT1_,comdat
.Lfunc_end133:
	.size	_ZN2at6native12_GLOBAL__N_125multi_tensor_apply_kernelINS1_18TensorListMetadataILi1EEENS0_13LpNormFunctorIN3c108BFloat16ELNS0_8NormTypeE1ENS6_4HalfELi1ELi1ELi0EEEJPfiEEEvT_T0_DpT1_, .Lfunc_end133-_ZN2at6native12_GLOBAL__N_125multi_tensor_apply_kernelINS1_18TensorListMetadataILi1EEENS0_13LpNormFunctorIN3c108BFloat16ELNS0_8NormTypeE1ENS6_4HalfELi1ELi1ELi0EEEJPfiEEEvT_T0_DpT1_
                                        ; -- End function
	.set _ZN2at6native12_GLOBAL__N_125multi_tensor_apply_kernelINS1_18TensorListMetadataILi1EEENS0_13LpNormFunctorIN3c108BFloat16ELNS0_8NormTypeE1ENS6_4HalfELi1ELi1ELi0EEEJPfiEEEvT_T0_DpT1_.num_vgpr, 19
	.set _ZN2at6native12_GLOBAL__N_125multi_tensor_apply_kernelINS1_18TensorListMetadataILi1EEENS0_13LpNormFunctorIN3c108BFloat16ELNS0_8NormTypeE1ENS6_4HalfELi1ELi1ELi0EEEJPfiEEEvT_T0_DpT1_.num_agpr, 0
	.set _ZN2at6native12_GLOBAL__N_125multi_tensor_apply_kernelINS1_18TensorListMetadataILi1EEENS0_13LpNormFunctorIN3c108BFloat16ELNS0_8NormTypeE1ENS6_4HalfELi1ELi1ELi0EEEJPfiEEEvT_T0_DpT1_.numbered_sgpr, 14
	.set _ZN2at6native12_GLOBAL__N_125multi_tensor_apply_kernelINS1_18TensorListMetadataILi1EEENS0_13LpNormFunctorIN3c108BFloat16ELNS0_8NormTypeE1ENS6_4HalfELi1ELi1ELi0EEEJPfiEEEvT_T0_DpT1_.num_named_barrier, 0
	.set _ZN2at6native12_GLOBAL__N_125multi_tensor_apply_kernelINS1_18TensorListMetadataILi1EEENS0_13LpNormFunctorIN3c108BFloat16ELNS0_8NormTypeE1ENS6_4HalfELi1ELi1ELi0EEEJPfiEEEvT_T0_DpT1_.private_seg_size, 0
	.set _ZN2at6native12_GLOBAL__N_125multi_tensor_apply_kernelINS1_18TensorListMetadataILi1EEENS0_13LpNormFunctorIN3c108BFloat16ELNS0_8NormTypeE1ENS6_4HalfELi1ELi1ELi0EEEJPfiEEEvT_T0_DpT1_.uses_vcc, 1
	.set _ZN2at6native12_GLOBAL__N_125multi_tensor_apply_kernelINS1_18TensorListMetadataILi1EEENS0_13LpNormFunctorIN3c108BFloat16ELNS0_8NormTypeE1ENS6_4HalfELi1ELi1ELi0EEEJPfiEEEvT_T0_DpT1_.uses_flat_scratch, 0
	.set _ZN2at6native12_GLOBAL__N_125multi_tensor_apply_kernelINS1_18TensorListMetadataILi1EEENS0_13LpNormFunctorIN3c108BFloat16ELNS0_8NormTypeE1ENS6_4HalfELi1ELi1ELi0EEEJPfiEEEvT_T0_DpT1_.has_dyn_sized_stack, 0
	.set _ZN2at6native12_GLOBAL__N_125multi_tensor_apply_kernelINS1_18TensorListMetadataILi1EEENS0_13LpNormFunctorIN3c108BFloat16ELNS0_8NormTypeE1ENS6_4HalfELi1ELi1ELi0EEEJPfiEEEvT_T0_DpT1_.has_recursion, 0
	.set _ZN2at6native12_GLOBAL__N_125multi_tensor_apply_kernelINS1_18TensorListMetadataILi1EEENS0_13LpNormFunctorIN3c108BFloat16ELNS0_8NormTypeE1ENS6_4HalfELi1ELi1ELi0EEEJPfiEEEvT_T0_DpT1_.has_indirect_call, 0
	.section	.AMDGPU.csdata,"",@progbits
; Kernel info:
; codeLenInByte = 1476
; TotalNumSgprs: 16
; NumVgprs: 19
; ScratchSize: 0
; MemoryBound: 0
; FloatMode: 240
; IeeeMode: 1
; LDSByteSize: 2048 bytes/workgroup (compile time only)
; SGPRBlocks: 0
; VGPRBlocks: 1
; NumSGPRsForWavesPerEU: 16
; NumVGPRsForWavesPerEU: 19
; NamedBarCnt: 0
; Occupancy: 16
; WaveLimiterHint : 0
; COMPUTE_PGM_RSRC2:SCRATCH_EN: 0
; COMPUTE_PGM_RSRC2:USER_SGPR: 2
; COMPUTE_PGM_RSRC2:TRAP_HANDLER: 0
; COMPUTE_PGM_RSRC2:TGID_X_EN: 1
; COMPUTE_PGM_RSRC2:TGID_Y_EN: 0
; COMPUTE_PGM_RSRC2:TGID_Z_EN: 0
; COMPUTE_PGM_RSRC2:TIDIG_COMP_CNT: 0
	.section	.text._ZN2at6native12_GLOBAL__N_125multi_tensor_apply_kernelINS1_18TensorListMetadataILi1EEENS0_13LpNormFunctorIN3c108BFloat16ELNS0_8NormTypeE2ENS6_4HalfELi1ELi1ELi0EEEJPfiEEEvT_T0_DpT1_,"axG",@progbits,_ZN2at6native12_GLOBAL__N_125multi_tensor_apply_kernelINS1_18TensorListMetadataILi1EEENS0_13LpNormFunctorIN3c108BFloat16ELNS0_8NormTypeE2ENS6_4HalfELi1ELi1ELi0EEEJPfiEEEvT_T0_DpT1_,comdat
	.globl	_ZN2at6native12_GLOBAL__N_125multi_tensor_apply_kernelINS1_18TensorListMetadataILi1EEENS0_13LpNormFunctorIN3c108BFloat16ELNS0_8NormTypeE2ENS6_4HalfELi1ELi1ELi0EEEJPfiEEEvT_T0_DpT1_ ; -- Begin function _ZN2at6native12_GLOBAL__N_125multi_tensor_apply_kernelINS1_18TensorListMetadataILi1EEENS0_13LpNormFunctorIN3c108BFloat16ELNS0_8NormTypeE2ENS6_4HalfELi1ELi1ELi0EEEJPfiEEEvT_T0_DpT1_
	.p2align	8
	.type	_ZN2at6native12_GLOBAL__N_125multi_tensor_apply_kernelINS1_18TensorListMetadataILi1EEENS0_13LpNormFunctorIN3c108BFloat16ELNS0_8NormTypeE2ENS6_4HalfELi1ELi1ELi0EEEJPfiEEEvT_T0_DpT1_,@function
_ZN2at6native12_GLOBAL__N_125multi_tensor_apply_kernelINS1_18TensorListMetadataILi1EEENS0_13LpNormFunctorIN3c108BFloat16ELNS0_8NormTypeE2ENS6_4HalfELi1ELi1ELi0EEEJPfiEEEvT_T0_DpT1_: ; @_ZN2at6native12_GLOBAL__N_125multi_tensor_apply_kernelINS1_18TensorListMetadataILi1EEENS0_13LpNormFunctorIN3c108BFloat16ELNS0_8NormTypeE2ENS6_4HalfELi1ELi1ELi0EEEJPfiEEEvT_T0_DpT1_
; %bb.0:
	s_bfe_u32 s2, ttmp6, 0x4000c
	s_and_b32 s3, ttmp6, 15
	s_add_co_i32 s2, s2, 1
	s_getreg_b32 s4, hwreg(HW_REG_IB_STS2, 6, 4)
	s_mul_i32 s2, ttmp9, s2
	s_delay_alu instid0(SALU_CYCLE_1)
	s_add_co_i32 s3, s3, s2
	s_cmp_eq_u32 s4, 0
	s_cselect_b32 s2, ttmp9, s3
	s_mov_b32 s3, 0
	v_mov_b32_e32 v1, s2
	s_add_nc_u64 s[4:5], s[0:1], s[2:3]
	s_mul_u64 s[6:7], s[2:3], 3
	s_delay_alu instid0(SALU_CYCLE_1) | instskip(SKIP_4) | instid1(SALU_CYCLE_1)
	s_add_nc_u64 s[4:5], s[4:5], s[6:7]
	global_load_u8 v15, v1, s[0:1] offset:1760
	s_load_b32 s4, s[4:5], 0x820
	s_wait_kmcnt 0x0
	s_ashr_i32 s5, s4, 31
	s_lshl_b64 s[10:11], s[4:5], 17
	s_lshl_b64 s[12:13], s[4:5], 16
	s_wait_loadcnt 0x0
	v_readfirstlane_b32 s2, v15
	s_and_b32 s2, s2, 0xff
	s_clause 0x1
	s_load_b64 s[6:7], s[0:1], s2 offset:0x0 scale_offset
	s_load_b64 s[8:9], s[0:1], s2 offset:0x370 scale_offset
	s_wait_kmcnt 0x0
	s_add_nc_u64 s[6:7], s[6:7], s[10:11]
	s_and_b32 s2, s8, 3
	s_and_b64 s[10:11], s[6:7], 7
	s_sub_nc_u64 s[8:9], s[8:9], s[12:13]
	s_or_b64 s[10:11], s[2:3], s[10:11]
	s_delay_alu instid0(SALU_CYCLE_1)
	s_cmp_eq_u64 s[10:11], 0
	s_cbranch_scc1 .LBB134_12
; %bb.1:
	v_cmp_lt_i64_e64 s2, s[8:9], 1
	s_and_b32 vcc_lo, exec_lo, s2
	s_cbranch_vccnz .LBB134_28
; %bb.2:
	s_load_b32 s2, s[0:1], 0xd4c
	v_min_i64 v[10:11], 0x10000, s[8:9]
	s_mov_b32 s11, 0
	s_mov_b64 s[12:13], 0
	s_wait_kmcnt 0x0
	s_and_b32 s2, s2, 0xffff
	s_delay_alu instid0(SALU_CYCLE_1) | instskip(SKIP_3) | instid1(VALU_DEP_3)
	v_dual_mov_b32 v7, 0 :: v_dual_add_nc_u32 v16, s2, v0
	v_mad_u32 v12, s2, 3, v0
	v_lshl_add_u32 v14, s2, 1, v0
	s_lshl_b32 s10, s2, 2
	v_dual_mov_b32 v6, v7 :: v_dual_mov_b32 v8, v7
	v_mov_b32_e32 v9, v7
	s_delay_alu instid0(VALU_DEP_2) | instskip(NEXT) | instid1(VALU_DEP_2)
	v_mov_b64_e32 v[2:3], v[6:7]
	v_mov_b64_e32 v[4:5], v[8:9]
	s_branch .LBB134_4
.LBB134_3:                              ;   in Loop: Header=BB134_4 Depth=1
	s_or_b32 exec_lo, exec_lo, s2
	s_add_nc_u64 s[12:13], s[12:13], s[10:11]
	s_delay_alu instid0(SALU_CYCLE_1)
	v_cmp_lt_i64_e32 vcc_lo, s[12:13], v[10:11]
	s_cbranch_vccz .LBB134_13
.LBB134_4:                              ; =>This Inner Loop Header: Depth=1
	v_add_nc_u32_e32 v6, s12, v0
	s_delay_alu instid0(VALU_DEP_1) | instskip(SKIP_2) | instid1(SALU_CYCLE_1)
	v_cmp_gt_i64_e32 vcc_lo, s[8:9], v[6:7]
	v_cmp_gt_u32_e64 s2, 0x10000, v6
	s_and_b32 s5, s2, vcc_lo
	s_and_saveexec_b32 s2, s5
	s_cbranch_execz .LBB134_6
; %bb.5:                                ;   in Loop: Header=BB134_4 Depth=1
	v_lshl_add_u64 v[8:9], v[6:7], 1, s[6:7]
	global_load_u16 v1, v[8:9], off
	s_wait_loadcnt 0x0
	v_fma_mix_f32_bf16 v2, v1, v1, v2 op_sel_hi:[1,1,0]
.LBB134_6:                              ;   in Loop: Header=BB134_4 Depth=1
	s_or_b32 exec_lo, exec_lo, s2
	v_add_nc_u32_e32 v6, s12, v16
	s_delay_alu instid0(VALU_DEP_1) | instskip(SKIP_2) | instid1(SALU_CYCLE_1)
	v_cmp_gt_i64_e32 vcc_lo, s[8:9], v[6:7]
	v_cmp_gt_u32_e64 s2, 0x10000, v6
	s_and_b32 s5, s2, vcc_lo
	s_and_saveexec_b32 s2, s5
	s_cbranch_execz .LBB134_8
; %bb.7:                                ;   in Loop: Header=BB134_4 Depth=1
	v_lshl_add_u64 v[8:9], v[6:7], 1, s[6:7]
	global_load_u16 v1, v[8:9], off
	s_wait_loadcnt 0x0
	v_fma_mix_f32_bf16 v3, v1, v1, v3 op_sel_hi:[1,1,0]
.LBB134_8:                              ;   in Loop: Header=BB134_4 Depth=1
	s_or_b32 exec_lo, exec_lo, s2
	v_add_nc_u32_e32 v6, s12, v14
	s_delay_alu instid0(VALU_DEP_1) | instskip(SKIP_2) | instid1(SALU_CYCLE_1)
	v_cmp_gt_i64_e32 vcc_lo, s[8:9], v[6:7]
	v_cmp_gt_u32_e64 s2, 0x10000, v6
	s_and_b32 s5, s2, vcc_lo
	s_and_saveexec_b32 s2, s5
	s_cbranch_execz .LBB134_10
; %bb.9:                                ;   in Loop: Header=BB134_4 Depth=1
	v_lshl_add_u64 v[8:9], v[6:7], 1, s[6:7]
	global_load_u16 v1, v[8:9], off
	s_wait_loadcnt 0x0
	v_fma_mix_f32_bf16 v4, v1, v1, v4 op_sel_hi:[1,1,0]
.LBB134_10:                             ;   in Loop: Header=BB134_4 Depth=1
	s_or_b32 exec_lo, exec_lo, s2
	v_add_nc_u32_e32 v6, s12, v12
	s_delay_alu instid0(VALU_DEP_1) | instskip(SKIP_2) | instid1(SALU_CYCLE_1)
	v_cmp_gt_i64_e32 vcc_lo, s[8:9], v[6:7]
	v_cmp_gt_u32_e64 s2, 0x10000, v6
	s_and_b32 s5, s2, vcc_lo
	s_and_saveexec_b32 s2, s5
	s_cbranch_execz .LBB134_3
; %bb.11:                               ;   in Loop: Header=BB134_4 Depth=1
	v_lshl_add_u64 v[8:9], v[6:7], 1, s[6:7]
	global_load_u16 v1, v[8:9], off
	s_wait_loadcnt 0x0
	v_fma_mix_f32_bf16 v5, v1, v1, v5 op_sel_hi:[1,1,0]
	s_branch .LBB134_3
.LBB134_12:
	s_mov_b32 s3, -1
                                        ; implicit-def: $vgpr2_vgpr3_vgpr4_vgpr5
.LBB134_13:
	s_delay_alu instid0(SALU_CYCLE_1)
	s_and_not1_b32 vcc_lo, exec_lo, s3
	s_cbranch_vccnz .LBB134_19
.LBB134_14:
	v_min_i64 v[8:9], 0x10000, s[8:9]
	v_dual_mov_b32 v3, 0 :: v_dual_lshlrev_b32 v2, 2, v0
	s_mov_b32 s3, 0
	s_delay_alu instid0(VALU_DEP_1) | instskip(NEXT) | instid1(VALU_DEP_2)
	v_dual_mov_b32 v5, v3 :: v_dual_mov_b32 v4, v3
	v_cmp_lt_i64_e32 vcc_lo, v[2:3], v[8:9]
	v_mov_b32_e32 v2, v3
	s_and_saveexec_b32 s5, vcc_lo
	s_cbranch_execz .LBB134_18
; %bb.15:
	s_load_b32 s2, s[0:1], 0xd4c
	v_dual_mov_b32 v1, v3 :: v_dual_lshlrev_b32 v2, 3, v0
	v_dual_mov_b32 v5, 0 :: v_dual_mov_b32 v6, 0
	v_mov_b32_e32 v7, 0
	s_delay_alu instid0(VALU_DEP_3) | instskip(NEXT) | instid1(VALU_DEP_4)
	v_add_nc_u64_e32 v[10:11], s[6:7], v[2:3]
	v_mov_b64_e32 v[12:13], v[0:1]
	s_mov_b32 s7, s3
	s_mov_b32 s8, s3
	s_wait_kmcnt 0x0
	s_and_b32 s2, s2, 0xffff
	s_delay_alu instid0(SALU_CYCLE_1)
	s_lshl_b32 s6, s2, 3
.LBB134_16:                             ; =>This Inner Loop Header: Depth=1
	global_load_b64 v[16:17], v[10:11], off
	v_add_nc_u64_e32 v[12:13], s[2:3], v[12:13]
	s_wait_xcnt 0x0
	v_add_nc_u64_e32 v[10:11], s[6:7], v[10:11]
	s_delay_alu instid0(VALU_DEP_2) | instskip(NEXT) | instid1(VALU_DEP_1)
	v_lshlrev_b64_e32 v[18:19], 2, v[12:13]
	v_cmp_ge_i64_e32 vcc_lo, v[18:19], v[8:9]
	s_or_b32 s8, vcc_lo, s8
	s_wait_loadcnt 0x0
	v_alignbit_b32 v1, v17, v16, 16
	v_fma_mix_f32_bf16 v3, v16, v16, v3 op_sel_hi:[1,1,0]
	v_fma_mix_f32_bf16 v5, v16, v16, v5 op_sel:[1,1,0] op_sel_hi:[1,1,0]
	v_fma_mix_f32_bf16 v7, v17, v17, v7 op_sel:[1,1,0] op_sel_hi:[1,1,0]
	s_delay_alu instid0(VALU_DEP_4)
	v_fma_mix_f32_bf16 v6, v1, v1, v6 op_sel:[1,1,0] op_sel_hi:[1,1,0]
	s_and_not1_b32 exec_lo, exec_lo, s8
	s_cbranch_execnz .LBB134_16
; %bb.17:
	s_or_b32 exec_lo, exec_lo, s8
	v_mov_b32_e32 v4, v3
	s_delay_alu instid0(VALU_DEP_1)
	v_mov_b64_e32 v[2:3], v[4:5]
	v_mov_b64_e32 v[4:5], v[6:7]
.LBB134_18:
	s_or_b32 exec_lo, exec_lo, s5
.LBB134_19:
	s_delay_alu instid0(VALU_DEP_1) | instskip(SKIP_3) | instid1(VALU_DEP_2)
	v_add_f32_e32 v1, 0, v2
	v_mbcnt_lo_u32_b32 v6, -1, 0
	s_mov_b32 s2, exec_lo
	s_barrier_signal -1
	v_add_f32_e32 v1, v3, v1
	s_delay_alu instid0(VALU_DEP_2) | instskip(SKIP_1) | instid1(VALU_DEP_2)
	v_cmp_gt_u32_e32 vcc_lo, 24, v6
	s_barrier_wait -1
	v_add_f32_e32 v2, v4, v1
	v_lshl_or_b32 v1, v6, 2, 64
	s_delay_alu instid0(VALU_DEP_2)
	v_add_f32_e32 v3, v5, v2
	v_cndmask_b32_e64 v2, 0, 8, vcc_lo
	v_cmp_gt_u32_e32 vcc_lo, 28, v6
	ds_bpermute_b32 v4, v1, v3
	v_add_lshl_u32 v2, v2, v6, 2
	s_wait_dscnt 0x0
	v_add_f32_e32 v4, v3, v4
	v_cndmask_b32_e64 v3, 0, 4, vcc_lo
	v_cmp_gt_u32_e32 vcc_lo, 30, v6
	ds_bpermute_b32 v5, v2, v4
	v_add_lshl_u32 v3, v3, v6, 2
	s_wait_dscnt 0x0
	v_add_f32_e32 v5, v4, v5
	v_cndmask_b32_e64 v4, 0, 2, vcc_lo
	v_cmp_ne_u32_e32 vcc_lo, 31, v6
	ds_bpermute_b32 v7, v3, v5
	v_add_lshl_u32 v4, v4, v6, 2
	v_add_co_ci_u32_e64 v8, null, 0, v6, vcc_lo
	s_wait_dscnt 0x0
	v_add_f32_e32 v5, v5, v7
	ds_bpermute_b32 v7, v4, v5
	s_wait_dscnt 0x0
	v_dual_add_f32 v6, v5, v7 :: v_dual_lshlrev_b32 v5, 2, v8
	v_and_b32_e32 v7, 31, v0
	ds_bpermute_b32 v8, v5, v6
	v_cmpx_eq_u32_e32 0, v7
	s_cbranch_execz .LBB134_21
; %bb.20:
	v_lshrrev_b32_e32 v9, 3, v0
	s_wait_dscnt 0x0
	v_add_f32_e32 v6, v6, v8
	ds_store_b32 v9, v6
.LBB134_21:
	s_or_b32 exec_lo, exec_lo, s2
	s_wait_dscnt 0x0
	s_barrier_signal -1
	s_barrier_wait -1
	s_load_b32 s2, s[0:1], 0xd4c
	v_mov_b32_e32 v6, 0
	s_wait_kmcnt 0x0
	s_bfe_u32 s2, s2, 0xb0005
	s_delay_alu instid0(SALU_CYCLE_1)
	v_cmp_gt_u32_e32 vcc_lo, s2, v0
	s_and_saveexec_b32 s2, vcc_lo
; %bb.22:
	v_lshlrev_b32_e32 v6, 2, v7
	ds_load_b32 v6, v6
; %bb.23:
	s_or_b32 exec_lo, exec_lo, s2
	s_delay_alu instid0(SALU_CYCLE_1)
	s_mov_b32 s2, exec_lo
	v_cmpx_gt_u32_e32 32, v0
	s_cbranch_execz .LBB134_25
; %bb.24:
	s_wait_dscnt 0x0
	ds_bpermute_b32 v1, v1, v6
	s_wait_dscnt 0x0
	v_add_f32_e32 v1, v6, v1
	ds_bpermute_b32 v2, v2, v1
	s_wait_dscnt 0x0
	v_add_f32_e32 v1, v1, v2
	;; [unrolled: 3-line block ×5, first 2 shown]
.LBB134_25:
	s_or_b32 exec_lo, exec_lo, s2
	s_delay_alu instid0(SALU_CYCLE_1)
	s_mov_b32 s2, exec_lo
	v_cmpx_eq_u32_e32 0, v0
	s_cbranch_execz .LBB134_27
; %bb.26:
	s_clause 0x1
	s_load_b32 s2, s[0:1], 0xd20
	s_load_b96 s[8:10], s[0:1], 0xd30
	v_and_b32_e32 v0, 0xff, v15
	s_wait_kmcnt 0x0
	s_delay_alu instid0(VALU_DEP_1) | instskip(NEXT) | instid1(VALU_DEP_1)
	v_add_nc_u32_e32 v0, s2, v0
	v_mul_lo_u32 v0, v0, s10
	s_delay_alu instid0(VALU_DEP_1)
	v_add_nc_u32_e32 v0, s4, v0
	s_wait_dscnt 0x0
	global_store_b32 v0, v6, s[8:9] scale_offset
.LBB134_27:
	s_endpgm
.LBB134_28:
	v_mov_b32_e32 v2, 0
	s_delay_alu instid0(VALU_DEP_1)
	v_dual_mov_b32 v3, v2 :: v_dual_mov_b32 v4, v2
	v_mov_b32_e32 v5, v2
	s_and_not1_b32 vcc_lo, exec_lo, s3
	s_cbranch_vccz .LBB134_14
	s_branch .LBB134_19
	.section	.rodata,"a",@progbits
	.p2align	6, 0x0
	.amdhsa_kernel _ZN2at6native12_GLOBAL__N_125multi_tensor_apply_kernelINS1_18TensorListMetadataILi1EEENS0_13LpNormFunctorIN3c108BFloat16ELNS0_8NormTypeE2ENS6_4HalfELi1ELi1ELi0EEEJPfiEEEvT_T0_DpT1_
		.amdhsa_group_segment_fixed_size 2048
		.amdhsa_private_segment_fixed_size 0
		.amdhsa_kernarg_size 3648
		.amdhsa_user_sgpr_count 2
		.amdhsa_user_sgpr_dispatch_ptr 0
		.amdhsa_user_sgpr_queue_ptr 0
		.amdhsa_user_sgpr_kernarg_segment_ptr 1
		.amdhsa_user_sgpr_dispatch_id 0
		.amdhsa_user_sgpr_kernarg_preload_length 0
		.amdhsa_user_sgpr_kernarg_preload_offset 0
		.amdhsa_user_sgpr_private_segment_size 0
		.amdhsa_wavefront_size32 1
		.amdhsa_uses_dynamic_stack 0
		.amdhsa_enable_private_segment 0
		.amdhsa_system_sgpr_workgroup_id_x 1
		.amdhsa_system_sgpr_workgroup_id_y 0
		.amdhsa_system_sgpr_workgroup_id_z 0
		.amdhsa_system_sgpr_workgroup_info 0
		.amdhsa_system_vgpr_workitem_id 0
		.amdhsa_next_free_vgpr 20
		.amdhsa_next_free_sgpr 14
		.amdhsa_named_barrier_count 0
		.amdhsa_reserve_vcc 1
		.amdhsa_float_round_mode_32 0
		.amdhsa_float_round_mode_16_64 0
		.amdhsa_float_denorm_mode_32 3
		.amdhsa_float_denorm_mode_16_64 3
		.amdhsa_fp16_overflow 0
		.amdhsa_memory_ordered 1
		.amdhsa_forward_progress 1
		.amdhsa_inst_pref_size 11
		.amdhsa_round_robin_scheduling 0
		.amdhsa_exception_fp_ieee_invalid_op 0
		.amdhsa_exception_fp_denorm_src 0
		.amdhsa_exception_fp_ieee_div_zero 0
		.amdhsa_exception_fp_ieee_overflow 0
		.amdhsa_exception_fp_ieee_underflow 0
		.amdhsa_exception_fp_ieee_inexact 0
		.amdhsa_exception_int_div_zero 0
	.end_amdhsa_kernel
	.section	.text._ZN2at6native12_GLOBAL__N_125multi_tensor_apply_kernelINS1_18TensorListMetadataILi1EEENS0_13LpNormFunctorIN3c108BFloat16ELNS0_8NormTypeE2ENS6_4HalfELi1ELi1ELi0EEEJPfiEEEvT_T0_DpT1_,"axG",@progbits,_ZN2at6native12_GLOBAL__N_125multi_tensor_apply_kernelINS1_18TensorListMetadataILi1EEENS0_13LpNormFunctorIN3c108BFloat16ELNS0_8NormTypeE2ENS6_4HalfELi1ELi1ELi0EEEJPfiEEEvT_T0_DpT1_,comdat
.Lfunc_end134:
	.size	_ZN2at6native12_GLOBAL__N_125multi_tensor_apply_kernelINS1_18TensorListMetadataILi1EEENS0_13LpNormFunctorIN3c108BFloat16ELNS0_8NormTypeE2ENS6_4HalfELi1ELi1ELi0EEEJPfiEEEvT_T0_DpT1_, .Lfunc_end134-_ZN2at6native12_GLOBAL__N_125multi_tensor_apply_kernelINS1_18TensorListMetadataILi1EEENS0_13LpNormFunctorIN3c108BFloat16ELNS0_8NormTypeE2ENS6_4HalfELi1ELi1ELi0EEEJPfiEEEvT_T0_DpT1_
                                        ; -- End function
	.set _ZN2at6native12_GLOBAL__N_125multi_tensor_apply_kernelINS1_18TensorListMetadataILi1EEENS0_13LpNormFunctorIN3c108BFloat16ELNS0_8NormTypeE2ENS6_4HalfELi1ELi1ELi0EEEJPfiEEEvT_T0_DpT1_.num_vgpr, 20
	.set _ZN2at6native12_GLOBAL__N_125multi_tensor_apply_kernelINS1_18TensorListMetadataILi1EEENS0_13LpNormFunctorIN3c108BFloat16ELNS0_8NormTypeE2ENS6_4HalfELi1ELi1ELi0EEEJPfiEEEvT_T0_DpT1_.num_agpr, 0
	.set _ZN2at6native12_GLOBAL__N_125multi_tensor_apply_kernelINS1_18TensorListMetadataILi1EEENS0_13LpNormFunctorIN3c108BFloat16ELNS0_8NormTypeE2ENS6_4HalfELi1ELi1ELi0EEEJPfiEEEvT_T0_DpT1_.numbered_sgpr, 14
	.set _ZN2at6native12_GLOBAL__N_125multi_tensor_apply_kernelINS1_18TensorListMetadataILi1EEENS0_13LpNormFunctorIN3c108BFloat16ELNS0_8NormTypeE2ENS6_4HalfELi1ELi1ELi0EEEJPfiEEEvT_T0_DpT1_.num_named_barrier, 0
	.set _ZN2at6native12_GLOBAL__N_125multi_tensor_apply_kernelINS1_18TensorListMetadataILi1EEENS0_13LpNormFunctorIN3c108BFloat16ELNS0_8NormTypeE2ENS6_4HalfELi1ELi1ELi0EEEJPfiEEEvT_T0_DpT1_.private_seg_size, 0
	.set _ZN2at6native12_GLOBAL__N_125multi_tensor_apply_kernelINS1_18TensorListMetadataILi1EEENS0_13LpNormFunctorIN3c108BFloat16ELNS0_8NormTypeE2ENS6_4HalfELi1ELi1ELi0EEEJPfiEEEvT_T0_DpT1_.uses_vcc, 1
	.set _ZN2at6native12_GLOBAL__N_125multi_tensor_apply_kernelINS1_18TensorListMetadataILi1EEENS0_13LpNormFunctorIN3c108BFloat16ELNS0_8NormTypeE2ENS6_4HalfELi1ELi1ELi0EEEJPfiEEEvT_T0_DpT1_.uses_flat_scratch, 0
	.set _ZN2at6native12_GLOBAL__N_125multi_tensor_apply_kernelINS1_18TensorListMetadataILi1EEENS0_13LpNormFunctorIN3c108BFloat16ELNS0_8NormTypeE2ENS6_4HalfELi1ELi1ELi0EEEJPfiEEEvT_T0_DpT1_.has_dyn_sized_stack, 0
	.set _ZN2at6native12_GLOBAL__N_125multi_tensor_apply_kernelINS1_18TensorListMetadataILi1EEENS0_13LpNormFunctorIN3c108BFloat16ELNS0_8NormTypeE2ENS6_4HalfELi1ELi1ELi0EEEJPfiEEEvT_T0_DpT1_.has_recursion, 0
	.set _ZN2at6native12_GLOBAL__N_125multi_tensor_apply_kernelINS1_18TensorListMetadataILi1EEENS0_13LpNormFunctorIN3c108BFloat16ELNS0_8NormTypeE2ENS6_4HalfELi1ELi1ELi0EEEJPfiEEEvT_T0_DpT1_.has_indirect_call, 0
	.section	.AMDGPU.csdata,"",@progbits
; Kernel info:
; codeLenInByte = 1388
; TotalNumSgprs: 16
; NumVgprs: 20
; ScratchSize: 0
; MemoryBound: 0
; FloatMode: 240
; IeeeMode: 1
; LDSByteSize: 2048 bytes/workgroup (compile time only)
; SGPRBlocks: 0
; VGPRBlocks: 1
; NumSGPRsForWavesPerEU: 16
; NumVGPRsForWavesPerEU: 20
; NamedBarCnt: 0
; Occupancy: 16
; WaveLimiterHint : 0
; COMPUTE_PGM_RSRC2:SCRATCH_EN: 0
; COMPUTE_PGM_RSRC2:USER_SGPR: 2
; COMPUTE_PGM_RSRC2:TRAP_HANDLER: 0
; COMPUTE_PGM_RSRC2:TGID_X_EN: 1
; COMPUTE_PGM_RSRC2:TGID_Y_EN: 0
; COMPUTE_PGM_RSRC2:TGID_Z_EN: 0
; COMPUTE_PGM_RSRC2:TIDIG_COMP_CNT: 0
	.section	.text._ZN2at6native12_GLOBAL__N_125multi_tensor_apply_kernelINS1_18TensorListMetadataILi1EEENS0_13LpNormFunctorIN3c108BFloat16ELNS0_8NormTypeE3ENS6_4HalfELi1ELi1ELi0EEEJPfiEEEvT_T0_DpT1_,"axG",@progbits,_ZN2at6native12_GLOBAL__N_125multi_tensor_apply_kernelINS1_18TensorListMetadataILi1EEENS0_13LpNormFunctorIN3c108BFloat16ELNS0_8NormTypeE3ENS6_4HalfELi1ELi1ELi0EEEJPfiEEEvT_T0_DpT1_,comdat
	.globl	_ZN2at6native12_GLOBAL__N_125multi_tensor_apply_kernelINS1_18TensorListMetadataILi1EEENS0_13LpNormFunctorIN3c108BFloat16ELNS0_8NormTypeE3ENS6_4HalfELi1ELi1ELi0EEEJPfiEEEvT_T0_DpT1_ ; -- Begin function _ZN2at6native12_GLOBAL__N_125multi_tensor_apply_kernelINS1_18TensorListMetadataILi1EEENS0_13LpNormFunctorIN3c108BFloat16ELNS0_8NormTypeE3ENS6_4HalfELi1ELi1ELi0EEEJPfiEEEvT_T0_DpT1_
	.p2align	8
	.type	_ZN2at6native12_GLOBAL__N_125multi_tensor_apply_kernelINS1_18TensorListMetadataILi1EEENS0_13LpNormFunctorIN3c108BFloat16ELNS0_8NormTypeE3ENS6_4HalfELi1ELi1ELi0EEEJPfiEEEvT_T0_DpT1_,@function
_ZN2at6native12_GLOBAL__N_125multi_tensor_apply_kernelINS1_18TensorListMetadataILi1EEENS0_13LpNormFunctorIN3c108BFloat16ELNS0_8NormTypeE3ENS6_4HalfELi1ELi1ELi0EEEJPfiEEEvT_T0_DpT1_: ; @_ZN2at6native12_GLOBAL__N_125multi_tensor_apply_kernelINS1_18TensorListMetadataILi1EEENS0_13LpNormFunctorIN3c108BFloat16ELNS0_8NormTypeE3ENS6_4HalfELi1ELi1ELi0EEEJPfiEEEvT_T0_DpT1_
; %bb.0:
	s_bfe_u32 s2, ttmp6, 0x4000c
	s_and_b32 s3, ttmp6, 15
	s_add_co_i32 s2, s2, 1
	s_getreg_b32 s4, hwreg(HW_REG_IB_STS2, 6, 4)
	s_mul_i32 s2, ttmp9, s2
	s_delay_alu instid0(SALU_CYCLE_1)
	s_add_co_i32 s3, s3, s2
	s_cmp_eq_u32 s4, 0
	s_cselect_b32 s2, ttmp9, s3
	s_mov_b32 s3, 0
	v_mov_b32_e32 v1, s2
	s_add_nc_u64 s[4:5], s[0:1], s[2:3]
	s_mul_u64 s[6:7], s[2:3], 3
	s_delay_alu instid0(SALU_CYCLE_1) | instskip(SKIP_4) | instid1(SALU_CYCLE_1)
	s_add_nc_u64 s[4:5], s[4:5], s[6:7]
	global_load_u8 v15, v1, s[0:1] offset:1760
	s_load_b32 s6, s[4:5], 0x820
	s_wait_kmcnt 0x0
	s_ashr_i32 s7, s6, 31
	s_lshl_b64 s[10:11], s[6:7], 17
	s_lshl_b64 s[12:13], s[6:7], 16
	s_wait_loadcnt 0x0
	v_readfirstlane_b32 s2, v15
	s_and_b32 s2, s2, 0xff
	s_clause 0x1
	s_load_b64 s[4:5], s[0:1], s2 offset:0x0 scale_offset
	s_load_b64 s[8:9], s[0:1], s2 offset:0x370 scale_offset
	s_wait_kmcnt 0x0
	s_add_nc_u64 s[4:5], s[4:5], s[10:11]
	s_and_b32 s2, s8, 3
	s_and_b64 s[10:11], s[4:5], 7
	s_sub_nc_u64 s[8:9], s[8:9], s[12:13]
	s_or_b64 s[10:11], s[2:3], s[10:11]
	s_delay_alu instid0(SALU_CYCLE_1)
	s_cmp_eq_u64 s[10:11], 0
	s_cbranch_scc1 .LBB135_12
; %bb.1:
	v_cmp_lt_i64_e64 s2, s[8:9], 1
	s_and_b32 vcc_lo, exec_lo, s2
	s_cbranch_vccnz .LBB135_28
; %bb.2:
	s_load_b32 s2, s[0:1], 0xd4c
	v_min_i64 v[10:11], 0x10000, s[8:9]
	s_mov_b32 s11, 0
	s_mov_b64 s[12:13], 0
	s_wait_kmcnt 0x0
	s_and_b32 s2, s2, 0xffff
	s_delay_alu instid0(SALU_CYCLE_1) | instskip(SKIP_3) | instid1(VALU_DEP_3)
	v_dual_mov_b32 v7, 0 :: v_dual_add_nc_u32 v16, s2, v0
	v_mad_u32 v12, s2, 3, v0
	v_lshl_add_u32 v14, s2, 1, v0
	s_lshl_b32 s10, s2, 2
	v_dual_mov_b32 v6, v7 :: v_dual_mov_b32 v8, v7
	v_mov_b32_e32 v9, v7
	s_delay_alu instid0(VALU_DEP_2) | instskip(NEXT) | instid1(VALU_DEP_2)
	v_mov_b64_e32 v[2:3], v[6:7]
	v_mov_b64_e32 v[4:5], v[8:9]
	s_branch .LBB135_4
.LBB135_3:                              ;   in Loop: Header=BB135_4 Depth=1
	s_or_b32 exec_lo, exec_lo, s2
	s_add_nc_u64 s[12:13], s[12:13], s[10:11]
	s_delay_alu instid0(SALU_CYCLE_1)
	v_cmp_lt_i64_e32 vcc_lo, s[12:13], v[10:11]
	s_cbranch_vccz .LBB135_13
.LBB135_4:                              ; =>This Inner Loop Header: Depth=1
	v_add_nc_u32_e32 v6, s12, v0
	s_delay_alu instid0(VALU_DEP_1) | instskip(SKIP_2) | instid1(SALU_CYCLE_1)
	v_cmp_gt_i64_e32 vcc_lo, s[8:9], v[6:7]
	v_cmp_gt_u32_e64 s2, 0x10000, v6
	s_and_b32 s7, s2, vcc_lo
	s_and_saveexec_b32 s2, s7
	s_cbranch_execz .LBB135_6
; %bb.5:                                ;   in Loop: Header=BB135_4 Depth=1
	v_lshl_add_u64 v[8:9], v[6:7], 1, s[4:5]
	global_load_u16 v1, v[8:9], off
	s_wait_loadcnt 0x0
	v_lshlrev_b32_e32 v1, 16, v1
	s_delay_alu instid0(VALU_DEP_1) | instskip(SKIP_2) | instid1(SALU_CYCLE_1)
	v_cmp_u_f32_e32 vcc_lo, v1, v1
	v_cmp_lt_f32_e64 s7, v2, |v1|
	s_or_b32 s7, vcc_lo, s7
	v_cndmask_b32_e64 v2, v2, |v1|, s7
.LBB135_6:                              ;   in Loop: Header=BB135_4 Depth=1
	s_or_b32 exec_lo, exec_lo, s2
	v_add_nc_u32_e32 v6, s12, v16
	s_delay_alu instid0(VALU_DEP_1) | instskip(SKIP_2) | instid1(SALU_CYCLE_1)
	v_cmp_gt_i64_e32 vcc_lo, s[8:9], v[6:7]
	v_cmp_gt_u32_e64 s2, 0x10000, v6
	s_and_b32 s7, s2, vcc_lo
	s_and_saveexec_b32 s2, s7
	s_cbranch_execz .LBB135_8
; %bb.7:                                ;   in Loop: Header=BB135_4 Depth=1
	v_lshl_add_u64 v[8:9], v[6:7], 1, s[4:5]
	global_load_u16 v1, v[8:9], off
	s_wait_loadcnt 0x0
	v_lshlrev_b32_e32 v1, 16, v1
	s_delay_alu instid0(VALU_DEP_1) | instskip(SKIP_2) | instid1(SALU_CYCLE_1)
	v_cmp_u_f32_e32 vcc_lo, v1, v1
	v_cmp_lt_f32_e64 s7, v3, |v1|
	s_or_b32 s7, vcc_lo, s7
	v_cndmask_b32_e64 v3, v3, |v1|, s7
.LBB135_8:                              ;   in Loop: Header=BB135_4 Depth=1
	s_or_b32 exec_lo, exec_lo, s2
	v_add_nc_u32_e32 v6, s12, v14
	s_delay_alu instid0(VALU_DEP_1) | instskip(SKIP_2) | instid1(SALU_CYCLE_1)
	v_cmp_gt_i64_e32 vcc_lo, s[8:9], v[6:7]
	v_cmp_gt_u32_e64 s2, 0x10000, v6
	s_and_b32 s7, s2, vcc_lo
	s_and_saveexec_b32 s2, s7
	s_cbranch_execz .LBB135_10
; %bb.9:                                ;   in Loop: Header=BB135_4 Depth=1
	v_lshl_add_u64 v[8:9], v[6:7], 1, s[4:5]
	global_load_u16 v1, v[8:9], off
	s_wait_loadcnt 0x0
	v_lshlrev_b32_e32 v1, 16, v1
	s_delay_alu instid0(VALU_DEP_1) | instskip(SKIP_2) | instid1(SALU_CYCLE_1)
	v_cmp_u_f32_e32 vcc_lo, v1, v1
	v_cmp_lt_f32_e64 s7, v4, |v1|
	s_or_b32 s7, vcc_lo, s7
	v_cndmask_b32_e64 v4, v4, |v1|, s7
.LBB135_10:                             ;   in Loop: Header=BB135_4 Depth=1
	s_or_b32 exec_lo, exec_lo, s2
	v_add_nc_u32_e32 v6, s12, v12
	s_delay_alu instid0(VALU_DEP_1) | instskip(SKIP_2) | instid1(SALU_CYCLE_1)
	v_cmp_gt_i64_e32 vcc_lo, s[8:9], v[6:7]
	v_cmp_gt_u32_e64 s2, 0x10000, v6
	s_and_b32 s7, s2, vcc_lo
	s_and_saveexec_b32 s2, s7
	s_cbranch_execz .LBB135_3
; %bb.11:                               ;   in Loop: Header=BB135_4 Depth=1
	v_lshl_add_u64 v[8:9], v[6:7], 1, s[4:5]
	global_load_u16 v1, v[8:9], off
	s_wait_loadcnt 0x0
	v_lshlrev_b32_e32 v1, 16, v1
	s_delay_alu instid0(VALU_DEP_1) | instskip(SKIP_2) | instid1(SALU_CYCLE_1)
	v_cmp_u_f32_e32 vcc_lo, v1, v1
	v_cmp_lt_f32_e64 s7, v5, |v1|
	s_or_b32 s7, vcc_lo, s7
	v_cndmask_b32_e64 v5, v5, |v1|, s7
	s_branch .LBB135_3
.LBB135_12:
	s_mov_b32 s3, -1
                                        ; implicit-def: $vgpr2_vgpr3_vgpr4_vgpr5
.LBB135_13:
	s_delay_alu instid0(SALU_CYCLE_1)
	s_and_not1_b32 vcc_lo, exec_lo, s3
	s_cbranch_vccnz .LBB135_19
.LBB135_14:
	v_min_i64 v[8:9], 0x10000, s[8:9]
	v_dual_mov_b32 v3, 0 :: v_dual_lshlrev_b32 v2, 2, v0
	s_mov_b32 s9, 0
	s_delay_alu instid0(VALU_DEP_1) | instskip(NEXT) | instid1(VALU_DEP_2)
	v_dual_mov_b32 v5, v3 :: v_dual_mov_b32 v4, v3
	v_cmp_lt_i64_e32 vcc_lo, v[2:3], v[8:9]
	v_mov_b32_e32 v2, v3
	s_and_saveexec_b32 s7, vcc_lo
	s_cbranch_execz .LBB135_18
; %bb.15:
	s_load_b32 s2, s[0:1], 0xd4c
	v_dual_mov_b32 v1, v3 :: v_dual_lshlrev_b32 v2, 3, v0
	v_dual_mov_b32 v5, 0 :: v_dual_mov_b32 v6, 0
	v_mov_b32_e32 v7, 0
	s_delay_alu instid0(VALU_DEP_3) | instskip(NEXT) | instid1(VALU_DEP_4)
	v_add_nc_u64_e32 v[10:11], s[4:5], v[2:3]
	v_mov_b64_e32 v[12:13], v[0:1]
	s_mov_b32 s11, s9
	s_mov_b32 s12, s9
	s_wait_kmcnt 0x0
	s_and_b32 s8, s2, 0xffff
	s_delay_alu instid0(SALU_CYCLE_1)
	s_lshl_b32 s10, s8, 3
.LBB135_16:                             ; =>This Inner Loop Header: Depth=1
	global_load_b64 v[16:17], v[10:11], off
	v_add_nc_u64_e32 v[12:13], s[8:9], v[12:13]
	s_wait_xcnt 0x0
	v_add_nc_u64_e32 v[10:11], s[10:11], v[10:11]
	s_delay_alu instid0(VALU_DEP_2) | instskip(NEXT) | instid1(VALU_DEP_1)
	v_lshlrev_b64_e32 v[18:19], 2, v[12:13]
	v_cmp_ge_i64_e32 vcc_lo, v[18:19], v[8:9]
	s_wait_loadcnt 0x0
	v_and_b32_e32 v2, 0xffff0000, v17
	v_alignbit_b32 v1, v17, v16, 16
	v_and_b32_e32 v4, 0xffff0000, v16
	v_lshlrev_b32_e32 v14, 16, v16
	s_delay_alu instid0(VALU_DEP_4)
	v_cmp_u_f32_e64 s2, v2, v2
	v_cmp_lt_f32_e64 s13, v7, |v2|
	v_and_b32_e32 v1, 0xffff0000, v1
	v_cmp_u_f32_e64 s3, v4, v4
	v_cmp_lt_f32_e64 s14, v5, |v4|
	v_cmp_u_f32_e64 s4, v14, v14
	v_cmp_lt_f32_e64 s15, v3, |v14|
	s_or_b32 s2, s2, s13
	v_cmp_u_f32_e64 s5, v1, v1
	v_cmp_lt_f32_e64 s16, v6, |v1|
	v_cndmask_b32_e64 v7, v7, |v2|, s2
	s_or_b32 s2, s3, s14
	s_delay_alu instid0(SALU_CYCLE_1) | instskip(SKIP_1) | instid1(SALU_CYCLE_1)
	v_cndmask_b32_e64 v5, v5, |v4|, s2
	s_or_b32 s2, s4, s15
	v_cndmask_b32_e64 v3, v3, |v14|, s2
	s_or_b32 s2, s5, s16
	s_or_b32 s12, vcc_lo, s12
	v_cndmask_b32_e64 v6, v6, |v1|, s2
	s_and_not1_b32 exec_lo, exec_lo, s12
	s_cbranch_execnz .LBB135_16
; %bb.17:
	s_or_b32 exec_lo, exec_lo, s12
	v_mov_b32_e32 v4, v3
	s_delay_alu instid0(VALU_DEP_1)
	v_mov_b64_e32 v[2:3], v[4:5]
	v_mov_b64_e32 v[4:5], v[6:7]
.LBB135_18:
	s_or_b32 exec_lo, exec_lo, s7
.LBB135_19:
	s_delay_alu instid0(VALU_DEP_1)
	v_cmp_nge_f32_e32 vcc_lo, 0, v2
	v_mbcnt_lo_u32_b32 v6, -1, 0
	s_barrier_signal -1
	s_barrier_wait -1
	v_cndmask_b32_e32 v1, 0, v2, vcc_lo
	v_cmp_u_f32_e32 vcc_lo, v3, v3
	v_cmp_ne_u32_e64 s3, 31, v6
	s_delay_alu instid0(VALU_DEP_3) | instskip(NEXT) | instid1(VALU_DEP_2)
	v_cmp_lt_f32_e64 s2, v1, v3
	v_add_co_ci_u32_e64 v8, null, 0, v6, s3
	s_mov_b32 s3, exec_lo
	s_or_b32 vcc_lo, vcc_lo, s2
	v_cndmask_b32_e32 v1, v1, v3, vcc_lo
	v_cmp_u_f32_e32 vcc_lo, v4, v4
	s_delay_alu instid0(VALU_DEP_2) | instskip(SKIP_4) | instid1(VALU_DEP_3)
	v_cmp_lt_f32_e64 s2, v1, v4
	s_or_b32 vcc_lo, vcc_lo, s2
	v_cndmask_b32_e32 v2, v1, v4, vcc_lo
	v_cmp_u_f32_e32 vcc_lo, v5, v5
	v_lshl_or_b32 v1, v6, 2, 64
	v_cmp_lt_f32_e64 s2, v2, v5
	s_or_b32 vcc_lo, vcc_lo, s2
	v_cndmask_b32_e32 v3, v2, v5, vcc_lo
	v_cmp_gt_u32_e32 vcc_lo, 24, v6
	ds_bpermute_b32 v4, v1, v3
	v_cndmask_b32_e64 v2, 0, 8, vcc_lo
	s_delay_alu instid0(VALU_DEP_1)
	v_add_lshl_u32 v2, v2, v6, 2
	s_wait_dscnt 0x0
	v_cmp_u_f32_e32 vcc_lo, v4, v4
	v_cmp_lt_f32_e64 s2, v3, v4
	s_or_b32 vcc_lo, vcc_lo, s2
	v_cndmask_b32_e32 v4, v3, v4, vcc_lo
	v_cmp_gt_u32_e32 vcc_lo, 28, v6
	ds_bpermute_b32 v5, v2, v4
	v_cndmask_b32_e64 v3, 0, 4, vcc_lo
	s_delay_alu instid0(VALU_DEP_1)
	v_add_lshl_u32 v3, v3, v6, 2
	s_wait_dscnt 0x0
	v_cmp_u_f32_e32 vcc_lo, v5, v5
	;; [unrolled: 10-line block ×3, first 2 shown]
	v_cmp_lt_f32_e64 s2, v5, v7
	s_or_b32 vcc_lo, vcc_lo, s2
	v_cndmask_b32_e32 v5, v5, v7, vcc_lo
	ds_bpermute_b32 v7, v4, v5
	s_wait_dscnt 0x0
	v_cmp_u_f32_e32 vcc_lo, v7, v7
	v_cmp_lt_f32_e64 s2, v5, v7
	s_or_b32 vcc_lo, vcc_lo, s2
	v_dual_cndmask_b32 v6, v5, v7 :: v_dual_lshlrev_b32 v5, 2, v8
	v_and_b32_e32 v7, 31, v0
	ds_bpermute_b32 v8, v5, v6
	v_cmpx_eq_u32_e32 0, v7
	s_cbranch_execz .LBB135_21
; %bb.20:
	s_wait_dscnt 0x0
	v_cmp_u_f32_e32 vcc_lo, v8, v8
	v_cmp_lt_f32_e64 s2, v6, v8
	v_lshrrev_b32_e32 v9, 3, v0
	s_or_b32 vcc_lo, vcc_lo, s2
	v_cndmask_b32_e32 v6, v6, v8, vcc_lo
	ds_store_b32 v9, v6
.LBB135_21:
	s_or_b32 exec_lo, exec_lo, s3
	s_wait_dscnt 0x0
	s_barrier_signal -1
	s_barrier_wait -1
	s_load_b32 s2, s[0:1], 0xd4c
	v_mov_b32_e32 v6, 0xff7fffff
	s_wait_kmcnt 0x0
	s_bfe_u32 s2, s2, 0xb0005
	s_delay_alu instid0(SALU_CYCLE_1)
	v_cmp_gt_u32_e32 vcc_lo, s2, v0
	s_and_saveexec_b32 s2, vcc_lo
; %bb.22:
	v_lshlrev_b32_e32 v6, 2, v7
	ds_load_b32 v6, v6
; %bb.23:
	s_or_b32 exec_lo, exec_lo, s2
	s_delay_alu instid0(SALU_CYCLE_1)
	s_mov_b32 s3, exec_lo
	v_cmpx_gt_u32_e32 32, v0
	s_cbranch_execz .LBB135_25
; %bb.24:
	s_wait_dscnt 0x0
	ds_bpermute_b32 v1, v1, v6
	s_wait_dscnt 0x0
	v_cmp_u_f32_e32 vcc_lo, v1, v1
	v_cmp_lt_f32_e64 s2, v6, v1
	s_or_b32 vcc_lo, vcc_lo, s2
	v_cndmask_b32_e32 v1, v6, v1, vcc_lo
	ds_bpermute_b32 v2, v2, v1
	s_wait_dscnt 0x0
	v_cmp_u_f32_e32 vcc_lo, v2, v2
	v_cmp_lt_f32_e64 s2, v1, v2
	s_or_b32 vcc_lo, vcc_lo, s2
	v_cndmask_b32_e32 v1, v1, v2, vcc_lo
	;; [unrolled: 6-line block ×5, first 2 shown]
.LBB135_25:
	s_or_b32 exec_lo, exec_lo, s3
	s_delay_alu instid0(SALU_CYCLE_1)
	s_mov_b32 s2, exec_lo
	v_cmpx_eq_u32_e32 0, v0
	s_cbranch_execz .LBB135_27
; %bb.26:
	s_clause 0x1
	s_load_b32 s2, s[0:1], 0xd20
	s_load_b96 s[8:10], s[0:1], 0xd30
	v_and_b32_e32 v0, 0xff, v15
	s_wait_kmcnt 0x0
	s_delay_alu instid0(VALU_DEP_1) | instskip(NEXT) | instid1(VALU_DEP_1)
	v_add_nc_u32_e32 v0, s2, v0
	v_mul_lo_u32 v0, v0, s10
	s_delay_alu instid0(VALU_DEP_1)
	v_add_nc_u32_e32 v0, s6, v0
	s_wait_dscnt 0x0
	global_store_b32 v0, v6, s[8:9] scale_offset
.LBB135_27:
	s_endpgm
.LBB135_28:
	v_mov_b32_e32 v2, 0
	s_delay_alu instid0(VALU_DEP_1)
	v_dual_mov_b32 v3, v2 :: v_dual_mov_b32 v4, v2
	v_mov_b32_e32 v5, v2
	s_and_not1_b32 vcc_lo, exec_lo, s3
	s_cbranch_vccz .LBB135_14
	s_branch .LBB135_19
	.section	.rodata,"a",@progbits
	.p2align	6, 0x0
	.amdhsa_kernel _ZN2at6native12_GLOBAL__N_125multi_tensor_apply_kernelINS1_18TensorListMetadataILi1EEENS0_13LpNormFunctorIN3c108BFloat16ELNS0_8NormTypeE3ENS6_4HalfELi1ELi1ELi0EEEJPfiEEEvT_T0_DpT1_
		.amdhsa_group_segment_fixed_size 2048
		.amdhsa_private_segment_fixed_size 0
		.amdhsa_kernarg_size 3648
		.amdhsa_user_sgpr_count 2
		.amdhsa_user_sgpr_dispatch_ptr 0
		.amdhsa_user_sgpr_queue_ptr 0
		.amdhsa_user_sgpr_kernarg_segment_ptr 1
		.amdhsa_user_sgpr_dispatch_id 0
		.amdhsa_user_sgpr_kernarg_preload_length 0
		.amdhsa_user_sgpr_kernarg_preload_offset 0
		.amdhsa_user_sgpr_private_segment_size 0
		.amdhsa_wavefront_size32 1
		.amdhsa_uses_dynamic_stack 0
		.amdhsa_enable_private_segment 0
		.amdhsa_system_sgpr_workgroup_id_x 1
		.amdhsa_system_sgpr_workgroup_id_y 0
		.amdhsa_system_sgpr_workgroup_id_z 0
		.amdhsa_system_sgpr_workgroup_info 0
		.amdhsa_system_vgpr_workitem_id 0
		.amdhsa_next_free_vgpr 20
		.amdhsa_next_free_sgpr 17
		.amdhsa_named_barrier_count 0
		.amdhsa_reserve_vcc 1
		.amdhsa_float_round_mode_32 0
		.amdhsa_float_round_mode_16_64 0
		.amdhsa_float_denorm_mode_32 3
		.amdhsa_float_denorm_mode_16_64 3
		.amdhsa_fp16_overflow 0
		.amdhsa_memory_ordered 1
		.amdhsa_forward_progress 1
		.amdhsa_inst_pref_size 15
		.amdhsa_round_robin_scheduling 0
		.amdhsa_exception_fp_ieee_invalid_op 0
		.amdhsa_exception_fp_denorm_src 0
		.amdhsa_exception_fp_ieee_div_zero 0
		.amdhsa_exception_fp_ieee_overflow 0
		.amdhsa_exception_fp_ieee_underflow 0
		.amdhsa_exception_fp_ieee_inexact 0
		.amdhsa_exception_int_div_zero 0
	.end_amdhsa_kernel
	.section	.text._ZN2at6native12_GLOBAL__N_125multi_tensor_apply_kernelINS1_18TensorListMetadataILi1EEENS0_13LpNormFunctorIN3c108BFloat16ELNS0_8NormTypeE3ENS6_4HalfELi1ELi1ELi0EEEJPfiEEEvT_T0_DpT1_,"axG",@progbits,_ZN2at6native12_GLOBAL__N_125multi_tensor_apply_kernelINS1_18TensorListMetadataILi1EEENS0_13LpNormFunctorIN3c108BFloat16ELNS0_8NormTypeE3ENS6_4HalfELi1ELi1ELi0EEEJPfiEEEvT_T0_DpT1_,comdat
.Lfunc_end135:
	.size	_ZN2at6native12_GLOBAL__N_125multi_tensor_apply_kernelINS1_18TensorListMetadataILi1EEENS0_13LpNormFunctorIN3c108BFloat16ELNS0_8NormTypeE3ENS6_4HalfELi1ELi1ELi0EEEJPfiEEEvT_T0_DpT1_, .Lfunc_end135-_ZN2at6native12_GLOBAL__N_125multi_tensor_apply_kernelINS1_18TensorListMetadataILi1EEENS0_13LpNormFunctorIN3c108BFloat16ELNS0_8NormTypeE3ENS6_4HalfELi1ELi1ELi0EEEJPfiEEEvT_T0_DpT1_
                                        ; -- End function
	.set _ZN2at6native12_GLOBAL__N_125multi_tensor_apply_kernelINS1_18TensorListMetadataILi1EEENS0_13LpNormFunctorIN3c108BFloat16ELNS0_8NormTypeE3ENS6_4HalfELi1ELi1ELi0EEEJPfiEEEvT_T0_DpT1_.num_vgpr, 20
	.set _ZN2at6native12_GLOBAL__N_125multi_tensor_apply_kernelINS1_18TensorListMetadataILi1EEENS0_13LpNormFunctorIN3c108BFloat16ELNS0_8NormTypeE3ENS6_4HalfELi1ELi1ELi0EEEJPfiEEEvT_T0_DpT1_.num_agpr, 0
	.set _ZN2at6native12_GLOBAL__N_125multi_tensor_apply_kernelINS1_18TensorListMetadataILi1EEENS0_13LpNormFunctorIN3c108BFloat16ELNS0_8NormTypeE3ENS6_4HalfELi1ELi1ELi0EEEJPfiEEEvT_T0_DpT1_.numbered_sgpr, 17
	.set _ZN2at6native12_GLOBAL__N_125multi_tensor_apply_kernelINS1_18TensorListMetadataILi1EEENS0_13LpNormFunctorIN3c108BFloat16ELNS0_8NormTypeE3ENS6_4HalfELi1ELi1ELi0EEEJPfiEEEvT_T0_DpT1_.num_named_barrier, 0
	.set _ZN2at6native12_GLOBAL__N_125multi_tensor_apply_kernelINS1_18TensorListMetadataILi1EEENS0_13LpNormFunctorIN3c108BFloat16ELNS0_8NormTypeE3ENS6_4HalfELi1ELi1ELi0EEEJPfiEEEvT_T0_DpT1_.private_seg_size, 0
	.set _ZN2at6native12_GLOBAL__N_125multi_tensor_apply_kernelINS1_18TensorListMetadataILi1EEENS0_13LpNormFunctorIN3c108BFloat16ELNS0_8NormTypeE3ENS6_4HalfELi1ELi1ELi0EEEJPfiEEEvT_T0_DpT1_.uses_vcc, 1
	.set _ZN2at6native12_GLOBAL__N_125multi_tensor_apply_kernelINS1_18TensorListMetadataILi1EEENS0_13LpNormFunctorIN3c108BFloat16ELNS0_8NormTypeE3ENS6_4HalfELi1ELi1ELi0EEEJPfiEEEvT_T0_DpT1_.uses_flat_scratch, 0
	.set _ZN2at6native12_GLOBAL__N_125multi_tensor_apply_kernelINS1_18TensorListMetadataILi1EEENS0_13LpNormFunctorIN3c108BFloat16ELNS0_8NormTypeE3ENS6_4HalfELi1ELi1ELi0EEEJPfiEEEvT_T0_DpT1_.has_dyn_sized_stack, 0
	.set _ZN2at6native12_GLOBAL__N_125multi_tensor_apply_kernelINS1_18TensorListMetadataILi1EEENS0_13LpNormFunctorIN3c108BFloat16ELNS0_8NormTypeE3ENS6_4HalfELi1ELi1ELi0EEEJPfiEEEvT_T0_DpT1_.has_recursion, 0
	.set _ZN2at6native12_GLOBAL__N_125multi_tensor_apply_kernelINS1_18TensorListMetadataILi1EEENS0_13LpNormFunctorIN3c108BFloat16ELNS0_8NormTypeE3ENS6_4HalfELi1ELi1ELi0EEEJPfiEEEvT_T0_DpT1_.has_indirect_call, 0
	.section	.AMDGPU.csdata,"",@progbits
; Kernel info:
; codeLenInByte = 1828
; TotalNumSgprs: 19
; NumVgprs: 20
; ScratchSize: 0
; MemoryBound: 0
; FloatMode: 240
; IeeeMode: 1
; LDSByteSize: 2048 bytes/workgroup (compile time only)
; SGPRBlocks: 0
; VGPRBlocks: 1
; NumSGPRsForWavesPerEU: 19
; NumVGPRsForWavesPerEU: 20
; NamedBarCnt: 0
; Occupancy: 16
; WaveLimiterHint : 0
; COMPUTE_PGM_RSRC2:SCRATCH_EN: 0
; COMPUTE_PGM_RSRC2:USER_SGPR: 2
; COMPUTE_PGM_RSRC2:TRAP_HANDLER: 0
; COMPUTE_PGM_RSRC2:TGID_X_EN: 1
; COMPUTE_PGM_RSRC2:TGID_Y_EN: 0
; COMPUTE_PGM_RSRC2:TGID_Z_EN: 0
; COMPUTE_PGM_RSRC2:TIDIG_COMP_CNT: 0
	.section	.text._ZN2at6native14lpnorm_cleanupIN3c108BFloat16ELNS0_8NormTypeE0ENS2_4HalfELb1EfEEvPKT3_NS0_19TensorListAddressesEi,"axG",@progbits,_ZN2at6native14lpnorm_cleanupIN3c108BFloat16ELNS0_8NormTypeE0ENS2_4HalfELb1EfEEvPKT3_NS0_19TensorListAddressesEi,comdat
	.protected	_ZN2at6native14lpnorm_cleanupIN3c108BFloat16ELNS0_8NormTypeE0ENS2_4HalfELb1EfEEvPKT3_NS0_19TensorListAddressesEi ; -- Begin function _ZN2at6native14lpnorm_cleanupIN3c108BFloat16ELNS0_8NormTypeE0ENS2_4HalfELb1EfEEvPKT3_NS0_19TensorListAddressesEi
	.globl	_ZN2at6native14lpnorm_cleanupIN3c108BFloat16ELNS0_8NormTypeE0ENS2_4HalfELb1EfEEvPKT3_NS0_19TensorListAddressesEi
	.p2align	8
	.type	_ZN2at6native14lpnorm_cleanupIN3c108BFloat16ELNS0_8NormTypeE0ENS2_4HalfELb1EfEEvPKT3_NS0_19TensorListAddressesEi,@function
_ZN2at6native14lpnorm_cleanupIN3c108BFloat16ELNS0_8NormTypeE0ENS2_4HalfELb1EfEEvPKT3_NS0_19TensorListAddressesEi: ; @_ZN2at6native14lpnorm_cleanupIN3c108BFloat16ELNS0_8NormTypeE0ENS2_4HalfELb1EfEEvPKT3_NS0_19TensorListAddressesEi
; %bb.0:
	s_load_b32 s2, s[0:1], 0xc88
	s_bfe_u32 s3, ttmp6, 0x4000c
	s_and_b32 s4, ttmp6, 15
	s_add_co_i32 s3, s3, 1
	s_getreg_b32 s5, hwreg(HW_REG_IB_STS2, 6, 4)
	s_mul_i32 s3, ttmp9, s3
	v_mov_b32_e32 v1, 0
	s_add_co_i32 s4, s4, s3
	s_cmp_eq_u32 s5, 0
	s_mov_b32 s5, 0
	s_cselect_b32 s8, ttmp9, s4
	s_mov_b32 s9, exec_lo
	s_wait_kmcnt 0x0
	v_cmpx_gt_u32_e64 s2, v0
	s_cbranch_execz .LBB136_4
; %bb.1:
	s_clause 0x1
	s_load_b64 s[6:7], s[0:1], 0x0
	s_load_b32 s4, s[0:1], 0xc9c
	v_dual_mov_b32 v1, 0 :: v_dual_lshlrev_b32 v2, 2, v0
	s_mul_i32 s10, s2, s8
	s_mov_b32 s11, s5
	s_ashr_i32 s3, s2, 31
	s_delay_alu instid0(VALU_DEP_1)
	v_mov_b32_e32 v3, v1
	s_lshl_b64 s[10:11], s[10:11], 2
	v_mov_b64_e32 v[4:5], v[0:1]
	s_wait_kmcnt 0x0
	s_add_nc_u64 s[6:7], s[6:7], s[10:11]
	s_and_b32 s4, s4, 0xffff
	v_add_nc_u64_e32 v[2:3], s[6:7], v[2:3]
	s_lshl_b32 s6, s4, 2
	s_mov_b32 s7, s5
	s_mov_b32 s10, s5
.LBB136_2:                              ; =>This Inner Loop Header: Depth=1
	global_load_b32 v6, v[2:3], off
	v_add_nc_u64_e32 v[4:5], s[4:5], v[4:5]
	s_wait_xcnt 0x0
	v_add_nc_u64_e32 v[2:3], s[6:7], v[2:3]
	s_delay_alu instid0(VALU_DEP_2)
	v_cmp_le_u64_e32 vcc_lo, s[2:3], v[4:5]
	s_or_b32 s10, vcc_lo, s10
	s_wait_loadcnt 0x0
	v_add_f32_e32 v1, v1, v6
	s_and_not1_b32 exec_lo, exec_lo, s10
	s_cbranch_execnz .LBB136_2
; %bb.3:
	s_or_b32 exec_lo, exec_lo, s10
.LBB136_4:
	s_delay_alu instid0(SALU_CYCLE_1) | instskip(SKIP_4) | instid1(VALU_DEP_1)
	s_or_b32 exec_lo, exec_lo, s9
	v_mbcnt_lo_u32_b32 v5, -1, 0
	s_mov_b32 s2, exec_lo
	s_barrier_signal -1
	s_barrier_wait -1
	v_lshl_or_b32 v2, v5, 2, 64
	v_cmp_gt_u32_e32 vcc_lo, 24, v5
	ds_bpermute_b32 v4, v2, v1
	v_cndmask_b32_e64 v3, 0, 8, vcc_lo
	v_cmp_gt_u32_e32 vcc_lo, 28, v5
	s_delay_alu instid0(VALU_DEP_2)
	v_add_lshl_u32 v3, v3, v5, 2
	s_wait_dscnt 0x0
	v_add_f32_e32 v4, v1, v4
	v_cndmask_b32_e64 v1, 0, 4, vcc_lo
	v_cmp_gt_u32_e32 vcc_lo, 30, v5
	ds_bpermute_b32 v6, v3, v4
	v_add_lshl_u32 v1, v1, v5, 2
	s_wait_dscnt 0x0
	v_add_f32_e32 v6, v4, v6
	v_cndmask_b32_e64 v4, 0, 2, vcc_lo
	v_cmp_ne_u32_e32 vcc_lo, 31, v5
	s_delay_alu instid0(VALU_DEP_2) | instskip(SKIP_1) | instid1(VALU_DEP_1)
	v_add_lshl_u32 v4, v4, v5, 2
	v_add_co_ci_u32_e64 v5, null, 0, v5, vcc_lo
	v_lshlrev_b32_e32 v5, 2, v5
	ds_bpermute_b32 v7, v1, v6
	s_wait_dscnt 0x0
	v_add_f32_e32 v6, v6, v7
	ds_bpermute_b32 v7, v4, v6
	s_wait_dscnt 0x0
	v_dual_add_f32 v7, v6, v7 :: v_dual_bitop2_b32 v6, 31, v0 bitop3:0x40
	ds_bpermute_b32 v8, v5, v7
	v_cmpx_eq_u32_e32 0, v6
	s_cbranch_execz .LBB136_6
; %bb.5:
	s_wait_dscnt 0x0
	v_add_f32_e32 v7, v7, v8
	v_lshrrev_b32_e32 v8, 3, v0
	ds_store_b32 v8, v7
.LBB136_6:
	s_or_b32 exec_lo, exec_lo, s2
	s_wait_dscnt 0x0
	s_barrier_signal -1
	s_barrier_wait -1
	s_load_b32 s2, s[0:1], 0xc9c
	v_mov_b32_e32 v7, 0
	s_wait_kmcnt 0x0
	s_bfe_u32 s2, s2, 0xb0005
	s_delay_alu instid0(SALU_CYCLE_1)
	v_cmp_gt_u32_e32 vcc_lo, s2, v0
	s_and_saveexec_b32 s2, vcc_lo
; %bb.7:
	v_lshlrev_b32_e32 v6, 2, v6
	ds_load_b32 v7, v6
; %bb.8:
	s_or_b32 exec_lo, exec_lo, s2
	s_delay_alu instid0(SALU_CYCLE_1)
	s_mov_b32 s2, exec_lo
	v_cmpx_gt_u32_e32 32, v0
	s_cbranch_execz .LBB136_10
; %bb.9:
	s_wait_dscnt 0x0
	ds_bpermute_b32 v2, v2, v7
	s_wait_dscnt 0x0
	v_add_f32_e32 v2, v7, v2
	ds_bpermute_b32 v3, v3, v2
	s_wait_dscnt 0x0
	v_add_f32_e32 v2, v2, v3
	;; [unrolled: 3-line block ×5, first 2 shown]
.LBB136_10:
	s_or_b32 exec_lo, exec_lo, s2
	s_delay_alu instid0(SALU_CYCLE_1)
	s_mov_b32 s2, exec_lo
	v_cmpx_eq_u32_e32 0, v0
	s_cbranch_execz .LBB136_12
; %bb.11:
	s_load_b64 s[0:1], s[0:1], s8 offset:0x8 scale_offset
	s_wait_dscnt 0x0
	v_cvt_f16_f32_e32 v0, v7
	v_mov_b32_e32 v1, 0
	s_wait_kmcnt 0x0
	global_store_b16 v1, v0, s[0:1]
.LBB136_12:
	s_endpgm
	.section	.rodata,"a",@progbits
	.p2align	6, 0x0
	.amdhsa_kernel _ZN2at6native14lpnorm_cleanupIN3c108BFloat16ELNS0_8NormTypeE0ENS2_4HalfELb1EfEEvPKT3_NS0_19TensorListAddressesEi
		.amdhsa_group_segment_fixed_size 2048
		.amdhsa_private_segment_fixed_size 0
		.amdhsa_kernarg_size 3472
		.amdhsa_user_sgpr_count 2
		.amdhsa_user_sgpr_dispatch_ptr 0
		.amdhsa_user_sgpr_queue_ptr 0
		.amdhsa_user_sgpr_kernarg_segment_ptr 1
		.amdhsa_user_sgpr_dispatch_id 0
		.amdhsa_user_sgpr_kernarg_preload_length 0
		.amdhsa_user_sgpr_kernarg_preload_offset 0
		.amdhsa_user_sgpr_private_segment_size 0
		.amdhsa_wavefront_size32 1
		.amdhsa_uses_dynamic_stack 0
		.amdhsa_enable_private_segment 0
		.amdhsa_system_sgpr_workgroup_id_x 1
		.amdhsa_system_sgpr_workgroup_id_y 0
		.amdhsa_system_sgpr_workgroup_id_z 0
		.amdhsa_system_sgpr_workgroup_info 0
		.amdhsa_system_vgpr_workitem_id 0
		.amdhsa_next_free_vgpr 9
		.amdhsa_next_free_sgpr 12
		.amdhsa_named_barrier_count 0
		.amdhsa_reserve_vcc 1
		.amdhsa_float_round_mode_32 0
		.amdhsa_float_round_mode_16_64 0
		.amdhsa_float_denorm_mode_32 3
		.amdhsa_float_denorm_mode_16_64 3
		.amdhsa_fp16_overflow 0
		.amdhsa_memory_ordered 1
		.amdhsa_forward_progress 1
		.amdhsa_inst_pref_size 6
		.amdhsa_round_robin_scheduling 0
		.amdhsa_exception_fp_ieee_invalid_op 0
		.amdhsa_exception_fp_denorm_src 0
		.amdhsa_exception_fp_ieee_div_zero 0
		.amdhsa_exception_fp_ieee_overflow 0
		.amdhsa_exception_fp_ieee_underflow 0
		.amdhsa_exception_fp_ieee_inexact 0
		.amdhsa_exception_int_div_zero 0
	.end_amdhsa_kernel
	.section	.text._ZN2at6native14lpnorm_cleanupIN3c108BFloat16ELNS0_8NormTypeE0ENS2_4HalfELb1EfEEvPKT3_NS0_19TensorListAddressesEi,"axG",@progbits,_ZN2at6native14lpnorm_cleanupIN3c108BFloat16ELNS0_8NormTypeE0ENS2_4HalfELb1EfEEvPKT3_NS0_19TensorListAddressesEi,comdat
.Lfunc_end136:
	.size	_ZN2at6native14lpnorm_cleanupIN3c108BFloat16ELNS0_8NormTypeE0ENS2_4HalfELb1EfEEvPKT3_NS0_19TensorListAddressesEi, .Lfunc_end136-_ZN2at6native14lpnorm_cleanupIN3c108BFloat16ELNS0_8NormTypeE0ENS2_4HalfELb1EfEEvPKT3_NS0_19TensorListAddressesEi
                                        ; -- End function
	.set _ZN2at6native14lpnorm_cleanupIN3c108BFloat16ELNS0_8NormTypeE0ENS2_4HalfELb1EfEEvPKT3_NS0_19TensorListAddressesEi.num_vgpr, 9
	.set _ZN2at6native14lpnorm_cleanupIN3c108BFloat16ELNS0_8NormTypeE0ENS2_4HalfELb1EfEEvPKT3_NS0_19TensorListAddressesEi.num_agpr, 0
	.set _ZN2at6native14lpnorm_cleanupIN3c108BFloat16ELNS0_8NormTypeE0ENS2_4HalfELb1EfEEvPKT3_NS0_19TensorListAddressesEi.numbered_sgpr, 12
	.set _ZN2at6native14lpnorm_cleanupIN3c108BFloat16ELNS0_8NormTypeE0ENS2_4HalfELb1EfEEvPKT3_NS0_19TensorListAddressesEi.num_named_barrier, 0
	.set _ZN2at6native14lpnorm_cleanupIN3c108BFloat16ELNS0_8NormTypeE0ENS2_4HalfELb1EfEEvPKT3_NS0_19TensorListAddressesEi.private_seg_size, 0
	.set _ZN2at6native14lpnorm_cleanupIN3c108BFloat16ELNS0_8NormTypeE0ENS2_4HalfELb1EfEEvPKT3_NS0_19TensorListAddressesEi.uses_vcc, 1
	.set _ZN2at6native14lpnorm_cleanupIN3c108BFloat16ELNS0_8NormTypeE0ENS2_4HalfELb1EfEEvPKT3_NS0_19TensorListAddressesEi.uses_flat_scratch, 0
	.set _ZN2at6native14lpnorm_cleanupIN3c108BFloat16ELNS0_8NormTypeE0ENS2_4HalfELb1EfEEvPKT3_NS0_19TensorListAddressesEi.has_dyn_sized_stack, 0
	.set _ZN2at6native14lpnorm_cleanupIN3c108BFloat16ELNS0_8NormTypeE0ENS2_4HalfELb1EfEEvPKT3_NS0_19TensorListAddressesEi.has_recursion, 0
	.set _ZN2at6native14lpnorm_cleanupIN3c108BFloat16ELNS0_8NormTypeE0ENS2_4HalfELb1EfEEvPKT3_NS0_19TensorListAddressesEi.has_indirect_call, 0
	.section	.AMDGPU.csdata,"",@progbits
; Kernel info:
; codeLenInByte = 672
; TotalNumSgprs: 14
; NumVgprs: 9
; ScratchSize: 0
; MemoryBound: 0
; FloatMode: 240
; IeeeMode: 1
; LDSByteSize: 2048 bytes/workgroup (compile time only)
; SGPRBlocks: 0
; VGPRBlocks: 0
; NumSGPRsForWavesPerEU: 14
; NumVGPRsForWavesPerEU: 9
; NamedBarCnt: 0
; Occupancy: 16
; WaveLimiterHint : 0
; COMPUTE_PGM_RSRC2:SCRATCH_EN: 0
; COMPUTE_PGM_RSRC2:USER_SGPR: 2
; COMPUTE_PGM_RSRC2:TRAP_HANDLER: 0
; COMPUTE_PGM_RSRC2:TGID_X_EN: 1
; COMPUTE_PGM_RSRC2:TGID_Y_EN: 0
; COMPUTE_PGM_RSRC2:TGID_Z_EN: 0
; COMPUTE_PGM_RSRC2:TIDIG_COMP_CNT: 0
	.section	.text._ZN2at6native14lpnorm_cleanupIN3c108BFloat16ELNS0_8NormTypeE1ENS2_4HalfELb1EfEEvPKT3_NS0_19TensorListAddressesEi,"axG",@progbits,_ZN2at6native14lpnorm_cleanupIN3c108BFloat16ELNS0_8NormTypeE1ENS2_4HalfELb1EfEEvPKT3_NS0_19TensorListAddressesEi,comdat
	.protected	_ZN2at6native14lpnorm_cleanupIN3c108BFloat16ELNS0_8NormTypeE1ENS2_4HalfELb1EfEEvPKT3_NS0_19TensorListAddressesEi ; -- Begin function _ZN2at6native14lpnorm_cleanupIN3c108BFloat16ELNS0_8NormTypeE1ENS2_4HalfELb1EfEEvPKT3_NS0_19TensorListAddressesEi
	.globl	_ZN2at6native14lpnorm_cleanupIN3c108BFloat16ELNS0_8NormTypeE1ENS2_4HalfELb1EfEEvPKT3_NS0_19TensorListAddressesEi
	.p2align	8
	.type	_ZN2at6native14lpnorm_cleanupIN3c108BFloat16ELNS0_8NormTypeE1ENS2_4HalfELb1EfEEvPKT3_NS0_19TensorListAddressesEi,@function
_ZN2at6native14lpnorm_cleanupIN3c108BFloat16ELNS0_8NormTypeE1ENS2_4HalfELb1EfEEvPKT3_NS0_19TensorListAddressesEi: ; @_ZN2at6native14lpnorm_cleanupIN3c108BFloat16ELNS0_8NormTypeE1ENS2_4HalfELb1EfEEvPKT3_NS0_19TensorListAddressesEi
; %bb.0:
	s_load_b32 s2, s[0:1], 0xc88
	s_bfe_u32 s3, ttmp6, 0x4000c
	s_and_b32 s4, ttmp6, 15
	s_add_co_i32 s3, s3, 1
	s_getreg_b32 s5, hwreg(HW_REG_IB_STS2, 6, 4)
	s_mul_i32 s3, ttmp9, s3
	v_mov_b32_e32 v1, 0
	s_add_co_i32 s4, s4, s3
	s_cmp_eq_u32 s5, 0
	s_mov_b32 s5, 0
	s_cselect_b32 s8, ttmp9, s4
	s_mov_b32 s9, exec_lo
	s_wait_kmcnt 0x0
	v_cmpx_gt_u32_e64 s2, v0
	s_cbranch_execz .LBB137_4
; %bb.1:
	s_clause 0x1
	s_load_b64 s[6:7], s[0:1], 0x0
	s_load_b32 s4, s[0:1], 0xc9c
	v_dual_mov_b32 v1, 0 :: v_dual_lshlrev_b32 v2, 2, v0
	s_mul_i32 s10, s2, s8
	s_mov_b32 s11, s5
	s_ashr_i32 s3, s2, 31
	s_delay_alu instid0(VALU_DEP_1)
	v_mov_b32_e32 v3, v1
	s_lshl_b64 s[10:11], s[10:11], 2
	v_mov_b64_e32 v[4:5], v[0:1]
	s_wait_kmcnt 0x0
	s_add_nc_u64 s[6:7], s[6:7], s[10:11]
	s_and_b32 s4, s4, 0xffff
	v_add_nc_u64_e32 v[2:3], s[6:7], v[2:3]
	s_lshl_b32 s6, s4, 2
	s_mov_b32 s7, s5
	s_mov_b32 s10, s5
.LBB137_2:                              ; =>This Inner Loop Header: Depth=1
	global_load_b32 v6, v[2:3], off
	v_add_nc_u64_e32 v[4:5], s[4:5], v[4:5]
	s_wait_xcnt 0x0
	v_add_nc_u64_e32 v[2:3], s[6:7], v[2:3]
	s_delay_alu instid0(VALU_DEP_2)
	v_cmp_le_u64_e32 vcc_lo, s[2:3], v[4:5]
	s_or_b32 s10, vcc_lo, s10
	s_wait_loadcnt 0x0
	v_add_f32_e32 v1, v1, v6
	s_and_not1_b32 exec_lo, exec_lo, s10
	s_cbranch_execnz .LBB137_2
; %bb.3:
	s_or_b32 exec_lo, exec_lo, s10
.LBB137_4:
	s_delay_alu instid0(SALU_CYCLE_1) | instskip(SKIP_4) | instid1(VALU_DEP_1)
	s_or_b32 exec_lo, exec_lo, s9
	v_mbcnt_lo_u32_b32 v5, -1, 0
	s_mov_b32 s2, exec_lo
	s_barrier_signal -1
	s_barrier_wait -1
	v_lshl_or_b32 v2, v5, 2, 64
	v_cmp_gt_u32_e32 vcc_lo, 24, v5
	ds_bpermute_b32 v4, v2, v1
	v_cndmask_b32_e64 v3, 0, 8, vcc_lo
	v_cmp_gt_u32_e32 vcc_lo, 28, v5
	s_delay_alu instid0(VALU_DEP_2)
	v_add_lshl_u32 v3, v3, v5, 2
	s_wait_dscnt 0x0
	v_add_f32_e32 v4, v1, v4
	v_cndmask_b32_e64 v1, 0, 4, vcc_lo
	v_cmp_gt_u32_e32 vcc_lo, 30, v5
	ds_bpermute_b32 v6, v3, v4
	v_add_lshl_u32 v1, v1, v5, 2
	s_wait_dscnt 0x0
	v_add_f32_e32 v6, v4, v6
	v_cndmask_b32_e64 v4, 0, 2, vcc_lo
	v_cmp_ne_u32_e32 vcc_lo, 31, v5
	s_delay_alu instid0(VALU_DEP_2) | instskip(SKIP_1) | instid1(VALU_DEP_1)
	v_add_lshl_u32 v4, v4, v5, 2
	v_add_co_ci_u32_e64 v5, null, 0, v5, vcc_lo
	v_lshlrev_b32_e32 v5, 2, v5
	ds_bpermute_b32 v7, v1, v6
	s_wait_dscnt 0x0
	v_add_f32_e32 v6, v6, v7
	ds_bpermute_b32 v7, v4, v6
	s_wait_dscnt 0x0
	v_dual_add_f32 v7, v6, v7 :: v_dual_bitop2_b32 v6, 31, v0 bitop3:0x40
	ds_bpermute_b32 v8, v5, v7
	v_cmpx_eq_u32_e32 0, v6
	s_cbranch_execz .LBB137_6
; %bb.5:
	s_wait_dscnt 0x0
	v_add_f32_e32 v7, v7, v8
	v_lshrrev_b32_e32 v8, 3, v0
	ds_store_b32 v8, v7
.LBB137_6:
	s_or_b32 exec_lo, exec_lo, s2
	s_wait_dscnt 0x0
	s_barrier_signal -1
	s_barrier_wait -1
	s_load_b32 s2, s[0:1], 0xc9c
	v_mov_b32_e32 v7, 0
	s_wait_kmcnt 0x0
	s_bfe_u32 s2, s2, 0xb0005
	s_delay_alu instid0(SALU_CYCLE_1)
	v_cmp_gt_u32_e32 vcc_lo, s2, v0
	s_and_saveexec_b32 s2, vcc_lo
; %bb.7:
	v_lshlrev_b32_e32 v6, 2, v6
	ds_load_b32 v7, v6
; %bb.8:
	s_or_b32 exec_lo, exec_lo, s2
	s_delay_alu instid0(SALU_CYCLE_1)
	s_mov_b32 s2, exec_lo
	v_cmpx_gt_u32_e32 32, v0
	s_cbranch_execz .LBB137_10
; %bb.9:
	s_wait_dscnt 0x0
	ds_bpermute_b32 v2, v2, v7
	s_wait_dscnt 0x0
	v_add_f32_e32 v2, v7, v2
	ds_bpermute_b32 v3, v3, v2
	s_wait_dscnt 0x0
	v_add_f32_e32 v2, v2, v3
	;; [unrolled: 3-line block ×5, first 2 shown]
.LBB137_10:
	s_or_b32 exec_lo, exec_lo, s2
	s_delay_alu instid0(SALU_CYCLE_1)
	s_mov_b32 s2, exec_lo
	v_cmpx_eq_u32_e32 0, v0
	s_cbranch_execz .LBB137_12
; %bb.11:
	s_load_b64 s[0:1], s[0:1], s8 offset:0x8 scale_offset
	s_wait_dscnt 0x0
	v_cvt_f16_f32_e32 v0, v7
	v_mov_b32_e32 v1, 0
	s_wait_kmcnt 0x0
	global_store_b16 v1, v0, s[0:1]
.LBB137_12:
	s_endpgm
	.section	.rodata,"a",@progbits
	.p2align	6, 0x0
	.amdhsa_kernel _ZN2at6native14lpnorm_cleanupIN3c108BFloat16ELNS0_8NormTypeE1ENS2_4HalfELb1EfEEvPKT3_NS0_19TensorListAddressesEi
		.amdhsa_group_segment_fixed_size 2048
		.amdhsa_private_segment_fixed_size 0
		.amdhsa_kernarg_size 3472
		.amdhsa_user_sgpr_count 2
		.amdhsa_user_sgpr_dispatch_ptr 0
		.amdhsa_user_sgpr_queue_ptr 0
		.amdhsa_user_sgpr_kernarg_segment_ptr 1
		.amdhsa_user_sgpr_dispatch_id 0
		.amdhsa_user_sgpr_kernarg_preload_length 0
		.amdhsa_user_sgpr_kernarg_preload_offset 0
		.amdhsa_user_sgpr_private_segment_size 0
		.amdhsa_wavefront_size32 1
		.amdhsa_uses_dynamic_stack 0
		.amdhsa_enable_private_segment 0
		.amdhsa_system_sgpr_workgroup_id_x 1
		.amdhsa_system_sgpr_workgroup_id_y 0
		.amdhsa_system_sgpr_workgroup_id_z 0
		.amdhsa_system_sgpr_workgroup_info 0
		.amdhsa_system_vgpr_workitem_id 0
		.amdhsa_next_free_vgpr 9
		.amdhsa_next_free_sgpr 12
		.amdhsa_named_barrier_count 0
		.amdhsa_reserve_vcc 1
		.amdhsa_float_round_mode_32 0
		.amdhsa_float_round_mode_16_64 0
		.amdhsa_float_denorm_mode_32 3
		.amdhsa_float_denorm_mode_16_64 3
		.amdhsa_fp16_overflow 0
		.amdhsa_memory_ordered 1
		.amdhsa_forward_progress 1
		.amdhsa_inst_pref_size 6
		.amdhsa_round_robin_scheduling 0
		.amdhsa_exception_fp_ieee_invalid_op 0
		.amdhsa_exception_fp_denorm_src 0
		.amdhsa_exception_fp_ieee_div_zero 0
		.amdhsa_exception_fp_ieee_overflow 0
		.amdhsa_exception_fp_ieee_underflow 0
		.amdhsa_exception_fp_ieee_inexact 0
		.amdhsa_exception_int_div_zero 0
	.end_amdhsa_kernel
	.section	.text._ZN2at6native14lpnorm_cleanupIN3c108BFloat16ELNS0_8NormTypeE1ENS2_4HalfELb1EfEEvPKT3_NS0_19TensorListAddressesEi,"axG",@progbits,_ZN2at6native14lpnorm_cleanupIN3c108BFloat16ELNS0_8NormTypeE1ENS2_4HalfELb1EfEEvPKT3_NS0_19TensorListAddressesEi,comdat
.Lfunc_end137:
	.size	_ZN2at6native14lpnorm_cleanupIN3c108BFloat16ELNS0_8NormTypeE1ENS2_4HalfELb1EfEEvPKT3_NS0_19TensorListAddressesEi, .Lfunc_end137-_ZN2at6native14lpnorm_cleanupIN3c108BFloat16ELNS0_8NormTypeE1ENS2_4HalfELb1EfEEvPKT3_NS0_19TensorListAddressesEi
                                        ; -- End function
	.set _ZN2at6native14lpnorm_cleanupIN3c108BFloat16ELNS0_8NormTypeE1ENS2_4HalfELb1EfEEvPKT3_NS0_19TensorListAddressesEi.num_vgpr, 9
	.set _ZN2at6native14lpnorm_cleanupIN3c108BFloat16ELNS0_8NormTypeE1ENS2_4HalfELb1EfEEvPKT3_NS0_19TensorListAddressesEi.num_agpr, 0
	.set _ZN2at6native14lpnorm_cleanupIN3c108BFloat16ELNS0_8NormTypeE1ENS2_4HalfELb1EfEEvPKT3_NS0_19TensorListAddressesEi.numbered_sgpr, 12
	.set _ZN2at6native14lpnorm_cleanupIN3c108BFloat16ELNS0_8NormTypeE1ENS2_4HalfELb1EfEEvPKT3_NS0_19TensorListAddressesEi.num_named_barrier, 0
	.set _ZN2at6native14lpnorm_cleanupIN3c108BFloat16ELNS0_8NormTypeE1ENS2_4HalfELb1EfEEvPKT3_NS0_19TensorListAddressesEi.private_seg_size, 0
	.set _ZN2at6native14lpnorm_cleanupIN3c108BFloat16ELNS0_8NormTypeE1ENS2_4HalfELb1EfEEvPKT3_NS0_19TensorListAddressesEi.uses_vcc, 1
	.set _ZN2at6native14lpnorm_cleanupIN3c108BFloat16ELNS0_8NormTypeE1ENS2_4HalfELb1EfEEvPKT3_NS0_19TensorListAddressesEi.uses_flat_scratch, 0
	.set _ZN2at6native14lpnorm_cleanupIN3c108BFloat16ELNS0_8NormTypeE1ENS2_4HalfELb1EfEEvPKT3_NS0_19TensorListAddressesEi.has_dyn_sized_stack, 0
	.set _ZN2at6native14lpnorm_cleanupIN3c108BFloat16ELNS0_8NormTypeE1ENS2_4HalfELb1EfEEvPKT3_NS0_19TensorListAddressesEi.has_recursion, 0
	.set _ZN2at6native14lpnorm_cleanupIN3c108BFloat16ELNS0_8NormTypeE1ENS2_4HalfELb1EfEEvPKT3_NS0_19TensorListAddressesEi.has_indirect_call, 0
	.section	.AMDGPU.csdata,"",@progbits
; Kernel info:
; codeLenInByte = 672
; TotalNumSgprs: 14
; NumVgprs: 9
; ScratchSize: 0
; MemoryBound: 0
; FloatMode: 240
; IeeeMode: 1
; LDSByteSize: 2048 bytes/workgroup (compile time only)
; SGPRBlocks: 0
; VGPRBlocks: 0
; NumSGPRsForWavesPerEU: 14
; NumVGPRsForWavesPerEU: 9
; NamedBarCnt: 0
; Occupancy: 16
; WaveLimiterHint : 0
; COMPUTE_PGM_RSRC2:SCRATCH_EN: 0
; COMPUTE_PGM_RSRC2:USER_SGPR: 2
; COMPUTE_PGM_RSRC2:TRAP_HANDLER: 0
; COMPUTE_PGM_RSRC2:TGID_X_EN: 1
; COMPUTE_PGM_RSRC2:TGID_Y_EN: 0
; COMPUTE_PGM_RSRC2:TGID_Z_EN: 0
; COMPUTE_PGM_RSRC2:TIDIG_COMP_CNT: 0
	.section	.text._ZN2at6native14lpnorm_cleanupIN3c108BFloat16ELNS0_8NormTypeE2ENS2_4HalfELb1EfEEvPKT3_NS0_19TensorListAddressesEi,"axG",@progbits,_ZN2at6native14lpnorm_cleanupIN3c108BFloat16ELNS0_8NormTypeE2ENS2_4HalfELb1EfEEvPKT3_NS0_19TensorListAddressesEi,comdat
	.protected	_ZN2at6native14lpnorm_cleanupIN3c108BFloat16ELNS0_8NormTypeE2ENS2_4HalfELb1EfEEvPKT3_NS0_19TensorListAddressesEi ; -- Begin function _ZN2at6native14lpnorm_cleanupIN3c108BFloat16ELNS0_8NormTypeE2ENS2_4HalfELb1EfEEvPKT3_NS0_19TensorListAddressesEi
	.globl	_ZN2at6native14lpnorm_cleanupIN3c108BFloat16ELNS0_8NormTypeE2ENS2_4HalfELb1EfEEvPKT3_NS0_19TensorListAddressesEi
	.p2align	8
	.type	_ZN2at6native14lpnorm_cleanupIN3c108BFloat16ELNS0_8NormTypeE2ENS2_4HalfELb1EfEEvPKT3_NS0_19TensorListAddressesEi,@function
_ZN2at6native14lpnorm_cleanupIN3c108BFloat16ELNS0_8NormTypeE2ENS2_4HalfELb1EfEEvPKT3_NS0_19TensorListAddressesEi: ; @_ZN2at6native14lpnorm_cleanupIN3c108BFloat16ELNS0_8NormTypeE2ENS2_4HalfELb1EfEEvPKT3_NS0_19TensorListAddressesEi
; %bb.0:
	s_load_b32 s2, s[0:1], 0xc88
	s_bfe_u32 s3, ttmp6, 0x4000c
	s_and_b32 s4, ttmp6, 15
	s_add_co_i32 s3, s3, 1
	s_getreg_b32 s5, hwreg(HW_REG_IB_STS2, 6, 4)
	s_mul_i32 s3, ttmp9, s3
	v_mov_b32_e32 v1, 0
	s_add_co_i32 s4, s4, s3
	s_cmp_eq_u32 s5, 0
	s_mov_b32 s5, 0
	s_cselect_b32 s8, ttmp9, s4
	s_mov_b32 s9, exec_lo
	s_wait_kmcnt 0x0
	v_cmpx_gt_u32_e64 s2, v0
	s_cbranch_execz .LBB138_4
; %bb.1:
	s_clause 0x1
	s_load_b64 s[6:7], s[0:1], 0x0
	s_load_b32 s4, s[0:1], 0xc9c
	v_dual_mov_b32 v1, 0 :: v_dual_lshlrev_b32 v2, 2, v0
	s_mul_i32 s10, s2, s8
	s_mov_b32 s11, s5
	s_ashr_i32 s3, s2, 31
	s_delay_alu instid0(VALU_DEP_1)
	v_mov_b32_e32 v3, v1
	s_lshl_b64 s[10:11], s[10:11], 2
	v_mov_b64_e32 v[4:5], v[0:1]
	s_wait_kmcnt 0x0
	s_add_nc_u64 s[6:7], s[6:7], s[10:11]
	s_and_b32 s4, s4, 0xffff
	v_add_nc_u64_e32 v[2:3], s[6:7], v[2:3]
	s_lshl_b32 s6, s4, 2
	s_mov_b32 s7, s5
	s_mov_b32 s10, s5
.LBB138_2:                              ; =>This Inner Loop Header: Depth=1
	global_load_b32 v6, v[2:3], off
	v_add_nc_u64_e32 v[4:5], s[4:5], v[4:5]
	s_wait_xcnt 0x0
	v_add_nc_u64_e32 v[2:3], s[6:7], v[2:3]
	s_delay_alu instid0(VALU_DEP_2)
	v_cmp_le_u64_e32 vcc_lo, s[2:3], v[4:5]
	s_or_b32 s10, vcc_lo, s10
	s_wait_loadcnt 0x0
	v_add_f32_e32 v1, v1, v6
	s_and_not1_b32 exec_lo, exec_lo, s10
	s_cbranch_execnz .LBB138_2
; %bb.3:
	s_or_b32 exec_lo, exec_lo, s10
.LBB138_4:
	s_delay_alu instid0(SALU_CYCLE_1) | instskip(SKIP_4) | instid1(VALU_DEP_1)
	s_or_b32 exec_lo, exec_lo, s9
	v_mbcnt_lo_u32_b32 v5, -1, 0
	s_mov_b32 s2, exec_lo
	s_barrier_signal -1
	s_barrier_wait -1
	v_lshl_or_b32 v2, v5, 2, 64
	v_cmp_gt_u32_e32 vcc_lo, 24, v5
	ds_bpermute_b32 v4, v2, v1
	v_cndmask_b32_e64 v3, 0, 8, vcc_lo
	v_cmp_gt_u32_e32 vcc_lo, 28, v5
	s_delay_alu instid0(VALU_DEP_2)
	v_add_lshl_u32 v3, v3, v5, 2
	s_wait_dscnt 0x0
	v_add_f32_e32 v4, v1, v4
	v_cndmask_b32_e64 v1, 0, 4, vcc_lo
	v_cmp_gt_u32_e32 vcc_lo, 30, v5
	ds_bpermute_b32 v6, v3, v4
	v_add_lshl_u32 v1, v1, v5, 2
	s_wait_dscnt 0x0
	v_add_f32_e32 v6, v4, v6
	v_cndmask_b32_e64 v4, 0, 2, vcc_lo
	v_cmp_ne_u32_e32 vcc_lo, 31, v5
	s_delay_alu instid0(VALU_DEP_2) | instskip(SKIP_1) | instid1(VALU_DEP_1)
	v_add_lshl_u32 v4, v4, v5, 2
	v_add_co_ci_u32_e64 v5, null, 0, v5, vcc_lo
	v_lshlrev_b32_e32 v5, 2, v5
	ds_bpermute_b32 v7, v1, v6
	s_wait_dscnt 0x0
	v_add_f32_e32 v6, v6, v7
	ds_bpermute_b32 v7, v4, v6
	s_wait_dscnt 0x0
	v_dual_add_f32 v7, v6, v7 :: v_dual_bitop2_b32 v6, 31, v0 bitop3:0x40
	ds_bpermute_b32 v8, v5, v7
	v_cmpx_eq_u32_e32 0, v6
	s_cbranch_execz .LBB138_6
; %bb.5:
	s_wait_dscnt 0x0
	v_add_f32_e32 v7, v7, v8
	v_lshrrev_b32_e32 v8, 3, v0
	ds_store_b32 v8, v7
.LBB138_6:
	s_or_b32 exec_lo, exec_lo, s2
	s_wait_dscnt 0x0
	s_barrier_signal -1
	s_barrier_wait -1
	s_load_b32 s2, s[0:1], 0xc9c
	v_mov_b32_e32 v7, 0
	s_wait_kmcnt 0x0
	s_bfe_u32 s2, s2, 0xb0005
	s_delay_alu instid0(SALU_CYCLE_1)
	v_cmp_gt_u32_e32 vcc_lo, s2, v0
	s_and_saveexec_b32 s2, vcc_lo
; %bb.7:
	v_lshlrev_b32_e32 v6, 2, v6
	ds_load_b32 v7, v6
; %bb.8:
	s_or_b32 exec_lo, exec_lo, s2
	s_delay_alu instid0(SALU_CYCLE_1)
	s_mov_b32 s2, exec_lo
	v_cmpx_gt_u32_e32 32, v0
	s_cbranch_execz .LBB138_10
; %bb.9:
	s_wait_dscnt 0x0
	ds_bpermute_b32 v2, v2, v7
	s_wait_dscnt 0x0
	v_add_f32_e32 v2, v7, v2
	ds_bpermute_b32 v3, v3, v2
	s_wait_dscnt 0x0
	v_add_f32_e32 v2, v2, v3
	;; [unrolled: 3-line block ×5, first 2 shown]
.LBB138_10:
	s_or_b32 exec_lo, exec_lo, s2
	s_delay_alu instid0(SALU_CYCLE_1)
	s_mov_b32 s2, exec_lo
	v_cmpx_eq_u32_e32 0, v0
	s_cbranch_execz .LBB138_12
; %bb.11:
	s_wait_dscnt 0x0
	v_mul_f32_e32 v0, 0x4f800000, v7
	v_cmp_gt_f32_e32 vcc_lo, 0xf800000, v7
	s_load_b64 s[0:1], s[0:1], s8 offset:0x8 scale_offset
	s_delay_alu instid0(VALU_DEP_2) | instskip(NEXT) | instid1(VALU_DEP_1)
	v_cndmask_b32_e32 v0, v7, v0, vcc_lo
	v_sqrt_f32_e32 v1, v0
	v_nop
	s_delay_alu instid0(TRANS32_DEP_1) | instskip(NEXT) | instid1(VALU_DEP_1)
	v_dual_add_nc_u32 v2, -1, v1 :: v_dual_add_nc_u32 v3, 1, v1
	v_dual_fma_f32 v4, -v2, v1, v0 :: v_dual_fma_f32 v5, -v3, v1, v0
	s_delay_alu instid0(VALU_DEP_1) | instskip(NEXT) | instid1(VALU_DEP_1)
	v_cmp_ge_f32_e64 s2, 0, v4
	v_cndmask_b32_e64 v1, v1, v2, s2
	s_delay_alu instid0(VALU_DEP_3) | instskip(NEXT) | instid1(VALU_DEP_1)
	v_cmp_lt_f32_e64 s2, 0, v5
	v_cndmask_b32_e64 v1, v1, v3, s2
	s_delay_alu instid0(VALU_DEP_1) | instskip(NEXT) | instid1(VALU_DEP_1)
	v_mul_f32_e32 v2, 0x37800000, v1
	v_cndmask_b32_e32 v1, v1, v2, vcc_lo
	v_cmp_class_f32_e64 vcc_lo, v0, 0x260
	s_delay_alu instid0(VALU_DEP_2) | instskip(NEXT) | instid1(VALU_DEP_1)
	v_dual_cndmask_b32 v0, v1, v0 :: v_dual_mov_b32 v1, 0
	v_cvt_f16_f32_e32 v0, v0
	s_wait_kmcnt 0x0
	global_store_b16 v1, v0, s[0:1]
.LBB138_12:
	s_endpgm
	.section	.rodata,"a",@progbits
	.p2align	6, 0x0
	.amdhsa_kernel _ZN2at6native14lpnorm_cleanupIN3c108BFloat16ELNS0_8NormTypeE2ENS2_4HalfELb1EfEEvPKT3_NS0_19TensorListAddressesEi
		.amdhsa_group_segment_fixed_size 2048
		.amdhsa_private_segment_fixed_size 0
		.amdhsa_kernarg_size 3472
		.amdhsa_user_sgpr_count 2
		.amdhsa_user_sgpr_dispatch_ptr 0
		.amdhsa_user_sgpr_queue_ptr 0
		.amdhsa_user_sgpr_kernarg_segment_ptr 1
		.amdhsa_user_sgpr_dispatch_id 0
		.amdhsa_user_sgpr_kernarg_preload_length 0
		.amdhsa_user_sgpr_kernarg_preload_offset 0
		.amdhsa_user_sgpr_private_segment_size 0
		.amdhsa_wavefront_size32 1
		.amdhsa_uses_dynamic_stack 0
		.amdhsa_enable_private_segment 0
		.amdhsa_system_sgpr_workgroup_id_x 1
		.amdhsa_system_sgpr_workgroup_id_y 0
		.amdhsa_system_sgpr_workgroup_id_z 0
		.amdhsa_system_sgpr_workgroup_info 0
		.amdhsa_system_vgpr_workitem_id 0
		.amdhsa_next_free_vgpr 9
		.amdhsa_next_free_sgpr 12
		.amdhsa_named_barrier_count 0
		.amdhsa_reserve_vcc 1
		.amdhsa_float_round_mode_32 0
		.amdhsa_float_round_mode_16_64 0
		.amdhsa_float_denorm_mode_32 3
		.amdhsa_float_denorm_mode_16_64 3
		.amdhsa_fp16_overflow 0
		.amdhsa_memory_ordered 1
		.amdhsa_forward_progress 1
		.amdhsa_inst_pref_size 7
		.amdhsa_round_robin_scheduling 0
		.amdhsa_exception_fp_ieee_invalid_op 0
		.amdhsa_exception_fp_denorm_src 0
		.amdhsa_exception_fp_ieee_div_zero 0
		.amdhsa_exception_fp_ieee_overflow 0
		.amdhsa_exception_fp_ieee_underflow 0
		.amdhsa_exception_fp_ieee_inexact 0
		.amdhsa_exception_int_div_zero 0
	.end_amdhsa_kernel
	.section	.text._ZN2at6native14lpnorm_cleanupIN3c108BFloat16ELNS0_8NormTypeE2ENS2_4HalfELb1EfEEvPKT3_NS0_19TensorListAddressesEi,"axG",@progbits,_ZN2at6native14lpnorm_cleanupIN3c108BFloat16ELNS0_8NormTypeE2ENS2_4HalfELb1EfEEvPKT3_NS0_19TensorListAddressesEi,comdat
.Lfunc_end138:
	.size	_ZN2at6native14lpnorm_cleanupIN3c108BFloat16ELNS0_8NormTypeE2ENS2_4HalfELb1EfEEvPKT3_NS0_19TensorListAddressesEi, .Lfunc_end138-_ZN2at6native14lpnorm_cleanupIN3c108BFloat16ELNS0_8NormTypeE2ENS2_4HalfELb1EfEEvPKT3_NS0_19TensorListAddressesEi
                                        ; -- End function
	.set _ZN2at6native14lpnorm_cleanupIN3c108BFloat16ELNS0_8NormTypeE2ENS2_4HalfELb1EfEEvPKT3_NS0_19TensorListAddressesEi.num_vgpr, 9
	.set _ZN2at6native14lpnorm_cleanupIN3c108BFloat16ELNS0_8NormTypeE2ENS2_4HalfELb1EfEEvPKT3_NS0_19TensorListAddressesEi.num_agpr, 0
	.set _ZN2at6native14lpnorm_cleanupIN3c108BFloat16ELNS0_8NormTypeE2ENS2_4HalfELb1EfEEvPKT3_NS0_19TensorListAddressesEi.numbered_sgpr, 12
	.set _ZN2at6native14lpnorm_cleanupIN3c108BFloat16ELNS0_8NormTypeE2ENS2_4HalfELb1EfEEvPKT3_NS0_19TensorListAddressesEi.num_named_barrier, 0
	.set _ZN2at6native14lpnorm_cleanupIN3c108BFloat16ELNS0_8NormTypeE2ENS2_4HalfELb1EfEEvPKT3_NS0_19TensorListAddressesEi.private_seg_size, 0
	.set _ZN2at6native14lpnorm_cleanupIN3c108BFloat16ELNS0_8NormTypeE2ENS2_4HalfELb1EfEEvPKT3_NS0_19TensorListAddressesEi.uses_vcc, 1
	.set _ZN2at6native14lpnorm_cleanupIN3c108BFloat16ELNS0_8NormTypeE2ENS2_4HalfELb1EfEEvPKT3_NS0_19TensorListAddressesEi.uses_flat_scratch, 0
	.set _ZN2at6native14lpnorm_cleanupIN3c108BFloat16ELNS0_8NormTypeE2ENS2_4HalfELb1EfEEvPKT3_NS0_19TensorListAddressesEi.has_dyn_sized_stack, 0
	.set _ZN2at6native14lpnorm_cleanupIN3c108BFloat16ELNS0_8NormTypeE2ENS2_4HalfELb1EfEEvPKT3_NS0_19TensorListAddressesEi.has_recursion, 0
	.set _ZN2at6native14lpnorm_cleanupIN3c108BFloat16ELNS0_8NormTypeE2ENS2_4HalfELb1EfEEvPKT3_NS0_19TensorListAddressesEi.has_indirect_call, 0
	.section	.AMDGPU.csdata,"",@progbits
; Kernel info:
; codeLenInByte = 808
; TotalNumSgprs: 14
; NumVgprs: 9
; ScratchSize: 0
; MemoryBound: 0
; FloatMode: 240
; IeeeMode: 1
; LDSByteSize: 2048 bytes/workgroup (compile time only)
; SGPRBlocks: 0
; VGPRBlocks: 0
; NumSGPRsForWavesPerEU: 14
; NumVGPRsForWavesPerEU: 9
; NamedBarCnt: 0
; Occupancy: 16
; WaveLimiterHint : 0
; COMPUTE_PGM_RSRC2:SCRATCH_EN: 0
; COMPUTE_PGM_RSRC2:USER_SGPR: 2
; COMPUTE_PGM_RSRC2:TRAP_HANDLER: 0
; COMPUTE_PGM_RSRC2:TGID_X_EN: 1
; COMPUTE_PGM_RSRC2:TGID_Y_EN: 0
; COMPUTE_PGM_RSRC2:TGID_Z_EN: 0
; COMPUTE_PGM_RSRC2:TIDIG_COMP_CNT: 0
	.section	.text._ZN2at6native14lpnorm_cleanupIN3c108BFloat16ELNS0_8NormTypeE3ENS2_4HalfELb1EfEEvPKT3_NS0_19TensorListAddressesEi,"axG",@progbits,_ZN2at6native14lpnorm_cleanupIN3c108BFloat16ELNS0_8NormTypeE3ENS2_4HalfELb1EfEEvPKT3_NS0_19TensorListAddressesEi,comdat
	.protected	_ZN2at6native14lpnorm_cleanupIN3c108BFloat16ELNS0_8NormTypeE3ENS2_4HalfELb1EfEEvPKT3_NS0_19TensorListAddressesEi ; -- Begin function _ZN2at6native14lpnorm_cleanupIN3c108BFloat16ELNS0_8NormTypeE3ENS2_4HalfELb1EfEEvPKT3_NS0_19TensorListAddressesEi
	.globl	_ZN2at6native14lpnorm_cleanupIN3c108BFloat16ELNS0_8NormTypeE3ENS2_4HalfELb1EfEEvPKT3_NS0_19TensorListAddressesEi
	.p2align	8
	.type	_ZN2at6native14lpnorm_cleanupIN3c108BFloat16ELNS0_8NormTypeE3ENS2_4HalfELb1EfEEvPKT3_NS0_19TensorListAddressesEi,@function
_ZN2at6native14lpnorm_cleanupIN3c108BFloat16ELNS0_8NormTypeE3ENS2_4HalfELb1EfEEvPKT3_NS0_19TensorListAddressesEi: ; @_ZN2at6native14lpnorm_cleanupIN3c108BFloat16ELNS0_8NormTypeE3ENS2_4HalfELb1EfEEvPKT3_NS0_19TensorListAddressesEi
; %bb.0:
	s_load_b32 s4, s[0:1], 0xc88
	s_bfe_u32 s2, ttmp6, 0x4000c
	s_and_b32 s3, ttmp6, 15
	s_add_co_i32 s2, s2, 1
	s_getreg_b32 s5, hwreg(HW_REG_IB_STS2, 6, 4)
	s_mul_i32 s2, ttmp9, s2
	v_mov_b32_e32 v1, 0
	s_add_co_i32 s3, s3, s2
	s_cmp_eq_u32 s5, 0
	s_mov_b32 s7, 0
	s_cselect_b32 s10, ttmp9, s3
	s_mov_b32 s11, exec_lo
	s_wait_kmcnt 0x0
	v_cmpx_gt_u32_e64 s4, v0
	s_cbranch_execz .LBB139_4
; %bb.1:
	s_clause 0x1
	s_load_b64 s[2:3], s[0:1], 0x0
	s_load_b32 s6, s[0:1], 0xc9c
	v_dual_mov_b32 v1, 0 :: v_dual_lshlrev_b32 v2, 2, v0
	s_mul_i32 s8, s4, s10
	s_mov_b32 s9, s7
	s_ashr_i32 s5, s4, 31
	s_delay_alu instid0(VALU_DEP_1)
	v_mov_b32_e32 v3, v1
	s_lshl_b64 s[8:9], s[8:9], 2
	v_mov_b64_e32 v[4:5], v[0:1]
	s_mov_b32 s12, s7
	s_wait_kmcnt 0x0
	s_add_nc_u64 s[2:3], s[2:3], s[8:9]
	s_and_b32 s6, s6, 0xffff
	v_add_nc_u64_e32 v[2:3], s[2:3], v[2:3]
	s_lshl_b32 s8, s6, 2
	s_mov_b32 s9, s7
.LBB139_2:                              ; =>This Inner Loop Header: Depth=1
	global_load_b32 v6, v[2:3], off
	v_add_nc_u64_e32 v[4:5], s[6:7], v[4:5]
	s_wait_xcnt 0x0
	v_add_nc_u64_e32 v[2:3], s[8:9], v[2:3]
	s_delay_alu instid0(VALU_DEP_2)
	v_cmp_le_u64_e32 vcc_lo, s[4:5], v[4:5]
	s_wait_loadcnt 0x0
	v_cmp_u_f32_e64 s2, v6, v6
	v_cmp_lt_f32_e64 s3, v1, v6
	s_or_b32 s2, s2, s3
	s_or_b32 s12, vcc_lo, s12
	v_cndmask_b32_e64 v1, v1, v6, s2
	s_and_not1_b32 exec_lo, exec_lo, s12
	s_cbranch_execnz .LBB139_2
; %bb.3:
	s_or_b32 exec_lo, exec_lo, s12
.LBB139_4:
	s_delay_alu instid0(SALU_CYCLE_1) | instskip(SKIP_3) | instid1(VALU_DEP_1)
	s_or_b32 exec_lo, exec_lo, s11
	v_mbcnt_lo_u32_b32 v5, -1, 0
	s_barrier_signal -1
	s_barrier_wait -1
	v_lshl_or_b32 v2, v5, 2, 64
	v_cmp_gt_u32_e32 vcc_lo, 24, v5
	v_cmp_ne_u32_e64 s3, 31, v5
	ds_bpermute_b32 v4, v2, v1
	v_cndmask_b32_e64 v3, 0, 8, vcc_lo
	s_delay_alu instid0(VALU_DEP_1)
	v_add_lshl_u32 v3, v3, v5, 2
	s_wait_dscnt 0x0
	v_cmp_u_f32_e32 vcc_lo, v4, v4
	v_cmp_lt_f32_e64 s2, v1, v4
	s_or_b32 vcc_lo, vcc_lo, s2
	v_cndmask_b32_e32 v4, v1, v4, vcc_lo
	v_cmp_gt_u32_e32 vcc_lo, 28, v5
	ds_bpermute_b32 v6, v3, v4
	v_cndmask_b32_e64 v1, 0, 4, vcc_lo
	s_delay_alu instid0(VALU_DEP_1)
	v_add_lshl_u32 v1, v1, v5, 2
	s_wait_dscnt 0x0
	v_cmp_u_f32_e32 vcc_lo, v6, v6
	v_cmp_lt_f32_e64 s2, v4, v6
	s_or_b32 vcc_lo, vcc_lo, s2
	v_cndmask_b32_e32 v6, v4, v6, vcc_lo
	v_cmp_gt_u32_e32 vcc_lo, 30, v5
	v_cndmask_b32_e64 v4, 0, 2, vcc_lo
	s_delay_alu instid0(VALU_DEP_1)
	v_add_lshl_u32 v4, v4, v5, 2
	v_add_co_ci_u32_e64 v5, null, 0, v5, s3
	s_mov_b32 s3, exec_lo
	v_lshlrev_b32_e32 v5, 2, v5
	ds_bpermute_b32 v7, v1, v6
	s_wait_dscnt 0x0
	v_cmp_u_f32_e32 vcc_lo, v7, v7
	v_cmp_lt_f32_e64 s2, v6, v7
	s_or_b32 vcc_lo, vcc_lo, s2
	v_cndmask_b32_e32 v6, v6, v7, vcc_lo
	ds_bpermute_b32 v7, v4, v6
	s_wait_dscnt 0x0
	v_cmp_u_f32_e32 vcc_lo, v7, v7
	v_cmp_lt_f32_e64 s2, v6, v7
	s_or_b32 vcc_lo, vcc_lo, s2
	s_delay_alu instid0(SALU_CYCLE_1)
	v_dual_cndmask_b32 v7, v6, v7, vcc_lo :: v_dual_bitop2_b32 v6, 31, v0 bitop3:0x40
	ds_bpermute_b32 v8, v5, v7
	v_cmpx_eq_u32_e32 0, v6
	s_cbranch_execz .LBB139_6
; %bb.5:
	s_wait_dscnt 0x0
	v_cmp_u_f32_e32 vcc_lo, v8, v8
	v_cmp_lt_f32_e64 s2, v7, v8
	s_or_b32 vcc_lo, vcc_lo, s2
	v_cndmask_b32_e32 v7, v7, v8, vcc_lo
	v_lshrrev_b32_e32 v8, 3, v0
	ds_store_b32 v8, v7
.LBB139_6:
	s_or_b32 exec_lo, exec_lo, s3
	s_wait_dscnt 0x0
	s_barrier_signal -1
	s_barrier_wait -1
	s_load_b32 s2, s[0:1], 0xc9c
	v_mov_b32_e32 v7, 0xff7fffff
	s_wait_kmcnt 0x0
	s_bfe_u32 s2, s2, 0xb0005
	s_delay_alu instid0(SALU_CYCLE_1)
	v_cmp_gt_u32_e32 vcc_lo, s2, v0
	s_and_saveexec_b32 s2, vcc_lo
; %bb.7:
	v_lshlrev_b32_e32 v6, 2, v6
	ds_load_b32 v7, v6
; %bb.8:
	s_or_b32 exec_lo, exec_lo, s2
	s_delay_alu instid0(SALU_CYCLE_1)
	s_mov_b32 s3, exec_lo
	v_cmpx_gt_u32_e32 32, v0
	s_cbranch_execz .LBB139_10
; %bb.9:
	s_wait_dscnt 0x0
	ds_bpermute_b32 v2, v2, v7
	s_wait_dscnt 0x0
	v_cmp_u_f32_e32 vcc_lo, v2, v2
	v_cmp_lt_f32_e64 s2, v7, v2
	s_or_b32 vcc_lo, vcc_lo, s2
	v_cndmask_b32_e32 v2, v7, v2, vcc_lo
	ds_bpermute_b32 v3, v3, v2
	s_wait_dscnt 0x0
	v_cmp_u_f32_e32 vcc_lo, v3, v3
	v_cmp_lt_f32_e64 s2, v2, v3
	s_or_b32 vcc_lo, vcc_lo, s2
	v_cndmask_b32_e32 v2, v2, v3, vcc_lo
	;; [unrolled: 6-line block ×5, first 2 shown]
.LBB139_10:
	s_or_b32 exec_lo, exec_lo, s3
	s_delay_alu instid0(SALU_CYCLE_1)
	s_mov_b32 s2, exec_lo
	v_cmpx_eq_u32_e32 0, v0
	s_cbranch_execz .LBB139_12
; %bb.11:
	s_load_b64 s[0:1], s[0:1], s10 offset:0x8 scale_offset
	s_wait_dscnt 0x0
	v_cvt_f16_f32_e32 v0, v7
	v_mov_b32_e32 v1, 0
	s_wait_kmcnt 0x0
	global_store_b16 v1, v0, s[0:1]
.LBB139_12:
	s_endpgm
	.section	.rodata,"a",@progbits
	.p2align	6, 0x0
	.amdhsa_kernel _ZN2at6native14lpnorm_cleanupIN3c108BFloat16ELNS0_8NormTypeE3ENS2_4HalfELb1EfEEvPKT3_NS0_19TensorListAddressesEi
		.amdhsa_group_segment_fixed_size 2048
		.amdhsa_private_segment_fixed_size 0
		.amdhsa_kernarg_size 3472
		.amdhsa_user_sgpr_count 2
		.amdhsa_user_sgpr_dispatch_ptr 0
		.amdhsa_user_sgpr_queue_ptr 0
		.amdhsa_user_sgpr_kernarg_segment_ptr 1
		.amdhsa_user_sgpr_dispatch_id 0
		.amdhsa_user_sgpr_kernarg_preload_length 0
		.amdhsa_user_sgpr_kernarg_preload_offset 0
		.amdhsa_user_sgpr_private_segment_size 0
		.amdhsa_wavefront_size32 1
		.amdhsa_uses_dynamic_stack 0
		.amdhsa_enable_private_segment 0
		.amdhsa_system_sgpr_workgroup_id_x 1
		.amdhsa_system_sgpr_workgroup_id_y 0
		.amdhsa_system_sgpr_workgroup_id_z 0
		.amdhsa_system_sgpr_workgroup_info 0
		.amdhsa_system_vgpr_workitem_id 0
		.amdhsa_next_free_vgpr 9
		.amdhsa_next_free_sgpr 13
		.amdhsa_named_barrier_count 0
		.amdhsa_reserve_vcc 1
		.amdhsa_float_round_mode_32 0
		.amdhsa_float_round_mode_16_64 0
		.amdhsa_float_denorm_mode_32 3
		.amdhsa_float_denorm_mode_16_64 3
		.amdhsa_fp16_overflow 0
		.amdhsa_memory_ordered 1
		.amdhsa_forward_progress 1
		.amdhsa_inst_pref_size 7
		.amdhsa_round_robin_scheduling 0
		.amdhsa_exception_fp_ieee_invalid_op 0
		.amdhsa_exception_fp_denorm_src 0
		.amdhsa_exception_fp_ieee_div_zero 0
		.amdhsa_exception_fp_ieee_overflow 0
		.amdhsa_exception_fp_ieee_underflow 0
		.amdhsa_exception_fp_ieee_inexact 0
		.amdhsa_exception_int_div_zero 0
	.end_amdhsa_kernel
	.section	.text._ZN2at6native14lpnorm_cleanupIN3c108BFloat16ELNS0_8NormTypeE3ENS2_4HalfELb1EfEEvPKT3_NS0_19TensorListAddressesEi,"axG",@progbits,_ZN2at6native14lpnorm_cleanupIN3c108BFloat16ELNS0_8NormTypeE3ENS2_4HalfELb1EfEEvPKT3_NS0_19TensorListAddressesEi,comdat
.Lfunc_end139:
	.size	_ZN2at6native14lpnorm_cleanupIN3c108BFloat16ELNS0_8NormTypeE3ENS2_4HalfELb1EfEEvPKT3_NS0_19TensorListAddressesEi, .Lfunc_end139-_ZN2at6native14lpnorm_cleanupIN3c108BFloat16ELNS0_8NormTypeE3ENS2_4HalfELb1EfEEvPKT3_NS0_19TensorListAddressesEi
                                        ; -- End function
	.set _ZN2at6native14lpnorm_cleanupIN3c108BFloat16ELNS0_8NormTypeE3ENS2_4HalfELb1EfEEvPKT3_NS0_19TensorListAddressesEi.num_vgpr, 9
	.set _ZN2at6native14lpnorm_cleanupIN3c108BFloat16ELNS0_8NormTypeE3ENS2_4HalfELb1EfEEvPKT3_NS0_19TensorListAddressesEi.num_agpr, 0
	.set _ZN2at6native14lpnorm_cleanupIN3c108BFloat16ELNS0_8NormTypeE3ENS2_4HalfELb1EfEEvPKT3_NS0_19TensorListAddressesEi.numbered_sgpr, 13
	.set _ZN2at6native14lpnorm_cleanupIN3c108BFloat16ELNS0_8NormTypeE3ENS2_4HalfELb1EfEEvPKT3_NS0_19TensorListAddressesEi.num_named_barrier, 0
	.set _ZN2at6native14lpnorm_cleanupIN3c108BFloat16ELNS0_8NormTypeE3ENS2_4HalfELb1EfEEvPKT3_NS0_19TensorListAddressesEi.private_seg_size, 0
	.set _ZN2at6native14lpnorm_cleanupIN3c108BFloat16ELNS0_8NormTypeE3ENS2_4HalfELb1EfEEvPKT3_NS0_19TensorListAddressesEi.uses_vcc, 1
	.set _ZN2at6native14lpnorm_cleanupIN3c108BFloat16ELNS0_8NormTypeE3ENS2_4HalfELb1EfEEvPKT3_NS0_19TensorListAddressesEi.uses_flat_scratch, 0
	.set _ZN2at6native14lpnorm_cleanupIN3c108BFloat16ELNS0_8NormTypeE3ENS2_4HalfELb1EfEEvPKT3_NS0_19TensorListAddressesEi.has_dyn_sized_stack, 0
	.set _ZN2at6native14lpnorm_cleanupIN3c108BFloat16ELNS0_8NormTypeE3ENS2_4HalfELb1EfEEvPKT3_NS0_19TensorListAddressesEi.has_recursion, 0
	.set _ZN2at6native14lpnorm_cleanupIN3c108BFloat16ELNS0_8NormTypeE3ENS2_4HalfELb1EfEEvPKT3_NS0_19TensorListAddressesEi.has_indirect_call, 0
	.section	.AMDGPU.csdata,"",@progbits
; Kernel info:
; codeLenInByte = 872
; TotalNumSgprs: 15
; NumVgprs: 9
; ScratchSize: 0
; MemoryBound: 0
; FloatMode: 240
; IeeeMode: 1
; LDSByteSize: 2048 bytes/workgroup (compile time only)
; SGPRBlocks: 0
; VGPRBlocks: 0
; NumSGPRsForWavesPerEU: 15
; NumVGPRsForWavesPerEU: 9
; NamedBarCnt: 0
; Occupancy: 16
; WaveLimiterHint : 0
; COMPUTE_PGM_RSRC2:SCRATCH_EN: 0
; COMPUTE_PGM_RSRC2:USER_SGPR: 2
; COMPUTE_PGM_RSRC2:TRAP_HANDLER: 0
; COMPUTE_PGM_RSRC2:TGID_X_EN: 1
; COMPUTE_PGM_RSRC2:TGID_Y_EN: 0
; COMPUTE_PGM_RSRC2:TGID_Z_EN: 0
; COMPUTE_PGM_RSRC2:TIDIG_COMP_CNT: 0
	.section	.text._ZN2at6native12_GLOBAL__N_125multi_tensor_apply_kernelINS1_18TensorListMetadataILi1EEENS0_13LpNormFunctorIN3c108BFloat16ELNS0_8NormTypeE0ES7_Li1ELi1ELi0EEEJPfiEEEvT_T0_DpT1_,"axG",@progbits,_ZN2at6native12_GLOBAL__N_125multi_tensor_apply_kernelINS1_18TensorListMetadataILi1EEENS0_13LpNormFunctorIN3c108BFloat16ELNS0_8NormTypeE0ES7_Li1ELi1ELi0EEEJPfiEEEvT_T0_DpT1_,comdat
	.globl	_ZN2at6native12_GLOBAL__N_125multi_tensor_apply_kernelINS1_18TensorListMetadataILi1EEENS0_13LpNormFunctorIN3c108BFloat16ELNS0_8NormTypeE0ES7_Li1ELi1ELi0EEEJPfiEEEvT_T0_DpT1_ ; -- Begin function _ZN2at6native12_GLOBAL__N_125multi_tensor_apply_kernelINS1_18TensorListMetadataILi1EEENS0_13LpNormFunctorIN3c108BFloat16ELNS0_8NormTypeE0ES7_Li1ELi1ELi0EEEJPfiEEEvT_T0_DpT1_
	.p2align	8
	.type	_ZN2at6native12_GLOBAL__N_125multi_tensor_apply_kernelINS1_18TensorListMetadataILi1EEENS0_13LpNormFunctorIN3c108BFloat16ELNS0_8NormTypeE0ES7_Li1ELi1ELi0EEEJPfiEEEvT_T0_DpT1_,@function
_ZN2at6native12_GLOBAL__N_125multi_tensor_apply_kernelINS1_18TensorListMetadataILi1EEENS0_13LpNormFunctorIN3c108BFloat16ELNS0_8NormTypeE0ES7_Li1ELi1ELi0EEEJPfiEEEvT_T0_DpT1_: ; @_ZN2at6native12_GLOBAL__N_125multi_tensor_apply_kernelINS1_18TensorListMetadataILi1EEENS0_13LpNormFunctorIN3c108BFloat16ELNS0_8NormTypeE0ES7_Li1ELi1ELi0EEEJPfiEEEvT_T0_DpT1_
; %bb.0:
	s_bfe_u32 s2, ttmp6, 0x4000c
	s_and_b32 s3, ttmp6, 15
	s_add_co_i32 s2, s2, 1
	s_getreg_b32 s4, hwreg(HW_REG_IB_STS2, 6, 4)
	s_mul_i32 s2, ttmp9, s2
	s_delay_alu instid0(SALU_CYCLE_1)
	s_add_co_i32 s3, s3, s2
	s_cmp_eq_u32 s4, 0
	s_cselect_b32 s2, ttmp9, s3
	s_mov_b32 s3, 0
	v_mov_b32_e32 v1, s2
	s_add_nc_u64 s[4:5], s[0:1], s[2:3]
	s_mul_u64 s[6:7], s[2:3], 3
	s_delay_alu instid0(SALU_CYCLE_1) | instskip(SKIP_4) | instid1(SALU_CYCLE_1)
	s_add_nc_u64 s[4:5], s[4:5], s[6:7]
	global_load_u8 v15, v1, s[0:1] offset:1760
	s_load_b32 s4, s[4:5], 0x820
	s_wait_kmcnt 0x0
	s_ashr_i32 s5, s4, 31
	s_lshl_b64 s[10:11], s[4:5], 17
	s_lshl_b64 s[12:13], s[4:5], 16
	s_wait_loadcnt 0x0
	v_readfirstlane_b32 s2, v15
	s_and_b32 s2, s2, 0xff
	s_clause 0x1
	s_load_b64 s[6:7], s[0:1], s2 offset:0x0 scale_offset
	s_load_b64 s[8:9], s[0:1], s2 offset:0x370 scale_offset
	s_wait_kmcnt 0x0
	s_add_nc_u64 s[6:7], s[6:7], s[10:11]
	s_and_b32 s2, s8, 3
	s_and_b64 s[10:11], s[6:7], 7
	s_sub_nc_u64 s[8:9], s[8:9], s[12:13]
	s_or_b64 s[10:11], s[2:3], s[10:11]
	s_delay_alu instid0(SALU_CYCLE_1)
	s_cmp_eq_u64 s[10:11], 0
	s_cbranch_scc1 .LBB140_12
; %bb.1:
	v_cmp_lt_i64_e64 s2, s[8:9], 1
	s_and_b32 vcc_lo, exec_lo, s2
	s_cbranch_vccnz .LBB140_28
; %bb.2:
	s_load_b32 s2, s[0:1], 0xd4c
	v_min_i64 v[10:11], 0x10000, s[8:9]
	s_mov_b32 s11, 0
	s_mov_b64 s[12:13], 0
	s_wait_kmcnt 0x0
	s_and_b32 s2, s2, 0xffff
	s_delay_alu instid0(SALU_CYCLE_1) | instskip(SKIP_3) | instid1(VALU_DEP_3)
	v_dual_mov_b32 v7, 0 :: v_dual_add_nc_u32 v16, s2, v0
	v_mad_u32 v12, s2, 3, v0
	v_lshl_add_u32 v14, s2, 1, v0
	s_lshl_b32 s10, s2, 2
	v_dual_mov_b32 v6, v7 :: v_dual_mov_b32 v8, v7
	v_mov_b32_e32 v9, v7
	s_delay_alu instid0(VALU_DEP_2) | instskip(NEXT) | instid1(VALU_DEP_2)
	v_mov_b64_e32 v[2:3], v[6:7]
	v_mov_b64_e32 v[4:5], v[8:9]
	s_branch .LBB140_4
.LBB140_3:                              ;   in Loop: Header=BB140_4 Depth=1
	s_or_b32 exec_lo, exec_lo, s2
	s_add_nc_u64 s[12:13], s[12:13], s[10:11]
	s_delay_alu instid0(SALU_CYCLE_1)
	v_cmp_lt_i64_e32 vcc_lo, s[12:13], v[10:11]
	s_cbranch_vccz .LBB140_13
.LBB140_4:                              ; =>This Inner Loop Header: Depth=1
	v_add_nc_u32_e32 v6, s12, v0
	s_delay_alu instid0(VALU_DEP_1) | instskip(SKIP_2) | instid1(SALU_CYCLE_1)
	v_cmp_gt_i64_e32 vcc_lo, s[8:9], v[6:7]
	v_cmp_gt_u32_e64 s2, 0x10000, v6
	s_and_b32 s5, s2, vcc_lo
	s_and_saveexec_b32 s2, s5
	s_cbranch_execz .LBB140_6
; %bb.5:                                ;   in Loop: Header=BB140_4 Depth=1
	v_lshl_add_u64 v[8:9], v[6:7], 1, s[6:7]
	global_load_u16 v1, v[8:9], off
	s_wait_loadcnt 0x0
	v_and_b32_e32 v1, 0x7fff, v1
	s_delay_alu instid0(VALU_DEP_1) | instskip(SKIP_1) | instid1(VALU_DEP_1)
	v_cmp_eq_u16_e32 vcc_lo, 0, v1
	v_cndmask_b32_e64 v1, 1.0, 0, vcc_lo
	v_add_f32_e32 v2, v2, v1
.LBB140_6:                              ;   in Loop: Header=BB140_4 Depth=1
	s_or_b32 exec_lo, exec_lo, s2
	v_add_nc_u32_e32 v6, s12, v16
	s_delay_alu instid0(VALU_DEP_1) | instskip(SKIP_2) | instid1(SALU_CYCLE_1)
	v_cmp_gt_i64_e32 vcc_lo, s[8:9], v[6:7]
	v_cmp_gt_u32_e64 s2, 0x10000, v6
	s_and_b32 s5, s2, vcc_lo
	s_and_saveexec_b32 s2, s5
	s_cbranch_execz .LBB140_8
; %bb.7:                                ;   in Loop: Header=BB140_4 Depth=1
	v_lshl_add_u64 v[8:9], v[6:7], 1, s[6:7]
	global_load_u16 v1, v[8:9], off
	s_wait_loadcnt 0x0
	v_and_b32_e32 v1, 0x7fff, v1
	s_delay_alu instid0(VALU_DEP_1) | instskip(SKIP_1) | instid1(VALU_DEP_1)
	v_cmp_eq_u16_e32 vcc_lo, 0, v1
	v_cndmask_b32_e64 v1, 1.0, 0, vcc_lo
	v_add_f32_e32 v3, v3, v1
.LBB140_8:                              ;   in Loop: Header=BB140_4 Depth=1
	s_or_b32 exec_lo, exec_lo, s2
	v_add_nc_u32_e32 v6, s12, v14
	s_delay_alu instid0(VALU_DEP_1) | instskip(SKIP_2) | instid1(SALU_CYCLE_1)
	v_cmp_gt_i64_e32 vcc_lo, s[8:9], v[6:7]
	v_cmp_gt_u32_e64 s2, 0x10000, v6
	s_and_b32 s5, s2, vcc_lo
	s_and_saveexec_b32 s2, s5
	s_cbranch_execz .LBB140_10
; %bb.9:                                ;   in Loop: Header=BB140_4 Depth=1
	v_lshl_add_u64 v[8:9], v[6:7], 1, s[6:7]
	global_load_u16 v1, v[8:9], off
	s_wait_loadcnt 0x0
	v_and_b32_e32 v1, 0x7fff, v1
	s_delay_alu instid0(VALU_DEP_1) | instskip(SKIP_1) | instid1(VALU_DEP_1)
	v_cmp_eq_u16_e32 vcc_lo, 0, v1
	v_cndmask_b32_e64 v1, 1.0, 0, vcc_lo
	v_add_f32_e32 v4, v4, v1
.LBB140_10:                             ;   in Loop: Header=BB140_4 Depth=1
	s_or_b32 exec_lo, exec_lo, s2
	v_add_nc_u32_e32 v6, s12, v12
	s_delay_alu instid0(VALU_DEP_1) | instskip(SKIP_2) | instid1(SALU_CYCLE_1)
	v_cmp_gt_i64_e32 vcc_lo, s[8:9], v[6:7]
	v_cmp_gt_u32_e64 s2, 0x10000, v6
	s_and_b32 s5, s2, vcc_lo
	s_and_saveexec_b32 s2, s5
	s_cbranch_execz .LBB140_3
; %bb.11:                               ;   in Loop: Header=BB140_4 Depth=1
	v_lshl_add_u64 v[8:9], v[6:7], 1, s[6:7]
	global_load_u16 v1, v[8:9], off
	s_wait_loadcnt 0x0
	v_and_b32_e32 v1, 0x7fff, v1
	s_delay_alu instid0(VALU_DEP_1) | instskip(SKIP_1) | instid1(VALU_DEP_1)
	v_cmp_eq_u16_e32 vcc_lo, 0, v1
	v_cndmask_b32_e64 v1, 1.0, 0, vcc_lo
	v_add_f32_e32 v5, v5, v1
	s_branch .LBB140_3
.LBB140_12:
	s_mov_b32 s3, -1
                                        ; implicit-def: $vgpr2_vgpr3_vgpr4_vgpr5
.LBB140_13:
	s_delay_alu instid0(SALU_CYCLE_1)
	s_and_not1_b32 vcc_lo, exec_lo, s3
	s_cbranch_vccnz .LBB140_19
.LBB140_14:
	v_min_i64 v[8:9], 0x10000, s[8:9]
	v_dual_mov_b32 v3, 0 :: v_dual_lshlrev_b32 v2, 2, v0
	s_mov_b32 s9, 0
	s_delay_alu instid0(VALU_DEP_1) | instskip(NEXT) | instid1(VALU_DEP_2)
	v_dual_mov_b32 v5, v3 :: v_dual_mov_b32 v4, v3
	v_cmp_lt_i64_e32 vcc_lo, v[2:3], v[8:9]
	v_mov_b32_e32 v2, v3
	s_and_saveexec_b32 s3, vcc_lo
	s_cbranch_execz .LBB140_18
; %bb.15:
	s_load_b32 s2, s[0:1], 0xd4c
	v_dual_mov_b32 v1, v3 :: v_dual_lshlrev_b32 v2, 3, v0
	v_dual_mov_b32 v4, 0 :: v_dual_mov_b32 v5, 0
	v_dual_mov_b32 v6, 0 :: v_dual_mov_b32 v7, 0
	s_delay_alu instid0(VALU_DEP_3) | instskip(NEXT) | instid1(VALU_DEP_4)
	v_add_nc_u64_e32 v[10:11], s[6:7], v[2:3]
	v_mov_b64_e32 v[12:13], v[0:1]
	s_mov_b32 s7, s9
	s_mov_b32 s5, s9
	s_wait_kmcnt 0x0
	s_and_b32 s8, s2, 0xffff
	s_delay_alu instid0(SALU_CYCLE_1)
	s_lshl_b32 s6, s8, 3
.LBB140_16:                             ; =>This Inner Loop Header: Depth=1
	global_load_b64 v[16:17], v[10:11], off
	v_dual_mov_b32 v18, v3 :: v_dual_mov_b32 v20, v3
	v_add_nc_u64_e32 v[12:13], s[8:9], v[12:13]
	s_wait_xcnt 0x0
	v_add_nc_u64_e32 v[10:11], s[6:7], v[10:11]
	s_delay_alu instid0(VALU_DEP_2) | instskip(NEXT) | instid1(VALU_DEP_1)
	v_lshlrev_b64_e32 v[22:23], 2, v[12:13]
	v_cmp_ge_i64_e32 vcc_lo, v[22:23], v[8:9]
	s_or_b32 s5, vcc_lo, s5
	s_wait_loadcnt 0x0
	v_and_b32_e32 v2, 0x7fff, v16
	v_and_b32_e32 v19, 0x7fff, v17
	;; [unrolled: 1-line block ×3, first 2 shown]
	s_delay_alu instid0(VALU_DEP_3) | instskip(SKIP_1) | instid1(VALU_DEP_2)
	v_cmp_eq_u64_e64 s2, 0, v[2:3]
	v_and_b32_e32 v2, 0x7fff0000, v16
	v_cndmask_b32_e64 v1, 1.0, 0, s2
	v_cmp_eq_u64_e64 s2, 0, v[18:19]
	s_delay_alu instid0(VALU_DEP_1) | instskip(SKIP_1) | instid1(VALU_DEP_2)
	v_cndmask_b32_e64 v14, 1.0, 0, s2
	v_cmp_eq_u64_e64 s2, 0, v[20:21]
	v_dual_add_f32 v4, v4, v1 :: v_dual_add_f32 v6, v6, v14
	s_delay_alu instid0(VALU_DEP_2) | instskip(SKIP_1) | instid1(VALU_DEP_1)
	v_cndmask_b32_e64 v16, 1.0, 0, s2
	v_cmp_eq_u64_e64 s2, 0, v[2:3]
	v_cndmask_b32_e64 v2, 1.0, 0, s2
	s_delay_alu instid0(VALU_DEP_1)
	v_dual_add_f32 v7, v7, v16 :: v_dual_add_f32 v5, v5, v2
	s_and_not1_b32 exec_lo, exec_lo, s5
	s_cbranch_execnz .LBB140_16
; %bb.17:
	s_or_b32 exec_lo, exec_lo, s5
	s_delay_alu instid0(VALU_DEP_1)
	v_mov_b64_e32 v[2:3], v[4:5]
	v_mov_b64_e32 v[4:5], v[6:7]
.LBB140_18:
	s_or_b32 exec_lo, exec_lo, s3
.LBB140_19:
	s_delay_alu instid0(VALU_DEP_1) | instskip(SKIP_3) | instid1(VALU_DEP_2)
	v_add_f32_e32 v1, 0, v2
	v_mbcnt_lo_u32_b32 v6, -1, 0
	s_mov_b32 s2, exec_lo
	s_barrier_signal -1
	v_add_f32_e32 v1, v3, v1
	s_delay_alu instid0(VALU_DEP_2) | instskip(SKIP_1) | instid1(VALU_DEP_2)
	v_cmp_gt_u32_e32 vcc_lo, 24, v6
	s_barrier_wait -1
	v_add_f32_e32 v2, v4, v1
	v_lshl_or_b32 v1, v6, 2, 64
	s_delay_alu instid0(VALU_DEP_2)
	v_add_f32_e32 v3, v5, v2
	v_cndmask_b32_e64 v2, 0, 8, vcc_lo
	v_cmp_gt_u32_e32 vcc_lo, 28, v6
	ds_bpermute_b32 v4, v1, v3
	v_add_lshl_u32 v2, v2, v6, 2
	s_wait_dscnt 0x0
	v_add_f32_e32 v4, v3, v4
	v_cndmask_b32_e64 v3, 0, 4, vcc_lo
	v_cmp_gt_u32_e32 vcc_lo, 30, v6
	ds_bpermute_b32 v5, v2, v4
	v_add_lshl_u32 v3, v3, v6, 2
	s_wait_dscnt 0x0
	v_add_f32_e32 v5, v4, v5
	v_cndmask_b32_e64 v4, 0, 2, vcc_lo
	v_cmp_ne_u32_e32 vcc_lo, 31, v6
	ds_bpermute_b32 v7, v3, v5
	v_add_lshl_u32 v4, v4, v6, 2
	v_add_co_ci_u32_e64 v8, null, 0, v6, vcc_lo
	s_wait_dscnt 0x0
	v_add_f32_e32 v5, v5, v7
	ds_bpermute_b32 v7, v4, v5
	s_wait_dscnt 0x0
	v_dual_add_f32 v6, v5, v7 :: v_dual_lshlrev_b32 v5, 2, v8
	v_and_b32_e32 v7, 31, v0
	ds_bpermute_b32 v8, v5, v6
	v_cmpx_eq_u32_e32 0, v7
	s_cbranch_execz .LBB140_21
; %bb.20:
	v_lshrrev_b32_e32 v9, 3, v0
	s_wait_dscnt 0x0
	v_add_f32_e32 v6, v6, v8
	ds_store_b32 v9, v6
.LBB140_21:
	s_or_b32 exec_lo, exec_lo, s2
	s_wait_dscnt 0x0
	s_barrier_signal -1
	s_barrier_wait -1
	s_load_b32 s2, s[0:1], 0xd4c
	v_mov_b32_e32 v6, 0
	s_wait_kmcnt 0x0
	s_bfe_u32 s2, s2, 0xb0005
	s_delay_alu instid0(SALU_CYCLE_1)
	v_cmp_gt_u32_e32 vcc_lo, s2, v0
	s_and_saveexec_b32 s2, vcc_lo
; %bb.22:
	v_lshlrev_b32_e32 v6, 2, v7
	ds_load_b32 v6, v6
; %bb.23:
	s_or_b32 exec_lo, exec_lo, s2
	s_delay_alu instid0(SALU_CYCLE_1)
	s_mov_b32 s2, exec_lo
	v_cmpx_gt_u32_e32 32, v0
	s_cbranch_execz .LBB140_25
; %bb.24:
	s_wait_dscnt 0x0
	ds_bpermute_b32 v1, v1, v6
	s_wait_dscnt 0x0
	v_add_f32_e32 v1, v6, v1
	ds_bpermute_b32 v2, v2, v1
	s_wait_dscnt 0x0
	v_add_f32_e32 v1, v1, v2
	;; [unrolled: 3-line block ×5, first 2 shown]
.LBB140_25:
	s_or_b32 exec_lo, exec_lo, s2
	s_delay_alu instid0(SALU_CYCLE_1)
	s_mov_b32 s2, exec_lo
	v_cmpx_eq_u32_e32 0, v0
	s_cbranch_execz .LBB140_27
; %bb.26:
	s_clause 0x1
	s_load_b32 s2, s[0:1], 0xd20
	s_load_b96 s[8:10], s[0:1], 0xd30
	v_and_b32_e32 v0, 0xff, v15
	s_wait_kmcnt 0x0
	s_delay_alu instid0(VALU_DEP_1) | instskip(NEXT) | instid1(VALU_DEP_1)
	v_add_nc_u32_e32 v0, s2, v0
	v_mul_lo_u32 v0, v0, s10
	s_delay_alu instid0(VALU_DEP_1)
	v_add_nc_u32_e32 v0, s4, v0
	s_wait_dscnt 0x0
	global_store_b32 v0, v6, s[8:9] scale_offset
.LBB140_27:
	s_endpgm
.LBB140_28:
	v_mov_b32_e32 v2, 0
	s_delay_alu instid0(VALU_DEP_1)
	v_dual_mov_b32 v3, v2 :: v_dual_mov_b32 v4, v2
	v_mov_b32_e32 v5, v2
	s_and_not1_b32 vcc_lo, exec_lo, s3
	s_cbranch_vccz .LBB140_14
	s_branch .LBB140_19
	.section	.rodata,"a",@progbits
	.p2align	6, 0x0
	.amdhsa_kernel _ZN2at6native12_GLOBAL__N_125multi_tensor_apply_kernelINS1_18TensorListMetadataILi1EEENS0_13LpNormFunctorIN3c108BFloat16ELNS0_8NormTypeE0ES7_Li1ELi1ELi0EEEJPfiEEEvT_T0_DpT1_
		.amdhsa_group_segment_fixed_size 2048
		.amdhsa_private_segment_fixed_size 0
		.amdhsa_kernarg_size 3648
		.amdhsa_user_sgpr_count 2
		.amdhsa_user_sgpr_dispatch_ptr 0
		.amdhsa_user_sgpr_queue_ptr 0
		.amdhsa_user_sgpr_kernarg_segment_ptr 1
		.amdhsa_user_sgpr_dispatch_id 0
		.amdhsa_user_sgpr_kernarg_preload_length 0
		.amdhsa_user_sgpr_kernarg_preload_offset 0
		.amdhsa_user_sgpr_private_segment_size 0
		.amdhsa_wavefront_size32 1
		.amdhsa_uses_dynamic_stack 0
		.amdhsa_enable_private_segment 0
		.amdhsa_system_sgpr_workgroup_id_x 1
		.amdhsa_system_sgpr_workgroup_id_y 0
		.amdhsa_system_sgpr_workgroup_id_z 0
		.amdhsa_system_sgpr_workgroup_info 0
		.amdhsa_system_vgpr_workitem_id 0
		.amdhsa_next_free_vgpr 24
		.amdhsa_next_free_sgpr 14
		.amdhsa_named_barrier_count 0
		.amdhsa_reserve_vcc 1
		.amdhsa_float_round_mode_32 0
		.amdhsa_float_round_mode_16_64 0
		.amdhsa_float_denorm_mode_32 3
		.amdhsa_float_denorm_mode_16_64 3
		.amdhsa_fp16_overflow 0
		.amdhsa_memory_ordered 1
		.amdhsa_forward_progress 1
		.amdhsa_inst_pref_size 13
		.amdhsa_round_robin_scheduling 0
		.amdhsa_exception_fp_ieee_invalid_op 0
		.amdhsa_exception_fp_denorm_src 0
		.amdhsa_exception_fp_ieee_div_zero 0
		.amdhsa_exception_fp_ieee_overflow 0
		.amdhsa_exception_fp_ieee_underflow 0
		.amdhsa_exception_fp_ieee_inexact 0
		.amdhsa_exception_int_div_zero 0
	.end_amdhsa_kernel
	.section	.text._ZN2at6native12_GLOBAL__N_125multi_tensor_apply_kernelINS1_18TensorListMetadataILi1EEENS0_13LpNormFunctorIN3c108BFloat16ELNS0_8NormTypeE0ES7_Li1ELi1ELi0EEEJPfiEEEvT_T0_DpT1_,"axG",@progbits,_ZN2at6native12_GLOBAL__N_125multi_tensor_apply_kernelINS1_18TensorListMetadataILi1EEENS0_13LpNormFunctorIN3c108BFloat16ELNS0_8NormTypeE0ES7_Li1ELi1ELi0EEEJPfiEEEvT_T0_DpT1_,comdat
.Lfunc_end140:
	.size	_ZN2at6native12_GLOBAL__N_125multi_tensor_apply_kernelINS1_18TensorListMetadataILi1EEENS0_13LpNormFunctorIN3c108BFloat16ELNS0_8NormTypeE0ES7_Li1ELi1ELi0EEEJPfiEEEvT_T0_DpT1_, .Lfunc_end140-_ZN2at6native12_GLOBAL__N_125multi_tensor_apply_kernelINS1_18TensorListMetadataILi1EEENS0_13LpNormFunctorIN3c108BFloat16ELNS0_8NormTypeE0ES7_Li1ELi1ELi0EEEJPfiEEEvT_T0_DpT1_
                                        ; -- End function
	.set _ZN2at6native12_GLOBAL__N_125multi_tensor_apply_kernelINS1_18TensorListMetadataILi1EEENS0_13LpNormFunctorIN3c108BFloat16ELNS0_8NormTypeE0ES7_Li1ELi1ELi0EEEJPfiEEEvT_T0_DpT1_.num_vgpr, 24
	.set _ZN2at6native12_GLOBAL__N_125multi_tensor_apply_kernelINS1_18TensorListMetadataILi1EEENS0_13LpNormFunctorIN3c108BFloat16ELNS0_8NormTypeE0ES7_Li1ELi1ELi0EEEJPfiEEEvT_T0_DpT1_.num_agpr, 0
	.set _ZN2at6native12_GLOBAL__N_125multi_tensor_apply_kernelINS1_18TensorListMetadataILi1EEENS0_13LpNormFunctorIN3c108BFloat16ELNS0_8NormTypeE0ES7_Li1ELi1ELi0EEEJPfiEEEvT_T0_DpT1_.numbered_sgpr, 14
	.set _ZN2at6native12_GLOBAL__N_125multi_tensor_apply_kernelINS1_18TensorListMetadataILi1EEENS0_13LpNormFunctorIN3c108BFloat16ELNS0_8NormTypeE0ES7_Li1ELi1ELi0EEEJPfiEEEvT_T0_DpT1_.num_named_barrier, 0
	.set _ZN2at6native12_GLOBAL__N_125multi_tensor_apply_kernelINS1_18TensorListMetadataILi1EEENS0_13LpNormFunctorIN3c108BFloat16ELNS0_8NormTypeE0ES7_Li1ELi1ELi0EEEJPfiEEEvT_T0_DpT1_.private_seg_size, 0
	.set _ZN2at6native12_GLOBAL__N_125multi_tensor_apply_kernelINS1_18TensorListMetadataILi1EEENS0_13LpNormFunctorIN3c108BFloat16ELNS0_8NormTypeE0ES7_Li1ELi1ELi0EEEJPfiEEEvT_T0_DpT1_.uses_vcc, 1
	.set _ZN2at6native12_GLOBAL__N_125multi_tensor_apply_kernelINS1_18TensorListMetadataILi1EEENS0_13LpNormFunctorIN3c108BFloat16ELNS0_8NormTypeE0ES7_Li1ELi1ELi0EEEJPfiEEEvT_T0_DpT1_.uses_flat_scratch, 0
	.set _ZN2at6native12_GLOBAL__N_125multi_tensor_apply_kernelINS1_18TensorListMetadataILi1EEENS0_13LpNormFunctorIN3c108BFloat16ELNS0_8NormTypeE0ES7_Li1ELi1ELi0EEEJPfiEEEvT_T0_DpT1_.has_dyn_sized_stack, 0
	.set _ZN2at6native12_GLOBAL__N_125multi_tensor_apply_kernelINS1_18TensorListMetadataILi1EEENS0_13LpNormFunctorIN3c108BFloat16ELNS0_8NormTypeE0ES7_Li1ELi1ELi0EEEJPfiEEEvT_T0_DpT1_.has_recursion, 0
	.set _ZN2at6native12_GLOBAL__N_125multi_tensor_apply_kernelINS1_18TensorListMetadataILi1EEENS0_13LpNormFunctorIN3c108BFloat16ELNS0_8NormTypeE0ES7_Li1ELi1ELi0EEEJPfiEEEvT_T0_DpT1_.has_indirect_call, 0
	.section	.AMDGPU.csdata,"",@progbits
; Kernel info:
; codeLenInByte = 1572
; TotalNumSgprs: 16
; NumVgprs: 24
; ScratchSize: 0
; MemoryBound: 0
; FloatMode: 240
; IeeeMode: 1
; LDSByteSize: 2048 bytes/workgroup (compile time only)
; SGPRBlocks: 0
; VGPRBlocks: 1
; NumSGPRsForWavesPerEU: 16
; NumVGPRsForWavesPerEU: 24
; NamedBarCnt: 0
; Occupancy: 16
; WaveLimiterHint : 0
; COMPUTE_PGM_RSRC2:SCRATCH_EN: 0
; COMPUTE_PGM_RSRC2:USER_SGPR: 2
; COMPUTE_PGM_RSRC2:TRAP_HANDLER: 0
; COMPUTE_PGM_RSRC2:TGID_X_EN: 1
; COMPUTE_PGM_RSRC2:TGID_Y_EN: 0
; COMPUTE_PGM_RSRC2:TGID_Z_EN: 0
; COMPUTE_PGM_RSRC2:TIDIG_COMP_CNT: 0
	.section	.text._ZN2at6native12_GLOBAL__N_125multi_tensor_apply_kernelINS1_18TensorListMetadataILi1EEENS0_13LpNormFunctorIN3c108BFloat16ELNS0_8NormTypeE1ES7_Li1ELi1ELi0EEEJPfiEEEvT_T0_DpT1_,"axG",@progbits,_ZN2at6native12_GLOBAL__N_125multi_tensor_apply_kernelINS1_18TensorListMetadataILi1EEENS0_13LpNormFunctorIN3c108BFloat16ELNS0_8NormTypeE1ES7_Li1ELi1ELi0EEEJPfiEEEvT_T0_DpT1_,comdat
	.globl	_ZN2at6native12_GLOBAL__N_125multi_tensor_apply_kernelINS1_18TensorListMetadataILi1EEENS0_13LpNormFunctorIN3c108BFloat16ELNS0_8NormTypeE1ES7_Li1ELi1ELi0EEEJPfiEEEvT_T0_DpT1_ ; -- Begin function _ZN2at6native12_GLOBAL__N_125multi_tensor_apply_kernelINS1_18TensorListMetadataILi1EEENS0_13LpNormFunctorIN3c108BFloat16ELNS0_8NormTypeE1ES7_Li1ELi1ELi0EEEJPfiEEEvT_T0_DpT1_
	.p2align	8
	.type	_ZN2at6native12_GLOBAL__N_125multi_tensor_apply_kernelINS1_18TensorListMetadataILi1EEENS0_13LpNormFunctorIN3c108BFloat16ELNS0_8NormTypeE1ES7_Li1ELi1ELi0EEEJPfiEEEvT_T0_DpT1_,@function
_ZN2at6native12_GLOBAL__N_125multi_tensor_apply_kernelINS1_18TensorListMetadataILi1EEENS0_13LpNormFunctorIN3c108BFloat16ELNS0_8NormTypeE1ES7_Li1ELi1ELi0EEEJPfiEEEvT_T0_DpT1_: ; @_ZN2at6native12_GLOBAL__N_125multi_tensor_apply_kernelINS1_18TensorListMetadataILi1EEENS0_13LpNormFunctorIN3c108BFloat16ELNS0_8NormTypeE1ES7_Li1ELi1ELi0EEEJPfiEEEvT_T0_DpT1_
; %bb.0:
	s_bfe_u32 s2, ttmp6, 0x4000c
	s_and_b32 s3, ttmp6, 15
	s_add_co_i32 s2, s2, 1
	s_getreg_b32 s4, hwreg(HW_REG_IB_STS2, 6, 4)
	s_mul_i32 s2, ttmp9, s2
	s_delay_alu instid0(SALU_CYCLE_1)
	s_add_co_i32 s3, s3, s2
	s_cmp_eq_u32 s4, 0
	s_cselect_b32 s2, ttmp9, s3
	s_mov_b32 s3, 0
	v_mov_b32_e32 v1, s2
	s_add_nc_u64 s[4:5], s[0:1], s[2:3]
	s_mul_u64 s[6:7], s[2:3], 3
	s_delay_alu instid0(SALU_CYCLE_1) | instskip(SKIP_4) | instid1(SALU_CYCLE_1)
	s_add_nc_u64 s[4:5], s[4:5], s[6:7]
	global_load_u8 v13, v1, s[0:1] offset:1760
	s_load_b32 s4, s[4:5], 0x820
	s_wait_kmcnt 0x0
	s_ashr_i32 s5, s4, 31
	s_lshl_b64 s[10:11], s[4:5], 17
	s_lshl_b64 s[12:13], s[4:5], 16
	s_wait_loadcnt 0x0
	v_readfirstlane_b32 s2, v13
	s_and_b32 s2, s2, 0xff
	s_clause 0x1
	s_load_b64 s[6:7], s[0:1], s2 offset:0x0 scale_offset
	s_load_b64 s[8:9], s[0:1], s2 offset:0x370 scale_offset
	s_wait_kmcnt 0x0
	s_add_nc_u64 s[6:7], s[6:7], s[10:11]
	s_and_b32 s2, s8, 3
	s_and_b64 s[10:11], s[6:7], 7
	s_sub_nc_u64 s[8:9], s[8:9], s[12:13]
	s_or_b64 s[10:11], s[2:3], s[10:11]
	s_delay_alu instid0(SALU_CYCLE_1)
	s_cmp_eq_u64 s[10:11], 0
	s_cbranch_scc1 .LBB141_12
; %bb.1:
	v_cmp_lt_i64_e64 s2, s[8:9], 1
	s_and_b32 vcc_lo, exec_lo, s2
	s_cbranch_vccnz .LBB141_28
; %bb.2:
	s_load_b32 s2, s[0:1], 0xd4c
	v_min_i64 v[10:11], 0x10000, s[8:9]
	s_mov_b32 s11, 0
	s_mov_b64 s[12:13], 0
	s_wait_kmcnt 0x0
	s_and_b32 s2, s2, 0xffff
	s_delay_alu instid0(SALU_CYCLE_1) | instskip(SKIP_3) | instid1(VALU_DEP_3)
	v_dual_mov_b32 v7, 0 :: v_dual_add_nc_u32 v16, s2, v0
	v_mad_u32 v12, s2, 3, v0
	v_lshl_add_u32 v14, s2, 1, v0
	s_lshl_b32 s10, s2, 2
	v_dual_mov_b32 v6, v7 :: v_dual_mov_b32 v8, v7
	v_mov_b32_e32 v9, v7
	s_delay_alu instid0(VALU_DEP_2) | instskip(NEXT) | instid1(VALU_DEP_2)
	v_mov_b64_e32 v[2:3], v[6:7]
	v_mov_b64_e32 v[4:5], v[8:9]
	s_branch .LBB141_4
.LBB141_3:                              ;   in Loop: Header=BB141_4 Depth=1
	s_or_b32 exec_lo, exec_lo, s2
	s_add_nc_u64 s[12:13], s[12:13], s[10:11]
	s_delay_alu instid0(SALU_CYCLE_1)
	v_cmp_lt_i64_e32 vcc_lo, s[12:13], v[10:11]
	s_cbranch_vccz .LBB141_13
.LBB141_4:                              ; =>This Inner Loop Header: Depth=1
	v_add_nc_u32_e32 v6, s12, v0
	s_delay_alu instid0(VALU_DEP_1) | instskip(SKIP_2) | instid1(SALU_CYCLE_1)
	v_cmp_gt_i64_e32 vcc_lo, s[8:9], v[6:7]
	v_cmp_gt_u32_e64 s2, 0x10000, v6
	s_and_b32 s5, s2, vcc_lo
	s_and_saveexec_b32 s2, s5
	s_cbranch_execz .LBB141_6
; %bb.5:                                ;   in Loop: Header=BB141_4 Depth=1
	v_lshl_add_u64 v[8:9], v[6:7], 1, s[6:7]
	global_load_u16 v1, v[8:9], off
	s_wait_loadcnt 0x0
	v_lshlrev_b32_e32 v1, 16, v1
	s_delay_alu instid0(VALU_DEP_1)
	v_add_f32_e64 v2, v2, |v1|
.LBB141_6:                              ;   in Loop: Header=BB141_4 Depth=1
	s_or_b32 exec_lo, exec_lo, s2
	v_add_nc_u32_e32 v6, s12, v16
	s_delay_alu instid0(VALU_DEP_1) | instskip(SKIP_2) | instid1(SALU_CYCLE_1)
	v_cmp_gt_i64_e32 vcc_lo, s[8:9], v[6:7]
	v_cmp_gt_u32_e64 s2, 0x10000, v6
	s_and_b32 s5, s2, vcc_lo
	s_and_saveexec_b32 s2, s5
	s_cbranch_execz .LBB141_8
; %bb.7:                                ;   in Loop: Header=BB141_4 Depth=1
	v_lshl_add_u64 v[8:9], v[6:7], 1, s[6:7]
	global_load_u16 v1, v[8:9], off
	s_wait_loadcnt 0x0
	v_lshlrev_b32_e32 v1, 16, v1
	s_delay_alu instid0(VALU_DEP_1)
	v_add_f32_e64 v3, v3, |v1|
.LBB141_8:                              ;   in Loop: Header=BB141_4 Depth=1
	s_or_b32 exec_lo, exec_lo, s2
	v_add_nc_u32_e32 v6, s12, v14
	s_delay_alu instid0(VALU_DEP_1) | instskip(SKIP_2) | instid1(SALU_CYCLE_1)
	v_cmp_gt_i64_e32 vcc_lo, s[8:9], v[6:7]
	v_cmp_gt_u32_e64 s2, 0x10000, v6
	s_and_b32 s5, s2, vcc_lo
	s_and_saveexec_b32 s2, s5
	s_cbranch_execz .LBB141_10
; %bb.9:                                ;   in Loop: Header=BB141_4 Depth=1
	v_lshl_add_u64 v[8:9], v[6:7], 1, s[6:7]
	global_load_u16 v1, v[8:9], off
	s_wait_loadcnt 0x0
	v_lshlrev_b32_e32 v1, 16, v1
	s_delay_alu instid0(VALU_DEP_1)
	v_add_f32_e64 v4, v4, |v1|
.LBB141_10:                             ;   in Loop: Header=BB141_4 Depth=1
	s_or_b32 exec_lo, exec_lo, s2
	v_add_nc_u32_e32 v6, s12, v12
	s_delay_alu instid0(VALU_DEP_1) | instskip(SKIP_2) | instid1(SALU_CYCLE_1)
	v_cmp_gt_i64_e32 vcc_lo, s[8:9], v[6:7]
	v_cmp_gt_u32_e64 s2, 0x10000, v6
	s_and_b32 s5, s2, vcc_lo
	s_and_saveexec_b32 s2, s5
	s_cbranch_execz .LBB141_3
; %bb.11:                               ;   in Loop: Header=BB141_4 Depth=1
	v_lshl_add_u64 v[8:9], v[6:7], 1, s[6:7]
	global_load_u16 v1, v[8:9], off
	s_wait_loadcnt 0x0
	v_lshlrev_b32_e32 v1, 16, v1
	s_delay_alu instid0(VALU_DEP_1)
	v_add_f32_e64 v5, v5, |v1|
	s_branch .LBB141_3
.LBB141_12:
	s_mov_b32 s3, -1
                                        ; implicit-def: $vgpr2_vgpr3_vgpr4_vgpr5
.LBB141_13:
	s_delay_alu instid0(SALU_CYCLE_1)
	s_and_not1_b32 vcc_lo, exec_lo, s3
	s_cbranch_vccnz .LBB141_19
.LBB141_14:
	v_min_i64 v[6:7], 0x10000, s[8:9]
	v_dual_mov_b32 v2, 0 :: v_dual_lshlrev_b32 v4, 2, v0
	s_mov_b32 s3, 0
	s_delay_alu instid0(VALU_DEP_1) | instskip(NEXT) | instid1(VALU_DEP_1)
	v_dual_mov_b32 v5, v2 :: v_dual_mov_b32 v3, v2
	v_cmp_lt_i64_e32 vcc_lo, v[4:5], v[6:7]
	v_mov_b32_e32 v4, v2
	s_and_saveexec_b32 s5, vcc_lo
	s_cbranch_execz .LBB141_18
; %bb.15:
	s_load_b32 s2, s[0:1], 0xd4c
	v_dual_mov_b32 v9, v2 :: v_dual_lshlrev_b32 v8, 3, v0
	v_dual_mov_b32 v1, v2 :: v_dual_mov_b32 v3, v2
	v_dual_mov_b32 v4, v2 :: v_dual_mov_b32 v5, v2
	s_delay_alu instid0(VALU_DEP_3) | instskip(NEXT) | instid1(VALU_DEP_3)
	v_add_nc_u64_e32 v[8:9], s[6:7], v[8:9]
	v_mov_b64_e32 v[10:11], v[0:1]
	s_mov_b32 s7, s3
	s_mov_b32 s8, s3
	s_wait_kmcnt 0x0
	s_and_b32 s2, s2, 0xffff
	s_delay_alu instid0(SALU_CYCLE_1)
	s_lshl_b32 s6, s2, 3
.LBB141_16:                             ; =>This Inner Loop Header: Depth=1
	global_load_b64 v[14:15], v[8:9], off
	v_add_nc_u64_e32 v[10:11], s[2:3], v[10:11]
	s_wait_xcnt 0x0
	v_add_nc_u64_e32 v[8:9], s[6:7], v[8:9]
	s_delay_alu instid0(VALU_DEP_2) | instskip(NEXT) | instid1(VALU_DEP_1)
	v_lshlrev_b64_e32 v[16:17], 2, v[10:11]
	v_cmp_ge_i64_e32 vcc_lo, v[16:17], v[6:7]
	s_or_b32 s8, vcc_lo, s8
	s_wait_loadcnt 0x0
	v_alignbit_b32 v1, v15, v14, 16
	v_and_b32_e32 v12, 0xffff0000, v15
	v_and_b32_e32 v18, 0xffff0000, v14
	v_lshlrev_b32_e32 v14, 16, v14
	s_delay_alu instid0(VALU_DEP_4) | instskip(NEXT) | instid1(VALU_DEP_4)
	v_and_b32_e32 v1, 0xffff0000, v1
	v_and_b32_e32 v15, 0x7fffffff, v12
	s_delay_alu instid0(VALU_DEP_4) | instskip(NEXT) | instid1(VALU_DEP_4)
	v_and_b32_e32 v17, 0x7fffffff, v18
	v_and_b32_e32 v16, 0x7fffffff, v14
	s_delay_alu instid0(VALU_DEP_4) | instskip(NEXT) | instid1(VALU_DEP_2)
	v_and_b32_e32 v14, 0x7fffffff, v1
	v_pk_add_f32 v[2:3], v[2:3], v[16:17]
	s_delay_alu instid0(VALU_DEP_2)
	v_pk_add_f32 v[4:5], v[4:5], v[14:15]
	s_and_not1_b32 exec_lo, exec_lo, s8
	s_cbranch_execnz .LBB141_16
; %bb.17:
	s_or_b32 exec_lo, exec_lo, s8
.LBB141_18:
	s_delay_alu instid0(SALU_CYCLE_1)
	s_or_b32 exec_lo, exec_lo, s5
.LBB141_19:
	v_add_f32_e32 v1, 0, v2
	v_mbcnt_lo_u32_b32 v6, -1, 0
	s_mov_b32 s2, exec_lo
	s_barrier_signal -1
	s_delay_alu instid0(VALU_DEP_2) | instskip(NEXT) | instid1(VALU_DEP_2)
	v_add_f32_e32 v1, v3, v1
	v_cmp_gt_u32_e32 vcc_lo, 24, v6
	s_barrier_wait -1
	s_delay_alu instid0(VALU_DEP_2) | instskip(SKIP_1) | instid1(VALU_DEP_2)
	v_add_f32_e32 v2, v4, v1
	v_lshl_or_b32 v1, v6, 2, 64
	v_add_f32_e32 v3, v5, v2
	v_cndmask_b32_e64 v2, 0, 8, vcc_lo
	v_cmp_gt_u32_e32 vcc_lo, 28, v6
	ds_bpermute_b32 v4, v1, v3
	v_add_lshl_u32 v2, v2, v6, 2
	s_wait_dscnt 0x0
	v_add_f32_e32 v4, v3, v4
	v_cndmask_b32_e64 v3, 0, 4, vcc_lo
	v_cmp_gt_u32_e32 vcc_lo, 30, v6
	ds_bpermute_b32 v5, v2, v4
	v_add_lshl_u32 v3, v3, v6, 2
	s_wait_dscnt 0x0
	v_add_f32_e32 v5, v4, v5
	v_cndmask_b32_e64 v4, 0, 2, vcc_lo
	v_cmp_ne_u32_e32 vcc_lo, 31, v6
	ds_bpermute_b32 v7, v3, v5
	v_add_lshl_u32 v4, v4, v6, 2
	v_add_co_ci_u32_e64 v8, null, 0, v6, vcc_lo
	s_wait_dscnt 0x0
	v_add_f32_e32 v5, v5, v7
	ds_bpermute_b32 v7, v4, v5
	s_wait_dscnt 0x0
	v_dual_add_f32 v6, v5, v7 :: v_dual_lshlrev_b32 v5, 2, v8
	v_and_b32_e32 v7, 31, v0
	ds_bpermute_b32 v8, v5, v6
	v_cmpx_eq_u32_e32 0, v7
	s_cbranch_execz .LBB141_21
; %bb.20:
	v_lshrrev_b32_e32 v9, 3, v0
	s_wait_dscnt 0x0
	v_add_f32_e32 v6, v6, v8
	ds_store_b32 v9, v6
.LBB141_21:
	s_or_b32 exec_lo, exec_lo, s2
	s_wait_dscnt 0x0
	s_barrier_signal -1
	s_barrier_wait -1
	s_load_b32 s2, s[0:1], 0xd4c
	v_mov_b32_e32 v6, 0
	s_wait_kmcnt 0x0
	s_bfe_u32 s2, s2, 0xb0005
	s_delay_alu instid0(SALU_CYCLE_1)
	v_cmp_gt_u32_e32 vcc_lo, s2, v0
	s_and_saveexec_b32 s2, vcc_lo
; %bb.22:
	v_lshlrev_b32_e32 v6, 2, v7
	ds_load_b32 v6, v6
; %bb.23:
	s_or_b32 exec_lo, exec_lo, s2
	s_delay_alu instid0(SALU_CYCLE_1)
	s_mov_b32 s2, exec_lo
	v_cmpx_gt_u32_e32 32, v0
	s_cbranch_execz .LBB141_25
; %bb.24:
	s_wait_dscnt 0x0
	ds_bpermute_b32 v1, v1, v6
	s_wait_dscnt 0x0
	v_add_f32_e32 v1, v6, v1
	ds_bpermute_b32 v2, v2, v1
	s_wait_dscnt 0x0
	v_add_f32_e32 v1, v1, v2
	;; [unrolled: 3-line block ×5, first 2 shown]
.LBB141_25:
	s_or_b32 exec_lo, exec_lo, s2
	s_delay_alu instid0(SALU_CYCLE_1)
	s_mov_b32 s2, exec_lo
	v_cmpx_eq_u32_e32 0, v0
	s_cbranch_execz .LBB141_27
; %bb.26:
	s_clause 0x1
	s_load_b32 s2, s[0:1], 0xd20
	s_load_b96 s[8:10], s[0:1], 0xd30
	v_and_b32_e32 v0, 0xff, v13
	s_wait_kmcnt 0x0
	s_delay_alu instid0(VALU_DEP_1) | instskip(NEXT) | instid1(VALU_DEP_1)
	v_add_nc_u32_e32 v0, s2, v0
	v_mul_lo_u32 v0, v0, s10
	s_delay_alu instid0(VALU_DEP_1)
	v_add_nc_u32_e32 v0, s4, v0
	s_wait_dscnt 0x0
	global_store_b32 v0, v6, s[8:9] scale_offset
.LBB141_27:
	s_endpgm
.LBB141_28:
	v_mov_b32_e32 v2, 0
	s_delay_alu instid0(VALU_DEP_1)
	v_dual_mov_b32 v3, v2 :: v_dual_mov_b32 v4, v2
	v_mov_b32_e32 v5, v2
	s_and_not1_b32 vcc_lo, exec_lo, s3
	s_cbranch_vccz .LBB141_14
	s_branch .LBB141_19
	.section	.rodata,"a",@progbits
	.p2align	6, 0x0
	.amdhsa_kernel _ZN2at6native12_GLOBAL__N_125multi_tensor_apply_kernelINS1_18TensorListMetadataILi1EEENS0_13LpNormFunctorIN3c108BFloat16ELNS0_8NormTypeE1ES7_Li1ELi1ELi0EEEJPfiEEEvT_T0_DpT1_
		.amdhsa_group_segment_fixed_size 2048
		.amdhsa_private_segment_fixed_size 0
		.amdhsa_kernarg_size 3648
		.amdhsa_user_sgpr_count 2
		.amdhsa_user_sgpr_dispatch_ptr 0
		.amdhsa_user_sgpr_queue_ptr 0
		.amdhsa_user_sgpr_kernarg_segment_ptr 1
		.amdhsa_user_sgpr_dispatch_id 0
		.amdhsa_user_sgpr_kernarg_preload_length 0
		.amdhsa_user_sgpr_kernarg_preload_offset 0
		.amdhsa_user_sgpr_private_segment_size 0
		.amdhsa_wavefront_size32 1
		.amdhsa_uses_dynamic_stack 0
		.amdhsa_enable_private_segment 0
		.amdhsa_system_sgpr_workgroup_id_x 1
		.amdhsa_system_sgpr_workgroup_id_y 0
		.amdhsa_system_sgpr_workgroup_id_z 0
		.amdhsa_system_sgpr_workgroup_info 0
		.amdhsa_system_vgpr_workitem_id 0
		.amdhsa_next_free_vgpr 19
		.amdhsa_next_free_sgpr 14
		.amdhsa_named_barrier_count 0
		.amdhsa_reserve_vcc 1
		.amdhsa_float_round_mode_32 0
		.amdhsa_float_round_mode_16_64 0
		.amdhsa_float_denorm_mode_32 3
		.amdhsa_float_denorm_mode_16_64 3
		.amdhsa_fp16_overflow 0
		.amdhsa_memory_ordered 1
		.amdhsa_forward_progress 1
		.amdhsa_inst_pref_size 12
		.amdhsa_round_robin_scheduling 0
		.amdhsa_exception_fp_ieee_invalid_op 0
		.amdhsa_exception_fp_denorm_src 0
		.amdhsa_exception_fp_ieee_div_zero 0
		.amdhsa_exception_fp_ieee_overflow 0
		.amdhsa_exception_fp_ieee_underflow 0
		.amdhsa_exception_fp_ieee_inexact 0
		.amdhsa_exception_int_div_zero 0
	.end_amdhsa_kernel
	.section	.text._ZN2at6native12_GLOBAL__N_125multi_tensor_apply_kernelINS1_18TensorListMetadataILi1EEENS0_13LpNormFunctorIN3c108BFloat16ELNS0_8NormTypeE1ES7_Li1ELi1ELi0EEEJPfiEEEvT_T0_DpT1_,"axG",@progbits,_ZN2at6native12_GLOBAL__N_125multi_tensor_apply_kernelINS1_18TensorListMetadataILi1EEENS0_13LpNormFunctorIN3c108BFloat16ELNS0_8NormTypeE1ES7_Li1ELi1ELi0EEEJPfiEEEvT_T0_DpT1_,comdat
.Lfunc_end141:
	.size	_ZN2at6native12_GLOBAL__N_125multi_tensor_apply_kernelINS1_18TensorListMetadataILi1EEENS0_13LpNormFunctorIN3c108BFloat16ELNS0_8NormTypeE1ES7_Li1ELi1ELi0EEEJPfiEEEvT_T0_DpT1_, .Lfunc_end141-_ZN2at6native12_GLOBAL__N_125multi_tensor_apply_kernelINS1_18TensorListMetadataILi1EEENS0_13LpNormFunctorIN3c108BFloat16ELNS0_8NormTypeE1ES7_Li1ELi1ELi0EEEJPfiEEEvT_T0_DpT1_
                                        ; -- End function
	.set _ZN2at6native12_GLOBAL__N_125multi_tensor_apply_kernelINS1_18TensorListMetadataILi1EEENS0_13LpNormFunctorIN3c108BFloat16ELNS0_8NormTypeE1ES7_Li1ELi1ELi0EEEJPfiEEEvT_T0_DpT1_.num_vgpr, 19
	.set _ZN2at6native12_GLOBAL__N_125multi_tensor_apply_kernelINS1_18TensorListMetadataILi1EEENS0_13LpNormFunctorIN3c108BFloat16ELNS0_8NormTypeE1ES7_Li1ELi1ELi0EEEJPfiEEEvT_T0_DpT1_.num_agpr, 0
	.set _ZN2at6native12_GLOBAL__N_125multi_tensor_apply_kernelINS1_18TensorListMetadataILi1EEENS0_13LpNormFunctorIN3c108BFloat16ELNS0_8NormTypeE1ES7_Li1ELi1ELi0EEEJPfiEEEvT_T0_DpT1_.numbered_sgpr, 14
	.set _ZN2at6native12_GLOBAL__N_125multi_tensor_apply_kernelINS1_18TensorListMetadataILi1EEENS0_13LpNormFunctorIN3c108BFloat16ELNS0_8NormTypeE1ES7_Li1ELi1ELi0EEEJPfiEEEvT_T0_DpT1_.num_named_barrier, 0
	.set _ZN2at6native12_GLOBAL__N_125multi_tensor_apply_kernelINS1_18TensorListMetadataILi1EEENS0_13LpNormFunctorIN3c108BFloat16ELNS0_8NormTypeE1ES7_Li1ELi1ELi0EEEJPfiEEEvT_T0_DpT1_.private_seg_size, 0
	.set _ZN2at6native12_GLOBAL__N_125multi_tensor_apply_kernelINS1_18TensorListMetadataILi1EEENS0_13LpNormFunctorIN3c108BFloat16ELNS0_8NormTypeE1ES7_Li1ELi1ELi0EEEJPfiEEEvT_T0_DpT1_.uses_vcc, 1
	.set _ZN2at6native12_GLOBAL__N_125multi_tensor_apply_kernelINS1_18TensorListMetadataILi1EEENS0_13LpNormFunctorIN3c108BFloat16ELNS0_8NormTypeE1ES7_Li1ELi1ELi0EEEJPfiEEEvT_T0_DpT1_.uses_flat_scratch, 0
	.set _ZN2at6native12_GLOBAL__N_125multi_tensor_apply_kernelINS1_18TensorListMetadataILi1EEENS0_13LpNormFunctorIN3c108BFloat16ELNS0_8NormTypeE1ES7_Li1ELi1ELi0EEEJPfiEEEvT_T0_DpT1_.has_dyn_sized_stack, 0
	.set _ZN2at6native12_GLOBAL__N_125multi_tensor_apply_kernelINS1_18TensorListMetadataILi1EEENS0_13LpNormFunctorIN3c108BFloat16ELNS0_8NormTypeE1ES7_Li1ELi1ELi0EEEJPfiEEEvT_T0_DpT1_.has_recursion, 0
	.set _ZN2at6native12_GLOBAL__N_125multi_tensor_apply_kernelINS1_18TensorListMetadataILi1EEENS0_13LpNormFunctorIN3c108BFloat16ELNS0_8NormTypeE1ES7_Li1ELi1ELi0EEEJPfiEEEvT_T0_DpT1_.has_indirect_call, 0
	.section	.AMDGPU.csdata,"",@progbits
; Kernel info:
; codeLenInByte = 1476
; TotalNumSgprs: 16
; NumVgprs: 19
; ScratchSize: 0
; MemoryBound: 0
; FloatMode: 240
; IeeeMode: 1
; LDSByteSize: 2048 bytes/workgroup (compile time only)
; SGPRBlocks: 0
; VGPRBlocks: 1
; NumSGPRsForWavesPerEU: 16
; NumVGPRsForWavesPerEU: 19
; NamedBarCnt: 0
; Occupancy: 16
; WaveLimiterHint : 0
; COMPUTE_PGM_RSRC2:SCRATCH_EN: 0
; COMPUTE_PGM_RSRC2:USER_SGPR: 2
; COMPUTE_PGM_RSRC2:TRAP_HANDLER: 0
; COMPUTE_PGM_RSRC2:TGID_X_EN: 1
; COMPUTE_PGM_RSRC2:TGID_Y_EN: 0
; COMPUTE_PGM_RSRC2:TGID_Z_EN: 0
; COMPUTE_PGM_RSRC2:TIDIG_COMP_CNT: 0
	.section	.text._ZN2at6native12_GLOBAL__N_125multi_tensor_apply_kernelINS1_18TensorListMetadataILi1EEENS0_13LpNormFunctorIN3c108BFloat16ELNS0_8NormTypeE2ES7_Li1ELi1ELi0EEEJPfiEEEvT_T0_DpT1_,"axG",@progbits,_ZN2at6native12_GLOBAL__N_125multi_tensor_apply_kernelINS1_18TensorListMetadataILi1EEENS0_13LpNormFunctorIN3c108BFloat16ELNS0_8NormTypeE2ES7_Li1ELi1ELi0EEEJPfiEEEvT_T0_DpT1_,comdat
	.globl	_ZN2at6native12_GLOBAL__N_125multi_tensor_apply_kernelINS1_18TensorListMetadataILi1EEENS0_13LpNormFunctorIN3c108BFloat16ELNS0_8NormTypeE2ES7_Li1ELi1ELi0EEEJPfiEEEvT_T0_DpT1_ ; -- Begin function _ZN2at6native12_GLOBAL__N_125multi_tensor_apply_kernelINS1_18TensorListMetadataILi1EEENS0_13LpNormFunctorIN3c108BFloat16ELNS0_8NormTypeE2ES7_Li1ELi1ELi0EEEJPfiEEEvT_T0_DpT1_
	.p2align	8
	.type	_ZN2at6native12_GLOBAL__N_125multi_tensor_apply_kernelINS1_18TensorListMetadataILi1EEENS0_13LpNormFunctorIN3c108BFloat16ELNS0_8NormTypeE2ES7_Li1ELi1ELi0EEEJPfiEEEvT_T0_DpT1_,@function
_ZN2at6native12_GLOBAL__N_125multi_tensor_apply_kernelINS1_18TensorListMetadataILi1EEENS0_13LpNormFunctorIN3c108BFloat16ELNS0_8NormTypeE2ES7_Li1ELi1ELi0EEEJPfiEEEvT_T0_DpT1_: ; @_ZN2at6native12_GLOBAL__N_125multi_tensor_apply_kernelINS1_18TensorListMetadataILi1EEENS0_13LpNormFunctorIN3c108BFloat16ELNS0_8NormTypeE2ES7_Li1ELi1ELi0EEEJPfiEEEvT_T0_DpT1_
; %bb.0:
	s_bfe_u32 s2, ttmp6, 0x4000c
	s_and_b32 s3, ttmp6, 15
	s_add_co_i32 s2, s2, 1
	s_getreg_b32 s4, hwreg(HW_REG_IB_STS2, 6, 4)
	s_mul_i32 s2, ttmp9, s2
	s_delay_alu instid0(SALU_CYCLE_1)
	s_add_co_i32 s3, s3, s2
	s_cmp_eq_u32 s4, 0
	s_cselect_b32 s2, ttmp9, s3
	s_mov_b32 s3, 0
	v_mov_b32_e32 v1, s2
	s_add_nc_u64 s[4:5], s[0:1], s[2:3]
	s_mul_u64 s[6:7], s[2:3], 3
	s_delay_alu instid0(SALU_CYCLE_1) | instskip(SKIP_4) | instid1(SALU_CYCLE_1)
	s_add_nc_u64 s[4:5], s[4:5], s[6:7]
	global_load_u8 v15, v1, s[0:1] offset:1760
	s_load_b32 s4, s[4:5], 0x820
	s_wait_kmcnt 0x0
	s_ashr_i32 s5, s4, 31
	s_lshl_b64 s[10:11], s[4:5], 17
	s_lshl_b64 s[12:13], s[4:5], 16
	s_wait_loadcnt 0x0
	v_readfirstlane_b32 s2, v15
	s_and_b32 s2, s2, 0xff
	s_clause 0x1
	s_load_b64 s[6:7], s[0:1], s2 offset:0x0 scale_offset
	s_load_b64 s[8:9], s[0:1], s2 offset:0x370 scale_offset
	s_wait_kmcnt 0x0
	s_add_nc_u64 s[6:7], s[6:7], s[10:11]
	s_and_b32 s2, s8, 3
	s_and_b64 s[10:11], s[6:7], 7
	s_sub_nc_u64 s[8:9], s[8:9], s[12:13]
	s_or_b64 s[10:11], s[2:3], s[10:11]
	s_delay_alu instid0(SALU_CYCLE_1)
	s_cmp_eq_u64 s[10:11], 0
	s_cbranch_scc1 .LBB142_12
; %bb.1:
	v_cmp_lt_i64_e64 s2, s[8:9], 1
	s_and_b32 vcc_lo, exec_lo, s2
	s_cbranch_vccnz .LBB142_28
; %bb.2:
	s_load_b32 s2, s[0:1], 0xd4c
	v_min_i64 v[10:11], 0x10000, s[8:9]
	s_mov_b32 s11, 0
	s_mov_b64 s[12:13], 0
	s_wait_kmcnt 0x0
	s_and_b32 s2, s2, 0xffff
	s_delay_alu instid0(SALU_CYCLE_1) | instskip(SKIP_3) | instid1(VALU_DEP_3)
	v_dual_mov_b32 v7, 0 :: v_dual_add_nc_u32 v16, s2, v0
	v_mad_u32 v12, s2, 3, v0
	v_lshl_add_u32 v14, s2, 1, v0
	s_lshl_b32 s10, s2, 2
	v_dual_mov_b32 v6, v7 :: v_dual_mov_b32 v8, v7
	v_mov_b32_e32 v9, v7
	s_delay_alu instid0(VALU_DEP_2) | instskip(NEXT) | instid1(VALU_DEP_2)
	v_mov_b64_e32 v[2:3], v[6:7]
	v_mov_b64_e32 v[4:5], v[8:9]
	s_branch .LBB142_4
.LBB142_3:                              ;   in Loop: Header=BB142_4 Depth=1
	s_or_b32 exec_lo, exec_lo, s2
	s_add_nc_u64 s[12:13], s[12:13], s[10:11]
	s_delay_alu instid0(SALU_CYCLE_1)
	v_cmp_lt_i64_e32 vcc_lo, s[12:13], v[10:11]
	s_cbranch_vccz .LBB142_13
.LBB142_4:                              ; =>This Inner Loop Header: Depth=1
	v_add_nc_u32_e32 v6, s12, v0
	s_delay_alu instid0(VALU_DEP_1) | instskip(SKIP_2) | instid1(SALU_CYCLE_1)
	v_cmp_gt_i64_e32 vcc_lo, s[8:9], v[6:7]
	v_cmp_gt_u32_e64 s2, 0x10000, v6
	s_and_b32 s5, s2, vcc_lo
	s_and_saveexec_b32 s2, s5
	s_cbranch_execz .LBB142_6
; %bb.5:                                ;   in Loop: Header=BB142_4 Depth=1
	v_lshl_add_u64 v[8:9], v[6:7], 1, s[6:7]
	global_load_u16 v1, v[8:9], off
	s_wait_loadcnt 0x0
	v_fma_mix_f32_bf16 v2, v1, v1, v2 op_sel_hi:[1,1,0]
.LBB142_6:                              ;   in Loop: Header=BB142_4 Depth=1
	s_or_b32 exec_lo, exec_lo, s2
	v_add_nc_u32_e32 v6, s12, v16
	s_delay_alu instid0(VALU_DEP_1) | instskip(SKIP_2) | instid1(SALU_CYCLE_1)
	v_cmp_gt_i64_e32 vcc_lo, s[8:9], v[6:7]
	v_cmp_gt_u32_e64 s2, 0x10000, v6
	s_and_b32 s5, s2, vcc_lo
	s_and_saveexec_b32 s2, s5
	s_cbranch_execz .LBB142_8
; %bb.7:                                ;   in Loop: Header=BB142_4 Depth=1
	v_lshl_add_u64 v[8:9], v[6:7], 1, s[6:7]
	global_load_u16 v1, v[8:9], off
	s_wait_loadcnt 0x0
	v_fma_mix_f32_bf16 v3, v1, v1, v3 op_sel_hi:[1,1,0]
.LBB142_8:                              ;   in Loop: Header=BB142_4 Depth=1
	s_or_b32 exec_lo, exec_lo, s2
	v_add_nc_u32_e32 v6, s12, v14
	s_delay_alu instid0(VALU_DEP_1) | instskip(SKIP_2) | instid1(SALU_CYCLE_1)
	v_cmp_gt_i64_e32 vcc_lo, s[8:9], v[6:7]
	v_cmp_gt_u32_e64 s2, 0x10000, v6
	s_and_b32 s5, s2, vcc_lo
	s_and_saveexec_b32 s2, s5
	s_cbranch_execz .LBB142_10
; %bb.9:                                ;   in Loop: Header=BB142_4 Depth=1
	v_lshl_add_u64 v[8:9], v[6:7], 1, s[6:7]
	global_load_u16 v1, v[8:9], off
	s_wait_loadcnt 0x0
	v_fma_mix_f32_bf16 v4, v1, v1, v4 op_sel_hi:[1,1,0]
.LBB142_10:                             ;   in Loop: Header=BB142_4 Depth=1
	s_or_b32 exec_lo, exec_lo, s2
	v_add_nc_u32_e32 v6, s12, v12
	s_delay_alu instid0(VALU_DEP_1) | instskip(SKIP_2) | instid1(SALU_CYCLE_1)
	v_cmp_gt_i64_e32 vcc_lo, s[8:9], v[6:7]
	v_cmp_gt_u32_e64 s2, 0x10000, v6
	s_and_b32 s5, s2, vcc_lo
	s_and_saveexec_b32 s2, s5
	s_cbranch_execz .LBB142_3
; %bb.11:                               ;   in Loop: Header=BB142_4 Depth=1
	v_lshl_add_u64 v[8:9], v[6:7], 1, s[6:7]
	global_load_u16 v1, v[8:9], off
	s_wait_loadcnt 0x0
	v_fma_mix_f32_bf16 v5, v1, v1, v5 op_sel_hi:[1,1,0]
	s_branch .LBB142_3
.LBB142_12:
	s_mov_b32 s3, -1
                                        ; implicit-def: $vgpr2_vgpr3_vgpr4_vgpr5
.LBB142_13:
	s_delay_alu instid0(SALU_CYCLE_1)
	s_and_not1_b32 vcc_lo, exec_lo, s3
	s_cbranch_vccnz .LBB142_19
.LBB142_14:
	v_min_i64 v[8:9], 0x10000, s[8:9]
	v_dual_mov_b32 v3, 0 :: v_dual_lshlrev_b32 v2, 2, v0
	s_mov_b32 s3, 0
	s_delay_alu instid0(VALU_DEP_1) | instskip(NEXT) | instid1(VALU_DEP_2)
	v_dual_mov_b32 v5, v3 :: v_dual_mov_b32 v4, v3
	v_cmp_lt_i64_e32 vcc_lo, v[2:3], v[8:9]
	v_mov_b32_e32 v2, v3
	s_and_saveexec_b32 s5, vcc_lo
	s_cbranch_execz .LBB142_18
; %bb.15:
	s_load_b32 s2, s[0:1], 0xd4c
	v_dual_mov_b32 v1, v3 :: v_dual_lshlrev_b32 v2, 3, v0
	v_dual_mov_b32 v5, 0 :: v_dual_mov_b32 v6, 0
	v_mov_b32_e32 v7, 0
	s_delay_alu instid0(VALU_DEP_3) | instskip(NEXT) | instid1(VALU_DEP_4)
	v_add_nc_u64_e32 v[10:11], s[6:7], v[2:3]
	v_mov_b64_e32 v[12:13], v[0:1]
	s_mov_b32 s7, s3
	s_mov_b32 s8, s3
	s_wait_kmcnt 0x0
	s_and_b32 s2, s2, 0xffff
	s_delay_alu instid0(SALU_CYCLE_1)
	s_lshl_b32 s6, s2, 3
.LBB142_16:                             ; =>This Inner Loop Header: Depth=1
	global_load_b64 v[16:17], v[10:11], off
	v_add_nc_u64_e32 v[12:13], s[2:3], v[12:13]
	s_wait_xcnt 0x0
	v_add_nc_u64_e32 v[10:11], s[6:7], v[10:11]
	s_delay_alu instid0(VALU_DEP_2) | instskip(NEXT) | instid1(VALU_DEP_1)
	v_lshlrev_b64_e32 v[18:19], 2, v[12:13]
	v_cmp_ge_i64_e32 vcc_lo, v[18:19], v[8:9]
	s_or_b32 s8, vcc_lo, s8
	s_wait_loadcnt 0x0
	v_alignbit_b32 v1, v17, v16, 16
	v_fma_mix_f32_bf16 v3, v16, v16, v3 op_sel_hi:[1,1,0]
	v_fma_mix_f32_bf16 v5, v16, v16, v5 op_sel:[1,1,0] op_sel_hi:[1,1,0]
	v_fma_mix_f32_bf16 v7, v17, v17, v7 op_sel:[1,1,0] op_sel_hi:[1,1,0]
	s_delay_alu instid0(VALU_DEP_4)
	v_fma_mix_f32_bf16 v6, v1, v1, v6 op_sel:[1,1,0] op_sel_hi:[1,1,0]
	s_and_not1_b32 exec_lo, exec_lo, s8
	s_cbranch_execnz .LBB142_16
; %bb.17:
	s_or_b32 exec_lo, exec_lo, s8
	v_mov_b32_e32 v4, v3
	s_delay_alu instid0(VALU_DEP_1)
	v_mov_b64_e32 v[2:3], v[4:5]
	v_mov_b64_e32 v[4:5], v[6:7]
.LBB142_18:
	s_or_b32 exec_lo, exec_lo, s5
.LBB142_19:
	s_delay_alu instid0(VALU_DEP_1) | instskip(SKIP_3) | instid1(VALU_DEP_2)
	v_add_f32_e32 v1, 0, v2
	v_mbcnt_lo_u32_b32 v6, -1, 0
	s_mov_b32 s2, exec_lo
	s_barrier_signal -1
	v_add_f32_e32 v1, v3, v1
	s_delay_alu instid0(VALU_DEP_2) | instskip(SKIP_1) | instid1(VALU_DEP_2)
	v_cmp_gt_u32_e32 vcc_lo, 24, v6
	s_barrier_wait -1
	v_add_f32_e32 v2, v4, v1
	v_lshl_or_b32 v1, v6, 2, 64
	s_delay_alu instid0(VALU_DEP_2)
	v_add_f32_e32 v3, v5, v2
	v_cndmask_b32_e64 v2, 0, 8, vcc_lo
	v_cmp_gt_u32_e32 vcc_lo, 28, v6
	ds_bpermute_b32 v4, v1, v3
	v_add_lshl_u32 v2, v2, v6, 2
	s_wait_dscnt 0x0
	v_add_f32_e32 v4, v3, v4
	v_cndmask_b32_e64 v3, 0, 4, vcc_lo
	v_cmp_gt_u32_e32 vcc_lo, 30, v6
	ds_bpermute_b32 v5, v2, v4
	v_add_lshl_u32 v3, v3, v6, 2
	s_wait_dscnt 0x0
	v_add_f32_e32 v5, v4, v5
	v_cndmask_b32_e64 v4, 0, 2, vcc_lo
	v_cmp_ne_u32_e32 vcc_lo, 31, v6
	ds_bpermute_b32 v7, v3, v5
	v_add_lshl_u32 v4, v4, v6, 2
	v_add_co_ci_u32_e64 v8, null, 0, v6, vcc_lo
	s_wait_dscnt 0x0
	v_add_f32_e32 v5, v5, v7
	ds_bpermute_b32 v7, v4, v5
	s_wait_dscnt 0x0
	v_dual_add_f32 v6, v5, v7 :: v_dual_lshlrev_b32 v5, 2, v8
	v_and_b32_e32 v7, 31, v0
	ds_bpermute_b32 v8, v5, v6
	v_cmpx_eq_u32_e32 0, v7
	s_cbranch_execz .LBB142_21
; %bb.20:
	v_lshrrev_b32_e32 v9, 3, v0
	s_wait_dscnt 0x0
	v_add_f32_e32 v6, v6, v8
	ds_store_b32 v9, v6
.LBB142_21:
	s_or_b32 exec_lo, exec_lo, s2
	s_wait_dscnt 0x0
	s_barrier_signal -1
	s_barrier_wait -1
	s_load_b32 s2, s[0:1], 0xd4c
	v_mov_b32_e32 v6, 0
	s_wait_kmcnt 0x0
	s_bfe_u32 s2, s2, 0xb0005
	s_delay_alu instid0(SALU_CYCLE_1)
	v_cmp_gt_u32_e32 vcc_lo, s2, v0
	s_and_saveexec_b32 s2, vcc_lo
; %bb.22:
	v_lshlrev_b32_e32 v6, 2, v7
	ds_load_b32 v6, v6
; %bb.23:
	s_or_b32 exec_lo, exec_lo, s2
	s_delay_alu instid0(SALU_CYCLE_1)
	s_mov_b32 s2, exec_lo
	v_cmpx_gt_u32_e32 32, v0
	s_cbranch_execz .LBB142_25
; %bb.24:
	s_wait_dscnt 0x0
	ds_bpermute_b32 v1, v1, v6
	s_wait_dscnt 0x0
	v_add_f32_e32 v1, v6, v1
	ds_bpermute_b32 v2, v2, v1
	s_wait_dscnt 0x0
	v_add_f32_e32 v1, v1, v2
	;; [unrolled: 3-line block ×5, first 2 shown]
.LBB142_25:
	s_or_b32 exec_lo, exec_lo, s2
	s_delay_alu instid0(SALU_CYCLE_1)
	s_mov_b32 s2, exec_lo
	v_cmpx_eq_u32_e32 0, v0
	s_cbranch_execz .LBB142_27
; %bb.26:
	s_clause 0x1
	s_load_b32 s2, s[0:1], 0xd20
	s_load_b96 s[8:10], s[0:1], 0xd30
	v_and_b32_e32 v0, 0xff, v15
	s_wait_kmcnt 0x0
	s_delay_alu instid0(VALU_DEP_1) | instskip(NEXT) | instid1(VALU_DEP_1)
	v_add_nc_u32_e32 v0, s2, v0
	v_mul_lo_u32 v0, v0, s10
	s_delay_alu instid0(VALU_DEP_1)
	v_add_nc_u32_e32 v0, s4, v0
	s_wait_dscnt 0x0
	global_store_b32 v0, v6, s[8:9] scale_offset
.LBB142_27:
	s_endpgm
.LBB142_28:
	v_mov_b32_e32 v2, 0
	s_delay_alu instid0(VALU_DEP_1)
	v_dual_mov_b32 v3, v2 :: v_dual_mov_b32 v4, v2
	v_mov_b32_e32 v5, v2
	s_and_not1_b32 vcc_lo, exec_lo, s3
	s_cbranch_vccz .LBB142_14
	s_branch .LBB142_19
	.section	.rodata,"a",@progbits
	.p2align	6, 0x0
	.amdhsa_kernel _ZN2at6native12_GLOBAL__N_125multi_tensor_apply_kernelINS1_18TensorListMetadataILi1EEENS0_13LpNormFunctorIN3c108BFloat16ELNS0_8NormTypeE2ES7_Li1ELi1ELi0EEEJPfiEEEvT_T0_DpT1_
		.amdhsa_group_segment_fixed_size 2048
		.amdhsa_private_segment_fixed_size 0
		.amdhsa_kernarg_size 3648
		.amdhsa_user_sgpr_count 2
		.amdhsa_user_sgpr_dispatch_ptr 0
		.amdhsa_user_sgpr_queue_ptr 0
		.amdhsa_user_sgpr_kernarg_segment_ptr 1
		.amdhsa_user_sgpr_dispatch_id 0
		.amdhsa_user_sgpr_kernarg_preload_length 0
		.amdhsa_user_sgpr_kernarg_preload_offset 0
		.amdhsa_user_sgpr_private_segment_size 0
		.amdhsa_wavefront_size32 1
		.amdhsa_uses_dynamic_stack 0
		.amdhsa_enable_private_segment 0
		.amdhsa_system_sgpr_workgroup_id_x 1
		.amdhsa_system_sgpr_workgroup_id_y 0
		.amdhsa_system_sgpr_workgroup_id_z 0
		.amdhsa_system_sgpr_workgroup_info 0
		.amdhsa_system_vgpr_workitem_id 0
		.amdhsa_next_free_vgpr 20
		.amdhsa_next_free_sgpr 14
		.amdhsa_named_barrier_count 0
		.amdhsa_reserve_vcc 1
		.amdhsa_float_round_mode_32 0
		.amdhsa_float_round_mode_16_64 0
		.amdhsa_float_denorm_mode_32 3
		.amdhsa_float_denorm_mode_16_64 3
		.amdhsa_fp16_overflow 0
		.amdhsa_memory_ordered 1
		.amdhsa_forward_progress 1
		.amdhsa_inst_pref_size 11
		.amdhsa_round_robin_scheduling 0
		.amdhsa_exception_fp_ieee_invalid_op 0
		.amdhsa_exception_fp_denorm_src 0
		.amdhsa_exception_fp_ieee_div_zero 0
		.amdhsa_exception_fp_ieee_overflow 0
		.amdhsa_exception_fp_ieee_underflow 0
		.amdhsa_exception_fp_ieee_inexact 0
		.amdhsa_exception_int_div_zero 0
	.end_amdhsa_kernel
	.section	.text._ZN2at6native12_GLOBAL__N_125multi_tensor_apply_kernelINS1_18TensorListMetadataILi1EEENS0_13LpNormFunctorIN3c108BFloat16ELNS0_8NormTypeE2ES7_Li1ELi1ELi0EEEJPfiEEEvT_T0_DpT1_,"axG",@progbits,_ZN2at6native12_GLOBAL__N_125multi_tensor_apply_kernelINS1_18TensorListMetadataILi1EEENS0_13LpNormFunctorIN3c108BFloat16ELNS0_8NormTypeE2ES7_Li1ELi1ELi0EEEJPfiEEEvT_T0_DpT1_,comdat
.Lfunc_end142:
	.size	_ZN2at6native12_GLOBAL__N_125multi_tensor_apply_kernelINS1_18TensorListMetadataILi1EEENS0_13LpNormFunctorIN3c108BFloat16ELNS0_8NormTypeE2ES7_Li1ELi1ELi0EEEJPfiEEEvT_T0_DpT1_, .Lfunc_end142-_ZN2at6native12_GLOBAL__N_125multi_tensor_apply_kernelINS1_18TensorListMetadataILi1EEENS0_13LpNormFunctorIN3c108BFloat16ELNS0_8NormTypeE2ES7_Li1ELi1ELi0EEEJPfiEEEvT_T0_DpT1_
                                        ; -- End function
	.set _ZN2at6native12_GLOBAL__N_125multi_tensor_apply_kernelINS1_18TensorListMetadataILi1EEENS0_13LpNormFunctorIN3c108BFloat16ELNS0_8NormTypeE2ES7_Li1ELi1ELi0EEEJPfiEEEvT_T0_DpT1_.num_vgpr, 20
	.set _ZN2at6native12_GLOBAL__N_125multi_tensor_apply_kernelINS1_18TensorListMetadataILi1EEENS0_13LpNormFunctorIN3c108BFloat16ELNS0_8NormTypeE2ES7_Li1ELi1ELi0EEEJPfiEEEvT_T0_DpT1_.num_agpr, 0
	.set _ZN2at6native12_GLOBAL__N_125multi_tensor_apply_kernelINS1_18TensorListMetadataILi1EEENS0_13LpNormFunctorIN3c108BFloat16ELNS0_8NormTypeE2ES7_Li1ELi1ELi0EEEJPfiEEEvT_T0_DpT1_.numbered_sgpr, 14
	.set _ZN2at6native12_GLOBAL__N_125multi_tensor_apply_kernelINS1_18TensorListMetadataILi1EEENS0_13LpNormFunctorIN3c108BFloat16ELNS0_8NormTypeE2ES7_Li1ELi1ELi0EEEJPfiEEEvT_T0_DpT1_.num_named_barrier, 0
	.set _ZN2at6native12_GLOBAL__N_125multi_tensor_apply_kernelINS1_18TensorListMetadataILi1EEENS0_13LpNormFunctorIN3c108BFloat16ELNS0_8NormTypeE2ES7_Li1ELi1ELi0EEEJPfiEEEvT_T0_DpT1_.private_seg_size, 0
	.set _ZN2at6native12_GLOBAL__N_125multi_tensor_apply_kernelINS1_18TensorListMetadataILi1EEENS0_13LpNormFunctorIN3c108BFloat16ELNS0_8NormTypeE2ES7_Li1ELi1ELi0EEEJPfiEEEvT_T0_DpT1_.uses_vcc, 1
	.set _ZN2at6native12_GLOBAL__N_125multi_tensor_apply_kernelINS1_18TensorListMetadataILi1EEENS0_13LpNormFunctorIN3c108BFloat16ELNS0_8NormTypeE2ES7_Li1ELi1ELi0EEEJPfiEEEvT_T0_DpT1_.uses_flat_scratch, 0
	.set _ZN2at6native12_GLOBAL__N_125multi_tensor_apply_kernelINS1_18TensorListMetadataILi1EEENS0_13LpNormFunctorIN3c108BFloat16ELNS0_8NormTypeE2ES7_Li1ELi1ELi0EEEJPfiEEEvT_T0_DpT1_.has_dyn_sized_stack, 0
	.set _ZN2at6native12_GLOBAL__N_125multi_tensor_apply_kernelINS1_18TensorListMetadataILi1EEENS0_13LpNormFunctorIN3c108BFloat16ELNS0_8NormTypeE2ES7_Li1ELi1ELi0EEEJPfiEEEvT_T0_DpT1_.has_recursion, 0
	.set _ZN2at6native12_GLOBAL__N_125multi_tensor_apply_kernelINS1_18TensorListMetadataILi1EEENS0_13LpNormFunctorIN3c108BFloat16ELNS0_8NormTypeE2ES7_Li1ELi1ELi0EEEJPfiEEEvT_T0_DpT1_.has_indirect_call, 0
	.section	.AMDGPU.csdata,"",@progbits
; Kernel info:
; codeLenInByte = 1388
; TotalNumSgprs: 16
; NumVgprs: 20
; ScratchSize: 0
; MemoryBound: 0
; FloatMode: 240
; IeeeMode: 1
; LDSByteSize: 2048 bytes/workgroup (compile time only)
; SGPRBlocks: 0
; VGPRBlocks: 1
; NumSGPRsForWavesPerEU: 16
; NumVGPRsForWavesPerEU: 20
; NamedBarCnt: 0
; Occupancy: 16
; WaveLimiterHint : 0
; COMPUTE_PGM_RSRC2:SCRATCH_EN: 0
; COMPUTE_PGM_RSRC2:USER_SGPR: 2
; COMPUTE_PGM_RSRC2:TRAP_HANDLER: 0
; COMPUTE_PGM_RSRC2:TGID_X_EN: 1
; COMPUTE_PGM_RSRC2:TGID_Y_EN: 0
; COMPUTE_PGM_RSRC2:TGID_Z_EN: 0
; COMPUTE_PGM_RSRC2:TIDIG_COMP_CNT: 0
	.section	.text._ZN2at6native12_GLOBAL__N_125multi_tensor_apply_kernelINS1_18TensorListMetadataILi1EEENS0_13LpNormFunctorIN3c108BFloat16ELNS0_8NormTypeE3ES7_Li1ELi1ELi0EEEJPfiEEEvT_T0_DpT1_,"axG",@progbits,_ZN2at6native12_GLOBAL__N_125multi_tensor_apply_kernelINS1_18TensorListMetadataILi1EEENS0_13LpNormFunctorIN3c108BFloat16ELNS0_8NormTypeE3ES7_Li1ELi1ELi0EEEJPfiEEEvT_T0_DpT1_,comdat
	.globl	_ZN2at6native12_GLOBAL__N_125multi_tensor_apply_kernelINS1_18TensorListMetadataILi1EEENS0_13LpNormFunctorIN3c108BFloat16ELNS0_8NormTypeE3ES7_Li1ELi1ELi0EEEJPfiEEEvT_T0_DpT1_ ; -- Begin function _ZN2at6native12_GLOBAL__N_125multi_tensor_apply_kernelINS1_18TensorListMetadataILi1EEENS0_13LpNormFunctorIN3c108BFloat16ELNS0_8NormTypeE3ES7_Li1ELi1ELi0EEEJPfiEEEvT_T0_DpT1_
	.p2align	8
	.type	_ZN2at6native12_GLOBAL__N_125multi_tensor_apply_kernelINS1_18TensorListMetadataILi1EEENS0_13LpNormFunctorIN3c108BFloat16ELNS0_8NormTypeE3ES7_Li1ELi1ELi0EEEJPfiEEEvT_T0_DpT1_,@function
_ZN2at6native12_GLOBAL__N_125multi_tensor_apply_kernelINS1_18TensorListMetadataILi1EEENS0_13LpNormFunctorIN3c108BFloat16ELNS0_8NormTypeE3ES7_Li1ELi1ELi0EEEJPfiEEEvT_T0_DpT1_: ; @_ZN2at6native12_GLOBAL__N_125multi_tensor_apply_kernelINS1_18TensorListMetadataILi1EEENS0_13LpNormFunctorIN3c108BFloat16ELNS0_8NormTypeE3ES7_Li1ELi1ELi0EEEJPfiEEEvT_T0_DpT1_
; %bb.0:
	s_bfe_u32 s2, ttmp6, 0x4000c
	s_and_b32 s3, ttmp6, 15
	s_add_co_i32 s2, s2, 1
	s_getreg_b32 s4, hwreg(HW_REG_IB_STS2, 6, 4)
	s_mul_i32 s2, ttmp9, s2
	s_delay_alu instid0(SALU_CYCLE_1)
	s_add_co_i32 s3, s3, s2
	s_cmp_eq_u32 s4, 0
	s_cselect_b32 s2, ttmp9, s3
	s_mov_b32 s3, 0
	v_mov_b32_e32 v1, s2
	s_add_nc_u64 s[4:5], s[0:1], s[2:3]
	s_mul_u64 s[6:7], s[2:3], 3
	s_delay_alu instid0(SALU_CYCLE_1) | instskip(SKIP_4) | instid1(SALU_CYCLE_1)
	s_add_nc_u64 s[4:5], s[4:5], s[6:7]
	global_load_u8 v15, v1, s[0:1] offset:1760
	s_load_b32 s6, s[4:5], 0x820
	s_wait_kmcnt 0x0
	s_ashr_i32 s7, s6, 31
	s_lshl_b64 s[10:11], s[6:7], 17
	s_lshl_b64 s[12:13], s[6:7], 16
	s_wait_loadcnt 0x0
	v_readfirstlane_b32 s2, v15
	s_and_b32 s2, s2, 0xff
	s_clause 0x1
	s_load_b64 s[4:5], s[0:1], s2 offset:0x0 scale_offset
	s_load_b64 s[8:9], s[0:1], s2 offset:0x370 scale_offset
	s_wait_kmcnt 0x0
	s_add_nc_u64 s[4:5], s[4:5], s[10:11]
	s_and_b32 s2, s8, 3
	s_and_b64 s[10:11], s[4:5], 7
	s_sub_nc_u64 s[8:9], s[8:9], s[12:13]
	s_or_b64 s[10:11], s[2:3], s[10:11]
	s_delay_alu instid0(SALU_CYCLE_1)
	s_cmp_eq_u64 s[10:11], 0
	s_cbranch_scc1 .LBB143_12
; %bb.1:
	v_cmp_lt_i64_e64 s2, s[8:9], 1
	s_and_b32 vcc_lo, exec_lo, s2
	s_cbranch_vccnz .LBB143_28
; %bb.2:
	s_load_b32 s2, s[0:1], 0xd4c
	v_min_i64 v[10:11], 0x10000, s[8:9]
	s_mov_b32 s11, 0
	s_mov_b64 s[12:13], 0
	s_wait_kmcnt 0x0
	s_and_b32 s2, s2, 0xffff
	s_delay_alu instid0(SALU_CYCLE_1) | instskip(SKIP_3) | instid1(VALU_DEP_3)
	v_dual_mov_b32 v7, 0 :: v_dual_add_nc_u32 v16, s2, v0
	v_mad_u32 v12, s2, 3, v0
	v_lshl_add_u32 v14, s2, 1, v0
	s_lshl_b32 s10, s2, 2
	v_dual_mov_b32 v6, v7 :: v_dual_mov_b32 v8, v7
	v_mov_b32_e32 v9, v7
	s_delay_alu instid0(VALU_DEP_2) | instskip(NEXT) | instid1(VALU_DEP_2)
	v_mov_b64_e32 v[2:3], v[6:7]
	v_mov_b64_e32 v[4:5], v[8:9]
	s_branch .LBB143_4
.LBB143_3:                              ;   in Loop: Header=BB143_4 Depth=1
	s_or_b32 exec_lo, exec_lo, s2
	s_add_nc_u64 s[12:13], s[12:13], s[10:11]
	s_delay_alu instid0(SALU_CYCLE_1)
	v_cmp_lt_i64_e32 vcc_lo, s[12:13], v[10:11]
	s_cbranch_vccz .LBB143_13
.LBB143_4:                              ; =>This Inner Loop Header: Depth=1
	v_add_nc_u32_e32 v6, s12, v0
	s_delay_alu instid0(VALU_DEP_1) | instskip(SKIP_2) | instid1(SALU_CYCLE_1)
	v_cmp_gt_i64_e32 vcc_lo, s[8:9], v[6:7]
	v_cmp_gt_u32_e64 s2, 0x10000, v6
	s_and_b32 s7, s2, vcc_lo
	s_and_saveexec_b32 s2, s7
	s_cbranch_execz .LBB143_6
; %bb.5:                                ;   in Loop: Header=BB143_4 Depth=1
	v_lshl_add_u64 v[8:9], v[6:7], 1, s[4:5]
	global_load_u16 v1, v[8:9], off
	s_wait_loadcnt 0x0
	v_lshlrev_b32_e32 v1, 16, v1
	s_delay_alu instid0(VALU_DEP_1) | instskip(SKIP_2) | instid1(SALU_CYCLE_1)
	v_cmp_u_f32_e32 vcc_lo, v1, v1
	v_cmp_lt_f32_e64 s7, v2, |v1|
	s_or_b32 s7, vcc_lo, s7
	v_cndmask_b32_e64 v2, v2, |v1|, s7
.LBB143_6:                              ;   in Loop: Header=BB143_4 Depth=1
	s_or_b32 exec_lo, exec_lo, s2
	v_add_nc_u32_e32 v6, s12, v16
	s_delay_alu instid0(VALU_DEP_1) | instskip(SKIP_2) | instid1(SALU_CYCLE_1)
	v_cmp_gt_i64_e32 vcc_lo, s[8:9], v[6:7]
	v_cmp_gt_u32_e64 s2, 0x10000, v6
	s_and_b32 s7, s2, vcc_lo
	s_and_saveexec_b32 s2, s7
	s_cbranch_execz .LBB143_8
; %bb.7:                                ;   in Loop: Header=BB143_4 Depth=1
	v_lshl_add_u64 v[8:9], v[6:7], 1, s[4:5]
	global_load_u16 v1, v[8:9], off
	s_wait_loadcnt 0x0
	v_lshlrev_b32_e32 v1, 16, v1
	s_delay_alu instid0(VALU_DEP_1) | instskip(SKIP_2) | instid1(SALU_CYCLE_1)
	v_cmp_u_f32_e32 vcc_lo, v1, v1
	v_cmp_lt_f32_e64 s7, v3, |v1|
	s_or_b32 s7, vcc_lo, s7
	v_cndmask_b32_e64 v3, v3, |v1|, s7
.LBB143_8:                              ;   in Loop: Header=BB143_4 Depth=1
	s_or_b32 exec_lo, exec_lo, s2
	v_add_nc_u32_e32 v6, s12, v14
	s_delay_alu instid0(VALU_DEP_1) | instskip(SKIP_2) | instid1(SALU_CYCLE_1)
	v_cmp_gt_i64_e32 vcc_lo, s[8:9], v[6:7]
	v_cmp_gt_u32_e64 s2, 0x10000, v6
	s_and_b32 s7, s2, vcc_lo
	s_and_saveexec_b32 s2, s7
	s_cbranch_execz .LBB143_10
; %bb.9:                                ;   in Loop: Header=BB143_4 Depth=1
	v_lshl_add_u64 v[8:9], v[6:7], 1, s[4:5]
	global_load_u16 v1, v[8:9], off
	s_wait_loadcnt 0x0
	v_lshlrev_b32_e32 v1, 16, v1
	s_delay_alu instid0(VALU_DEP_1) | instskip(SKIP_2) | instid1(SALU_CYCLE_1)
	v_cmp_u_f32_e32 vcc_lo, v1, v1
	v_cmp_lt_f32_e64 s7, v4, |v1|
	s_or_b32 s7, vcc_lo, s7
	v_cndmask_b32_e64 v4, v4, |v1|, s7
.LBB143_10:                             ;   in Loop: Header=BB143_4 Depth=1
	s_or_b32 exec_lo, exec_lo, s2
	v_add_nc_u32_e32 v6, s12, v12
	s_delay_alu instid0(VALU_DEP_1) | instskip(SKIP_2) | instid1(SALU_CYCLE_1)
	v_cmp_gt_i64_e32 vcc_lo, s[8:9], v[6:7]
	v_cmp_gt_u32_e64 s2, 0x10000, v6
	s_and_b32 s7, s2, vcc_lo
	s_and_saveexec_b32 s2, s7
	s_cbranch_execz .LBB143_3
; %bb.11:                               ;   in Loop: Header=BB143_4 Depth=1
	v_lshl_add_u64 v[8:9], v[6:7], 1, s[4:5]
	global_load_u16 v1, v[8:9], off
	s_wait_loadcnt 0x0
	v_lshlrev_b32_e32 v1, 16, v1
	s_delay_alu instid0(VALU_DEP_1) | instskip(SKIP_2) | instid1(SALU_CYCLE_1)
	v_cmp_u_f32_e32 vcc_lo, v1, v1
	v_cmp_lt_f32_e64 s7, v5, |v1|
	s_or_b32 s7, vcc_lo, s7
	v_cndmask_b32_e64 v5, v5, |v1|, s7
	s_branch .LBB143_3
.LBB143_12:
	s_mov_b32 s3, -1
                                        ; implicit-def: $vgpr2_vgpr3_vgpr4_vgpr5
.LBB143_13:
	s_delay_alu instid0(SALU_CYCLE_1)
	s_and_not1_b32 vcc_lo, exec_lo, s3
	s_cbranch_vccnz .LBB143_19
.LBB143_14:
	v_min_i64 v[8:9], 0x10000, s[8:9]
	v_dual_mov_b32 v3, 0 :: v_dual_lshlrev_b32 v2, 2, v0
	s_mov_b32 s9, 0
	s_delay_alu instid0(VALU_DEP_1) | instskip(NEXT) | instid1(VALU_DEP_2)
	v_dual_mov_b32 v5, v3 :: v_dual_mov_b32 v4, v3
	v_cmp_lt_i64_e32 vcc_lo, v[2:3], v[8:9]
	v_mov_b32_e32 v2, v3
	s_and_saveexec_b32 s7, vcc_lo
	s_cbranch_execz .LBB143_18
; %bb.15:
	s_load_b32 s2, s[0:1], 0xd4c
	v_dual_mov_b32 v1, v3 :: v_dual_lshlrev_b32 v2, 3, v0
	v_dual_mov_b32 v5, 0 :: v_dual_mov_b32 v6, 0
	v_mov_b32_e32 v7, 0
	s_delay_alu instid0(VALU_DEP_3) | instskip(NEXT) | instid1(VALU_DEP_4)
	v_add_nc_u64_e32 v[10:11], s[4:5], v[2:3]
	v_mov_b64_e32 v[12:13], v[0:1]
	s_mov_b32 s11, s9
	s_mov_b32 s12, s9
	s_wait_kmcnt 0x0
	s_and_b32 s8, s2, 0xffff
	s_delay_alu instid0(SALU_CYCLE_1)
	s_lshl_b32 s10, s8, 3
.LBB143_16:                             ; =>This Inner Loop Header: Depth=1
	global_load_b64 v[16:17], v[10:11], off
	v_add_nc_u64_e32 v[12:13], s[8:9], v[12:13]
	s_wait_xcnt 0x0
	v_add_nc_u64_e32 v[10:11], s[10:11], v[10:11]
	s_delay_alu instid0(VALU_DEP_2) | instskip(NEXT) | instid1(VALU_DEP_1)
	v_lshlrev_b64_e32 v[18:19], 2, v[12:13]
	v_cmp_ge_i64_e32 vcc_lo, v[18:19], v[8:9]
	s_wait_loadcnt 0x0
	v_and_b32_e32 v2, 0xffff0000, v17
	v_alignbit_b32 v1, v17, v16, 16
	v_and_b32_e32 v4, 0xffff0000, v16
	v_lshlrev_b32_e32 v14, 16, v16
	s_delay_alu instid0(VALU_DEP_4)
	v_cmp_u_f32_e64 s2, v2, v2
	v_cmp_lt_f32_e64 s13, v7, |v2|
	v_and_b32_e32 v1, 0xffff0000, v1
	v_cmp_u_f32_e64 s3, v4, v4
	v_cmp_lt_f32_e64 s14, v5, |v4|
	v_cmp_u_f32_e64 s4, v14, v14
	v_cmp_lt_f32_e64 s15, v3, |v14|
	s_or_b32 s2, s2, s13
	v_cmp_u_f32_e64 s5, v1, v1
	v_cmp_lt_f32_e64 s16, v6, |v1|
	v_cndmask_b32_e64 v7, v7, |v2|, s2
	s_or_b32 s2, s3, s14
	s_delay_alu instid0(SALU_CYCLE_1) | instskip(SKIP_1) | instid1(SALU_CYCLE_1)
	v_cndmask_b32_e64 v5, v5, |v4|, s2
	s_or_b32 s2, s4, s15
	v_cndmask_b32_e64 v3, v3, |v14|, s2
	s_or_b32 s2, s5, s16
	s_or_b32 s12, vcc_lo, s12
	v_cndmask_b32_e64 v6, v6, |v1|, s2
	s_and_not1_b32 exec_lo, exec_lo, s12
	s_cbranch_execnz .LBB143_16
; %bb.17:
	s_or_b32 exec_lo, exec_lo, s12
	v_mov_b32_e32 v4, v3
	s_delay_alu instid0(VALU_DEP_1)
	v_mov_b64_e32 v[2:3], v[4:5]
	v_mov_b64_e32 v[4:5], v[6:7]
.LBB143_18:
	s_or_b32 exec_lo, exec_lo, s7
.LBB143_19:
	s_delay_alu instid0(VALU_DEP_1)
	v_cmp_nge_f32_e32 vcc_lo, 0, v2
	v_mbcnt_lo_u32_b32 v6, -1, 0
	s_barrier_signal -1
	s_barrier_wait -1
	v_cndmask_b32_e32 v1, 0, v2, vcc_lo
	v_cmp_u_f32_e32 vcc_lo, v3, v3
	v_cmp_ne_u32_e64 s3, 31, v6
	s_delay_alu instid0(VALU_DEP_3) | instskip(NEXT) | instid1(VALU_DEP_2)
	v_cmp_lt_f32_e64 s2, v1, v3
	v_add_co_ci_u32_e64 v8, null, 0, v6, s3
	s_mov_b32 s3, exec_lo
	s_or_b32 vcc_lo, vcc_lo, s2
	v_cndmask_b32_e32 v1, v1, v3, vcc_lo
	v_cmp_u_f32_e32 vcc_lo, v4, v4
	s_delay_alu instid0(VALU_DEP_2) | instskip(SKIP_4) | instid1(VALU_DEP_3)
	v_cmp_lt_f32_e64 s2, v1, v4
	s_or_b32 vcc_lo, vcc_lo, s2
	v_cndmask_b32_e32 v2, v1, v4, vcc_lo
	v_cmp_u_f32_e32 vcc_lo, v5, v5
	v_lshl_or_b32 v1, v6, 2, 64
	v_cmp_lt_f32_e64 s2, v2, v5
	s_or_b32 vcc_lo, vcc_lo, s2
	v_cndmask_b32_e32 v3, v2, v5, vcc_lo
	v_cmp_gt_u32_e32 vcc_lo, 24, v6
	ds_bpermute_b32 v4, v1, v3
	v_cndmask_b32_e64 v2, 0, 8, vcc_lo
	s_delay_alu instid0(VALU_DEP_1)
	v_add_lshl_u32 v2, v2, v6, 2
	s_wait_dscnt 0x0
	v_cmp_u_f32_e32 vcc_lo, v4, v4
	v_cmp_lt_f32_e64 s2, v3, v4
	s_or_b32 vcc_lo, vcc_lo, s2
	v_cndmask_b32_e32 v4, v3, v4, vcc_lo
	v_cmp_gt_u32_e32 vcc_lo, 28, v6
	ds_bpermute_b32 v5, v2, v4
	v_cndmask_b32_e64 v3, 0, 4, vcc_lo
	s_delay_alu instid0(VALU_DEP_1)
	v_add_lshl_u32 v3, v3, v6, 2
	s_wait_dscnt 0x0
	v_cmp_u_f32_e32 vcc_lo, v5, v5
	v_cmp_lt_f32_e64 s2, v4, v5
	s_or_b32 vcc_lo, vcc_lo, s2
	v_cndmask_b32_e32 v5, v4, v5, vcc_lo
	v_cmp_gt_u32_e32 vcc_lo, 30, v6
	ds_bpermute_b32 v7, v3, v5
	v_cndmask_b32_e64 v4, 0, 2, vcc_lo
	s_delay_alu instid0(VALU_DEP_1)
	v_add_lshl_u32 v4, v4, v6, 2
	s_wait_dscnt 0x0
	v_cmp_u_f32_e32 vcc_lo, v7, v7
	v_cmp_lt_f32_e64 s2, v5, v7
	s_or_b32 vcc_lo, vcc_lo, s2
	v_cndmask_b32_e32 v5, v5, v7, vcc_lo
	ds_bpermute_b32 v7, v4, v5
	s_wait_dscnt 0x0
	v_cmp_u_f32_e32 vcc_lo, v7, v7
	v_cmp_lt_f32_e64 s2, v5, v7
	s_or_b32 vcc_lo, vcc_lo, s2
	v_dual_cndmask_b32 v6, v5, v7 :: v_dual_lshlrev_b32 v5, 2, v8
	v_and_b32_e32 v7, 31, v0
	ds_bpermute_b32 v8, v5, v6
	v_cmpx_eq_u32_e32 0, v7
	s_cbranch_execz .LBB143_21
; %bb.20:
	s_wait_dscnt 0x0
	v_cmp_u_f32_e32 vcc_lo, v8, v8
	v_cmp_lt_f32_e64 s2, v6, v8
	v_lshrrev_b32_e32 v9, 3, v0
	s_or_b32 vcc_lo, vcc_lo, s2
	v_cndmask_b32_e32 v6, v6, v8, vcc_lo
	ds_store_b32 v9, v6
.LBB143_21:
	s_or_b32 exec_lo, exec_lo, s3
	s_wait_dscnt 0x0
	s_barrier_signal -1
	s_barrier_wait -1
	s_load_b32 s2, s[0:1], 0xd4c
	v_mov_b32_e32 v6, 0xff7fffff
	s_wait_kmcnt 0x0
	s_bfe_u32 s2, s2, 0xb0005
	s_delay_alu instid0(SALU_CYCLE_1)
	v_cmp_gt_u32_e32 vcc_lo, s2, v0
	s_and_saveexec_b32 s2, vcc_lo
; %bb.22:
	v_lshlrev_b32_e32 v6, 2, v7
	ds_load_b32 v6, v6
; %bb.23:
	s_or_b32 exec_lo, exec_lo, s2
	s_delay_alu instid0(SALU_CYCLE_1)
	s_mov_b32 s3, exec_lo
	v_cmpx_gt_u32_e32 32, v0
	s_cbranch_execz .LBB143_25
; %bb.24:
	s_wait_dscnt 0x0
	ds_bpermute_b32 v1, v1, v6
	s_wait_dscnt 0x0
	v_cmp_u_f32_e32 vcc_lo, v1, v1
	v_cmp_lt_f32_e64 s2, v6, v1
	s_or_b32 vcc_lo, vcc_lo, s2
	v_cndmask_b32_e32 v1, v6, v1, vcc_lo
	ds_bpermute_b32 v2, v2, v1
	s_wait_dscnt 0x0
	v_cmp_u_f32_e32 vcc_lo, v2, v2
	v_cmp_lt_f32_e64 s2, v1, v2
	s_or_b32 vcc_lo, vcc_lo, s2
	v_cndmask_b32_e32 v1, v1, v2, vcc_lo
	;; [unrolled: 6-line block ×5, first 2 shown]
.LBB143_25:
	s_or_b32 exec_lo, exec_lo, s3
	s_delay_alu instid0(SALU_CYCLE_1)
	s_mov_b32 s2, exec_lo
	v_cmpx_eq_u32_e32 0, v0
	s_cbranch_execz .LBB143_27
; %bb.26:
	s_clause 0x1
	s_load_b32 s2, s[0:1], 0xd20
	s_load_b96 s[8:10], s[0:1], 0xd30
	v_and_b32_e32 v0, 0xff, v15
	s_wait_kmcnt 0x0
	s_delay_alu instid0(VALU_DEP_1) | instskip(NEXT) | instid1(VALU_DEP_1)
	v_add_nc_u32_e32 v0, s2, v0
	v_mul_lo_u32 v0, v0, s10
	s_delay_alu instid0(VALU_DEP_1)
	v_add_nc_u32_e32 v0, s6, v0
	s_wait_dscnt 0x0
	global_store_b32 v0, v6, s[8:9] scale_offset
.LBB143_27:
	s_endpgm
.LBB143_28:
	v_mov_b32_e32 v2, 0
	s_delay_alu instid0(VALU_DEP_1)
	v_dual_mov_b32 v3, v2 :: v_dual_mov_b32 v4, v2
	v_mov_b32_e32 v5, v2
	s_and_not1_b32 vcc_lo, exec_lo, s3
	s_cbranch_vccz .LBB143_14
	s_branch .LBB143_19
	.section	.rodata,"a",@progbits
	.p2align	6, 0x0
	.amdhsa_kernel _ZN2at6native12_GLOBAL__N_125multi_tensor_apply_kernelINS1_18TensorListMetadataILi1EEENS0_13LpNormFunctorIN3c108BFloat16ELNS0_8NormTypeE3ES7_Li1ELi1ELi0EEEJPfiEEEvT_T0_DpT1_
		.amdhsa_group_segment_fixed_size 2048
		.amdhsa_private_segment_fixed_size 0
		.amdhsa_kernarg_size 3648
		.amdhsa_user_sgpr_count 2
		.amdhsa_user_sgpr_dispatch_ptr 0
		.amdhsa_user_sgpr_queue_ptr 0
		.amdhsa_user_sgpr_kernarg_segment_ptr 1
		.amdhsa_user_sgpr_dispatch_id 0
		.amdhsa_user_sgpr_kernarg_preload_length 0
		.amdhsa_user_sgpr_kernarg_preload_offset 0
		.amdhsa_user_sgpr_private_segment_size 0
		.amdhsa_wavefront_size32 1
		.amdhsa_uses_dynamic_stack 0
		.amdhsa_enable_private_segment 0
		.amdhsa_system_sgpr_workgroup_id_x 1
		.amdhsa_system_sgpr_workgroup_id_y 0
		.amdhsa_system_sgpr_workgroup_id_z 0
		.amdhsa_system_sgpr_workgroup_info 0
		.amdhsa_system_vgpr_workitem_id 0
		.amdhsa_next_free_vgpr 20
		.amdhsa_next_free_sgpr 17
		.amdhsa_named_barrier_count 0
		.amdhsa_reserve_vcc 1
		.amdhsa_float_round_mode_32 0
		.amdhsa_float_round_mode_16_64 0
		.amdhsa_float_denorm_mode_32 3
		.amdhsa_float_denorm_mode_16_64 3
		.amdhsa_fp16_overflow 0
		.amdhsa_memory_ordered 1
		.amdhsa_forward_progress 1
		.amdhsa_inst_pref_size 15
		.amdhsa_round_robin_scheduling 0
		.amdhsa_exception_fp_ieee_invalid_op 0
		.amdhsa_exception_fp_denorm_src 0
		.amdhsa_exception_fp_ieee_div_zero 0
		.amdhsa_exception_fp_ieee_overflow 0
		.amdhsa_exception_fp_ieee_underflow 0
		.amdhsa_exception_fp_ieee_inexact 0
		.amdhsa_exception_int_div_zero 0
	.end_amdhsa_kernel
	.section	.text._ZN2at6native12_GLOBAL__N_125multi_tensor_apply_kernelINS1_18TensorListMetadataILi1EEENS0_13LpNormFunctorIN3c108BFloat16ELNS0_8NormTypeE3ES7_Li1ELi1ELi0EEEJPfiEEEvT_T0_DpT1_,"axG",@progbits,_ZN2at6native12_GLOBAL__N_125multi_tensor_apply_kernelINS1_18TensorListMetadataILi1EEENS0_13LpNormFunctorIN3c108BFloat16ELNS0_8NormTypeE3ES7_Li1ELi1ELi0EEEJPfiEEEvT_T0_DpT1_,comdat
.Lfunc_end143:
	.size	_ZN2at6native12_GLOBAL__N_125multi_tensor_apply_kernelINS1_18TensorListMetadataILi1EEENS0_13LpNormFunctorIN3c108BFloat16ELNS0_8NormTypeE3ES7_Li1ELi1ELi0EEEJPfiEEEvT_T0_DpT1_, .Lfunc_end143-_ZN2at6native12_GLOBAL__N_125multi_tensor_apply_kernelINS1_18TensorListMetadataILi1EEENS0_13LpNormFunctorIN3c108BFloat16ELNS0_8NormTypeE3ES7_Li1ELi1ELi0EEEJPfiEEEvT_T0_DpT1_
                                        ; -- End function
	.set _ZN2at6native12_GLOBAL__N_125multi_tensor_apply_kernelINS1_18TensorListMetadataILi1EEENS0_13LpNormFunctorIN3c108BFloat16ELNS0_8NormTypeE3ES7_Li1ELi1ELi0EEEJPfiEEEvT_T0_DpT1_.num_vgpr, 20
	.set _ZN2at6native12_GLOBAL__N_125multi_tensor_apply_kernelINS1_18TensorListMetadataILi1EEENS0_13LpNormFunctorIN3c108BFloat16ELNS0_8NormTypeE3ES7_Li1ELi1ELi0EEEJPfiEEEvT_T0_DpT1_.num_agpr, 0
	.set _ZN2at6native12_GLOBAL__N_125multi_tensor_apply_kernelINS1_18TensorListMetadataILi1EEENS0_13LpNormFunctorIN3c108BFloat16ELNS0_8NormTypeE3ES7_Li1ELi1ELi0EEEJPfiEEEvT_T0_DpT1_.numbered_sgpr, 17
	.set _ZN2at6native12_GLOBAL__N_125multi_tensor_apply_kernelINS1_18TensorListMetadataILi1EEENS0_13LpNormFunctorIN3c108BFloat16ELNS0_8NormTypeE3ES7_Li1ELi1ELi0EEEJPfiEEEvT_T0_DpT1_.num_named_barrier, 0
	.set _ZN2at6native12_GLOBAL__N_125multi_tensor_apply_kernelINS1_18TensorListMetadataILi1EEENS0_13LpNormFunctorIN3c108BFloat16ELNS0_8NormTypeE3ES7_Li1ELi1ELi0EEEJPfiEEEvT_T0_DpT1_.private_seg_size, 0
	.set _ZN2at6native12_GLOBAL__N_125multi_tensor_apply_kernelINS1_18TensorListMetadataILi1EEENS0_13LpNormFunctorIN3c108BFloat16ELNS0_8NormTypeE3ES7_Li1ELi1ELi0EEEJPfiEEEvT_T0_DpT1_.uses_vcc, 1
	.set _ZN2at6native12_GLOBAL__N_125multi_tensor_apply_kernelINS1_18TensorListMetadataILi1EEENS0_13LpNormFunctorIN3c108BFloat16ELNS0_8NormTypeE3ES7_Li1ELi1ELi0EEEJPfiEEEvT_T0_DpT1_.uses_flat_scratch, 0
	.set _ZN2at6native12_GLOBAL__N_125multi_tensor_apply_kernelINS1_18TensorListMetadataILi1EEENS0_13LpNormFunctorIN3c108BFloat16ELNS0_8NormTypeE3ES7_Li1ELi1ELi0EEEJPfiEEEvT_T0_DpT1_.has_dyn_sized_stack, 0
	.set _ZN2at6native12_GLOBAL__N_125multi_tensor_apply_kernelINS1_18TensorListMetadataILi1EEENS0_13LpNormFunctorIN3c108BFloat16ELNS0_8NormTypeE3ES7_Li1ELi1ELi0EEEJPfiEEEvT_T0_DpT1_.has_recursion, 0
	.set _ZN2at6native12_GLOBAL__N_125multi_tensor_apply_kernelINS1_18TensorListMetadataILi1EEENS0_13LpNormFunctorIN3c108BFloat16ELNS0_8NormTypeE3ES7_Li1ELi1ELi0EEEJPfiEEEvT_T0_DpT1_.has_indirect_call, 0
	.section	.AMDGPU.csdata,"",@progbits
; Kernel info:
; codeLenInByte = 1828
; TotalNumSgprs: 19
; NumVgprs: 20
; ScratchSize: 0
; MemoryBound: 0
; FloatMode: 240
; IeeeMode: 1
; LDSByteSize: 2048 bytes/workgroup (compile time only)
; SGPRBlocks: 0
; VGPRBlocks: 1
; NumSGPRsForWavesPerEU: 19
; NumVGPRsForWavesPerEU: 20
; NamedBarCnt: 0
; Occupancy: 16
; WaveLimiterHint : 0
; COMPUTE_PGM_RSRC2:SCRATCH_EN: 0
; COMPUTE_PGM_RSRC2:USER_SGPR: 2
; COMPUTE_PGM_RSRC2:TRAP_HANDLER: 0
; COMPUTE_PGM_RSRC2:TGID_X_EN: 1
; COMPUTE_PGM_RSRC2:TGID_Y_EN: 0
; COMPUTE_PGM_RSRC2:TGID_Z_EN: 0
; COMPUTE_PGM_RSRC2:TIDIG_COMP_CNT: 0
	.section	.text._ZN2at6native14lpnorm_cleanupIN3c108BFloat16ELNS0_8NormTypeE0ES3_Lb1EfEEvPKT3_NS0_19TensorListAddressesEi,"axG",@progbits,_ZN2at6native14lpnorm_cleanupIN3c108BFloat16ELNS0_8NormTypeE0ES3_Lb1EfEEvPKT3_NS0_19TensorListAddressesEi,comdat
	.protected	_ZN2at6native14lpnorm_cleanupIN3c108BFloat16ELNS0_8NormTypeE0ES3_Lb1EfEEvPKT3_NS0_19TensorListAddressesEi ; -- Begin function _ZN2at6native14lpnorm_cleanupIN3c108BFloat16ELNS0_8NormTypeE0ES3_Lb1EfEEvPKT3_NS0_19TensorListAddressesEi
	.globl	_ZN2at6native14lpnorm_cleanupIN3c108BFloat16ELNS0_8NormTypeE0ES3_Lb1EfEEvPKT3_NS0_19TensorListAddressesEi
	.p2align	8
	.type	_ZN2at6native14lpnorm_cleanupIN3c108BFloat16ELNS0_8NormTypeE0ES3_Lb1EfEEvPKT3_NS0_19TensorListAddressesEi,@function
_ZN2at6native14lpnorm_cleanupIN3c108BFloat16ELNS0_8NormTypeE0ES3_Lb1EfEEvPKT3_NS0_19TensorListAddressesEi: ; @_ZN2at6native14lpnorm_cleanupIN3c108BFloat16ELNS0_8NormTypeE0ES3_Lb1EfEEvPKT3_NS0_19TensorListAddressesEi
; %bb.0:
	s_load_b32 s2, s[0:1], 0xc88
	s_bfe_u32 s3, ttmp6, 0x4000c
	s_and_b32 s4, ttmp6, 15
	s_add_co_i32 s3, s3, 1
	s_getreg_b32 s5, hwreg(HW_REG_IB_STS2, 6, 4)
	s_mul_i32 s3, ttmp9, s3
	v_mov_b32_e32 v1, 0
	s_add_co_i32 s4, s4, s3
	s_cmp_eq_u32 s5, 0
	s_mov_b32 s5, 0
	s_cselect_b32 s8, ttmp9, s4
	s_mov_b32 s9, exec_lo
	s_wait_kmcnt 0x0
	v_cmpx_gt_u32_e64 s2, v0
	s_cbranch_execz .LBB144_4
; %bb.1:
	s_clause 0x1
	s_load_b64 s[6:7], s[0:1], 0x0
	s_load_b32 s4, s[0:1], 0xc9c
	v_dual_mov_b32 v1, 0 :: v_dual_lshlrev_b32 v2, 2, v0
	s_mul_i32 s10, s2, s8
	s_mov_b32 s11, s5
	s_ashr_i32 s3, s2, 31
	s_delay_alu instid0(VALU_DEP_1)
	v_mov_b32_e32 v3, v1
	s_lshl_b64 s[10:11], s[10:11], 2
	v_mov_b64_e32 v[4:5], v[0:1]
	s_wait_kmcnt 0x0
	s_add_nc_u64 s[6:7], s[6:7], s[10:11]
	s_and_b32 s4, s4, 0xffff
	v_add_nc_u64_e32 v[2:3], s[6:7], v[2:3]
	s_lshl_b32 s6, s4, 2
	s_mov_b32 s7, s5
	s_mov_b32 s10, s5
.LBB144_2:                              ; =>This Inner Loop Header: Depth=1
	global_load_b32 v6, v[2:3], off
	v_add_nc_u64_e32 v[4:5], s[4:5], v[4:5]
	s_wait_xcnt 0x0
	v_add_nc_u64_e32 v[2:3], s[6:7], v[2:3]
	s_delay_alu instid0(VALU_DEP_2)
	v_cmp_le_u64_e32 vcc_lo, s[2:3], v[4:5]
	s_or_b32 s10, vcc_lo, s10
	s_wait_loadcnt 0x0
	v_add_f32_e32 v1, v1, v6
	s_and_not1_b32 exec_lo, exec_lo, s10
	s_cbranch_execnz .LBB144_2
; %bb.3:
	s_or_b32 exec_lo, exec_lo, s10
.LBB144_4:
	s_delay_alu instid0(SALU_CYCLE_1) | instskip(SKIP_4) | instid1(VALU_DEP_1)
	s_or_b32 exec_lo, exec_lo, s9
	v_mbcnt_lo_u32_b32 v5, -1, 0
	s_mov_b32 s2, exec_lo
	s_barrier_signal -1
	s_barrier_wait -1
	v_lshl_or_b32 v2, v5, 2, 64
	v_cmp_gt_u32_e32 vcc_lo, 24, v5
	ds_bpermute_b32 v4, v2, v1
	v_cndmask_b32_e64 v3, 0, 8, vcc_lo
	v_cmp_gt_u32_e32 vcc_lo, 28, v5
	s_delay_alu instid0(VALU_DEP_2)
	v_add_lshl_u32 v3, v3, v5, 2
	s_wait_dscnt 0x0
	v_add_f32_e32 v4, v1, v4
	v_cndmask_b32_e64 v1, 0, 4, vcc_lo
	v_cmp_gt_u32_e32 vcc_lo, 30, v5
	ds_bpermute_b32 v6, v3, v4
	v_add_lshl_u32 v1, v1, v5, 2
	s_wait_dscnt 0x0
	v_add_f32_e32 v6, v4, v6
	v_cndmask_b32_e64 v4, 0, 2, vcc_lo
	v_cmp_ne_u32_e32 vcc_lo, 31, v5
	s_delay_alu instid0(VALU_DEP_2) | instskip(SKIP_1) | instid1(VALU_DEP_1)
	v_add_lshl_u32 v4, v4, v5, 2
	v_add_co_ci_u32_e64 v5, null, 0, v5, vcc_lo
	v_lshlrev_b32_e32 v5, 2, v5
	ds_bpermute_b32 v7, v1, v6
	s_wait_dscnt 0x0
	v_add_f32_e32 v6, v6, v7
	ds_bpermute_b32 v7, v4, v6
	s_wait_dscnt 0x0
	v_dual_add_f32 v6, v6, v7 :: v_dual_bitop2_b32 v7, 31, v0 bitop3:0x40
	ds_bpermute_b32 v8, v5, v6
	v_cmpx_eq_u32_e32 0, v7
	s_cbranch_execz .LBB144_6
; %bb.5:
	s_wait_dscnt 0x0
	v_add_f32_e32 v6, v6, v8
	v_lshrrev_b32_e32 v8, 3, v0
	ds_store_b32 v8, v6
.LBB144_6:
	s_or_b32 exec_lo, exec_lo, s2
	s_wait_dscnt 0x0
	s_barrier_signal -1
	s_barrier_wait -1
	s_load_b32 s2, s[0:1], 0xc9c
	v_mov_b32_e32 v6, 0
	s_wait_kmcnt 0x0
	s_bfe_u32 s2, s2, 0xb0005
	s_delay_alu instid0(SALU_CYCLE_1)
	v_cmp_gt_u32_e32 vcc_lo, s2, v0
	s_and_saveexec_b32 s2, vcc_lo
; %bb.7:
	v_lshlrev_b32_e32 v6, 2, v7
	ds_load_b32 v6, v6
; %bb.8:
	s_or_b32 exec_lo, exec_lo, s2
	s_delay_alu instid0(SALU_CYCLE_1)
	s_mov_b32 s2, exec_lo
	v_cmpx_gt_u32_e32 32, v0
	s_cbranch_execz .LBB144_10
; %bb.9:
	s_wait_dscnt 0x0
	ds_bpermute_b32 v2, v2, v6
	s_wait_dscnt 0x0
	v_add_f32_e32 v2, v6, v2
	ds_bpermute_b32 v3, v3, v2
	s_wait_dscnt 0x0
	v_add_f32_e32 v2, v2, v3
	ds_bpermute_b32 v1, v1, v2
	s_wait_dscnt 0x0
	v_add_f32_e32 v1, v2, v1
	ds_bpermute_b32 v2, v4, v1
	s_wait_dscnt 0x0
	v_add_f32_e32 v1, v1, v2
	ds_bpermute_b32 v2, v5, v1
	s_wait_dscnt 0x0
	v_add_f32_e32 v6, v1, v2
.LBB144_10:
	s_or_b32 exec_lo, exec_lo, s2
	s_delay_alu instid0(SALU_CYCLE_1)
	s_mov_b32 s2, exec_lo
	v_cmpx_eq_u32_e32 0, v0
	s_cbranch_execz .LBB144_12
; %bb.11:
	s_wait_dscnt 0x0
	v_bfe_u32 v0, v6, 16, 1
	s_load_b64 s[0:1], s[0:1], s8 offset:0x8 scale_offset
	v_cmp_o_f32_e32 vcc_lo, v6, v6
	v_mov_b32_e32 v1, 0
	s_delay_alu instid0(VALU_DEP_3) | instskip(NEXT) | instid1(VALU_DEP_1)
	v_add3_u32 v0, v6, v0, 0x7fff
	v_lshrrev_b32_e32 v0, 16, v0
	s_delay_alu instid0(VALU_DEP_1)
	v_cndmask_b32_e32 v0, 0x7fc0, v0, vcc_lo
	s_wait_kmcnt 0x0
	global_store_b16 v1, v0, s[0:1]
.LBB144_12:
	s_endpgm
	.section	.rodata,"a",@progbits
	.p2align	6, 0x0
	.amdhsa_kernel _ZN2at6native14lpnorm_cleanupIN3c108BFloat16ELNS0_8NormTypeE0ES3_Lb1EfEEvPKT3_NS0_19TensorListAddressesEi
		.amdhsa_group_segment_fixed_size 2048
		.amdhsa_private_segment_fixed_size 0
		.amdhsa_kernarg_size 3472
		.amdhsa_user_sgpr_count 2
		.amdhsa_user_sgpr_dispatch_ptr 0
		.amdhsa_user_sgpr_queue_ptr 0
		.amdhsa_user_sgpr_kernarg_segment_ptr 1
		.amdhsa_user_sgpr_dispatch_id 0
		.amdhsa_user_sgpr_kernarg_preload_length 0
		.amdhsa_user_sgpr_kernarg_preload_offset 0
		.amdhsa_user_sgpr_private_segment_size 0
		.amdhsa_wavefront_size32 1
		.amdhsa_uses_dynamic_stack 0
		.amdhsa_enable_private_segment 0
		.amdhsa_system_sgpr_workgroup_id_x 1
		.amdhsa_system_sgpr_workgroup_id_y 0
		.amdhsa_system_sgpr_workgroup_id_z 0
		.amdhsa_system_sgpr_workgroup_info 0
		.amdhsa_system_vgpr_workitem_id 0
		.amdhsa_next_free_vgpr 9
		.amdhsa_next_free_sgpr 12
		.amdhsa_named_barrier_count 0
		.amdhsa_reserve_vcc 1
		.amdhsa_float_round_mode_32 0
		.amdhsa_float_round_mode_16_64 0
		.amdhsa_float_denorm_mode_32 3
		.amdhsa_float_denorm_mode_16_64 3
		.amdhsa_fp16_overflow 0
		.amdhsa_memory_ordered 1
		.amdhsa_forward_progress 1
		.amdhsa_inst_pref_size 6
		.amdhsa_round_robin_scheduling 0
		.amdhsa_exception_fp_ieee_invalid_op 0
		.amdhsa_exception_fp_denorm_src 0
		.amdhsa_exception_fp_ieee_div_zero 0
		.amdhsa_exception_fp_ieee_overflow 0
		.amdhsa_exception_fp_ieee_underflow 0
		.amdhsa_exception_fp_ieee_inexact 0
		.amdhsa_exception_int_div_zero 0
	.end_amdhsa_kernel
	.section	.text._ZN2at6native14lpnorm_cleanupIN3c108BFloat16ELNS0_8NormTypeE0ES3_Lb1EfEEvPKT3_NS0_19TensorListAddressesEi,"axG",@progbits,_ZN2at6native14lpnorm_cleanupIN3c108BFloat16ELNS0_8NormTypeE0ES3_Lb1EfEEvPKT3_NS0_19TensorListAddressesEi,comdat
.Lfunc_end144:
	.size	_ZN2at6native14lpnorm_cleanupIN3c108BFloat16ELNS0_8NormTypeE0ES3_Lb1EfEEvPKT3_NS0_19TensorListAddressesEi, .Lfunc_end144-_ZN2at6native14lpnorm_cleanupIN3c108BFloat16ELNS0_8NormTypeE0ES3_Lb1EfEEvPKT3_NS0_19TensorListAddressesEi
                                        ; -- End function
	.set _ZN2at6native14lpnorm_cleanupIN3c108BFloat16ELNS0_8NormTypeE0ES3_Lb1EfEEvPKT3_NS0_19TensorListAddressesEi.num_vgpr, 9
	.set _ZN2at6native14lpnorm_cleanupIN3c108BFloat16ELNS0_8NormTypeE0ES3_Lb1EfEEvPKT3_NS0_19TensorListAddressesEi.num_agpr, 0
	.set _ZN2at6native14lpnorm_cleanupIN3c108BFloat16ELNS0_8NormTypeE0ES3_Lb1EfEEvPKT3_NS0_19TensorListAddressesEi.numbered_sgpr, 12
	.set _ZN2at6native14lpnorm_cleanupIN3c108BFloat16ELNS0_8NormTypeE0ES3_Lb1EfEEvPKT3_NS0_19TensorListAddressesEi.num_named_barrier, 0
	.set _ZN2at6native14lpnorm_cleanupIN3c108BFloat16ELNS0_8NormTypeE0ES3_Lb1EfEEvPKT3_NS0_19TensorListAddressesEi.private_seg_size, 0
	.set _ZN2at6native14lpnorm_cleanupIN3c108BFloat16ELNS0_8NormTypeE0ES3_Lb1EfEEvPKT3_NS0_19TensorListAddressesEi.uses_vcc, 1
	.set _ZN2at6native14lpnorm_cleanupIN3c108BFloat16ELNS0_8NormTypeE0ES3_Lb1EfEEvPKT3_NS0_19TensorListAddressesEi.uses_flat_scratch, 0
	.set _ZN2at6native14lpnorm_cleanupIN3c108BFloat16ELNS0_8NormTypeE0ES3_Lb1EfEEvPKT3_NS0_19TensorListAddressesEi.has_dyn_sized_stack, 0
	.set _ZN2at6native14lpnorm_cleanupIN3c108BFloat16ELNS0_8NormTypeE0ES3_Lb1EfEEvPKT3_NS0_19TensorListAddressesEi.has_recursion, 0
	.set _ZN2at6native14lpnorm_cleanupIN3c108BFloat16ELNS0_8NormTypeE0ES3_Lb1EfEEvPKT3_NS0_19TensorListAddressesEi.has_indirect_call, 0
	.section	.AMDGPU.csdata,"",@progbits
; Kernel info:
; codeLenInByte = 712
; TotalNumSgprs: 14
; NumVgprs: 9
; ScratchSize: 0
; MemoryBound: 0
; FloatMode: 240
; IeeeMode: 1
; LDSByteSize: 2048 bytes/workgroup (compile time only)
; SGPRBlocks: 0
; VGPRBlocks: 0
; NumSGPRsForWavesPerEU: 14
; NumVGPRsForWavesPerEU: 9
; NamedBarCnt: 0
; Occupancy: 16
; WaveLimiterHint : 0
; COMPUTE_PGM_RSRC2:SCRATCH_EN: 0
; COMPUTE_PGM_RSRC2:USER_SGPR: 2
; COMPUTE_PGM_RSRC2:TRAP_HANDLER: 0
; COMPUTE_PGM_RSRC2:TGID_X_EN: 1
; COMPUTE_PGM_RSRC2:TGID_Y_EN: 0
; COMPUTE_PGM_RSRC2:TGID_Z_EN: 0
; COMPUTE_PGM_RSRC2:TIDIG_COMP_CNT: 0
	.section	.text._ZN2at6native14lpnorm_cleanupIN3c108BFloat16ELNS0_8NormTypeE1ES3_Lb1EfEEvPKT3_NS0_19TensorListAddressesEi,"axG",@progbits,_ZN2at6native14lpnorm_cleanupIN3c108BFloat16ELNS0_8NormTypeE1ES3_Lb1EfEEvPKT3_NS0_19TensorListAddressesEi,comdat
	.protected	_ZN2at6native14lpnorm_cleanupIN3c108BFloat16ELNS0_8NormTypeE1ES3_Lb1EfEEvPKT3_NS0_19TensorListAddressesEi ; -- Begin function _ZN2at6native14lpnorm_cleanupIN3c108BFloat16ELNS0_8NormTypeE1ES3_Lb1EfEEvPKT3_NS0_19TensorListAddressesEi
	.globl	_ZN2at6native14lpnorm_cleanupIN3c108BFloat16ELNS0_8NormTypeE1ES3_Lb1EfEEvPKT3_NS0_19TensorListAddressesEi
	.p2align	8
	.type	_ZN2at6native14lpnorm_cleanupIN3c108BFloat16ELNS0_8NormTypeE1ES3_Lb1EfEEvPKT3_NS0_19TensorListAddressesEi,@function
_ZN2at6native14lpnorm_cleanupIN3c108BFloat16ELNS0_8NormTypeE1ES3_Lb1EfEEvPKT3_NS0_19TensorListAddressesEi: ; @_ZN2at6native14lpnorm_cleanupIN3c108BFloat16ELNS0_8NormTypeE1ES3_Lb1EfEEvPKT3_NS0_19TensorListAddressesEi
; %bb.0:
	s_load_b32 s2, s[0:1], 0xc88
	s_bfe_u32 s3, ttmp6, 0x4000c
	s_and_b32 s4, ttmp6, 15
	s_add_co_i32 s3, s3, 1
	s_getreg_b32 s5, hwreg(HW_REG_IB_STS2, 6, 4)
	s_mul_i32 s3, ttmp9, s3
	v_mov_b32_e32 v1, 0
	s_add_co_i32 s4, s4, s3
	s_cmp_eq_u32 s5, 0
	s_mov_b32 s5, 0
	s_cselect_b32 s8, ttmp9, s4
	s_mov_b32 s9, exec_lo
	s_wait_kmcnt 0x0
	v_cmpx_gt_u32_e64 s2, v0
	s_cbranch_execz .LBB145_4
; %bb.1:
	s_clause 0x1
	s_load_b64 s[6:7], s[0:1], 0x0
	s_load_b32 s4, s[0:1], 0xc9c
	v_dual_mov_b32 v1, 0 :: v_dual_lshlrev_b32 v2, 2, v0
	s_mul_i32 s10, s2, s8
	s_mov_b32 s11, s5
	s_ashr_i32 s3, s2, 31
	s_delay_alu instid0(VALU_DEP_1)
	v_mov_b32_e32 v3, v1
	s_lshl_b64 s[10:11], s[10:11], 2
	v_mov_b64_e32 v[4:5], v[0:1]
	s_wait_kmcnt 0x0
	s_add_nc_u64 s[6:7], s[6:7], s[10:11]
	s_and_b32 s4, s4, 0xffff
	v_add_nc_u64_e32 v[2:3], s[6:7], v[2:3]
	s_lshl_b32 s6, s4, 2
	s_mov_b32 s7, s5
	s_mov_b32 s10, s5
.LBB145_2:                              ; =>This Inner Loop Header: Depth=1
	global_load_b32 v6, v[2:3], off
	v_add_nc_u64_e32 v[4:5], s[4:5], v[4:5]
	s_wait_xcnt 0x0
	v_add_nc_u64_e32 v[2:3], s[6:7], v[2:3]
	s_delay_alu instid0(VALU_DEP_2)
	v_cmp_le_u64_e32 vcc_lo, s[2:3], v[4:5]
	s_or_b32 s10, vcc_lo, s10
	s_wait_loadcnt 0x0
	v_add_f32_e32 v1, v1, v6
	s_and_not1_b32 exec_lo, exec_lo, s10
	s_cbranch_execnz .LBB145_2
; %bb.3:
	s_or_b32 exec_lo, exec_lo, s10
.LBB145_4:
	s_delay_alu instid0(SALU_CYCLE_1) | instskip(SKIP_4) | instid1(VALU_DEP_1)
	s_or_b32 exec_lo, exec_lo, s9
	v_mbcnt_lo_u32_b32 v5, -1, 0
	s_mov_b32 s2, exec_lo
	s_barrier_signal -1
	s_barrier_wait -1
	v_lshl_or_b32 v2, v5, 2, 64
	v_cmp_gt_u32_e32 vcc_lo, 24, v5
	ds_bpermute_b32 v4, v2, v1
	v_cndmask_b32_e64 v3, 0, 8, vcc_lo
	v_cmp_gt_u32_e32 vcc_lo, 28, v5
	s_delay_alu instid0(VALU_DEP_2)
	v_add_lshl_u32 v3, v3, v5, 2
	s_wait_dscnt 0x0
	v_add_f32_e32 v4, v1, v4
	v_cndmask_b32_e64 v1, 0, 4, vcc_lo
	v_cmp_gt_u32_e32 vcc_lo, 30, v5
	ds_bpermute_b32 v6, v3, v4
	v_add_lshl_u32 v1, v1, v5, 2
	s_wait_dscnt 0x0
	v_add_f32_e32 v6, v4, v6
	v_cndmask_b32_e64 v4, 0, 2, vcc_lo
	v_cmp_ne_u32_e32 vcc_lo, 31, v5
	s_delay_alu instid0(VALU_DEP_2) | instskip(SKIP_1) | instid1(VALU_DEP_1)
	v_add_lshl_u32 v4, v4, v5, 2
	v_add_co_ci_u32_e64 v5, null, 0, v5, vcc_lo
	v_lshlrev_b32_e32 v5, 2, v5
	ds_bpermute_b32 v7, v1, v6
	s_wait_dscnt 0x0
	v_add_f32_e32 v6, v6, v7
	ds_bpermute_b32 v7, v4, v6
	s_wait_dscnt 0x0
	v_dual_add_f32 v6, v6, v7 :: v_dual_bitop2_b32 v7, 31, v0 bitop3:0x40
	ds_bpermute_b32 v8, v5, v6
	v_cmpx_eq_u32_e32 0, v7
	s_cbranch_execz .LBB145_6
; %bb.5:
	s_wait_dscnt 0x0
	v_add_f32_e32 v6, v6, v8
	v_lshrrev_b32_e32 v8, 3, v0
	ds_store_b32 v8, v6
.LBB145_6:
	s_or_b32 exec_lo, exec_lo, s2
	s_wait_dscnt 0x0
	s_barrier_signal -1
	s_barrier_wait -1
	s_load_b32 s2, s[0:1], 0xc9c
	v_mov_b32_e32 v6, 0
	s_wait_kmcnt 0x0
	s_bfe_u32 s2, s2, 0xb0005
	s_delay_alu instid0(SALU_CYCLE_1)
	v_cmp_gt_u32_e32 vcc_lo, s2, v0
	s_and_saveexec_b32 s2, vcc_lo
; %bb.7:
	v_lshlrev_b32_e32 v6, 2, v7
	ds_load_b32 v6, v6
; %bb.8:
	s_or_b32 exec_lo, exec_lo, s2
	s_delay_alu instid0(SALU_CYCLE_1)
	s_mov_b32 s2, exec_lo
	v_cmpx_gt_u32_e32 32, v0
	s_cbranch_execz .LBB145_10
; %bb.9:
	s_wait_dscnt 0x0
	ds_bpermute_b32 v2, v2, v6
	s_wait_dscnt 0x0
	v_add_f32_e32 v2, v6, v2
	ds_bpermute_b32 v3, v3, v2
	s_wait_dscnt 0x0
	v_add_f32_e32 v2, v2, v3
	ds_bpermute_b32 v1, v1, v2
	s_wait_dscnt 0x0
	v_add_f32_e32 v1, v2, v1
	ds_bpermute_b32 v2, v4, v1
	s_wait_dscnt 0x0
	v_add_f32_e32 v1, v1, v2
	ds_bpermute_b32 v2, v5, v1
	s_wait_dscnt 0x0
	v_add_f32_e32 v6, v1, v2
.LBB145_10:
	s_or_b32 exec_lo, exec_lo, s2
	s_delay_alu instid0(SALU_CYCLE_1)
	s_mov_b32 s2, exec_lo
	v_cmpx_eq_u32_e32 0, v0
	s_cbranch_execz .LBB145_12
; %bb.11:
	s_wait_dscnt 0x0
	v_bfe_u32 v0, v6, 16, 1
	s_load_b64 s[0:1], s[0:1], s8 offset:0x8 scale_offset
	v_cmp_o_f32_e32 vcc_lo, v6, v6
	v_mov_b32_e32 v1, 0
	s_delay_alu instid0(VALU_DEP_3) | instskip(NEXT) | instid1(VALU_DEP_1)
	v_add3_u32 v0, v6, v0, 0x7fff
	v_lshrrev_b32_e32 v0, 16, v0
	s_delay_alu instid0(VALU_DEP_1)
	v_cndmask_b32_e32 v0, 0x7fc0, v0, vcc_lo
	s_wait_kmcnt 0x0
	global_store_b16 v1, v0, s[0:1]
.LBB145_12:
	s_endpgm
	.section	.rodata,"a",@progbits
	.p2align	6, 0x0
	.amdhsa_kernel _ZN2at6native14lpnorm_cleanupIN3c108BFloat16ELNS0_8NormTypeE1ES3_Lb1EfEEvPKT3_NS0_19TensorListAddressesEi
		.amdhsa_group_segment_fixed_size 2048
		.amdhsa_private_segment_fixed_size 0
		.amdhsa_kernarg_size 3472
		.amdhsa_user_sgpr_count 2
		.amdhsa_user_sgpr_dispatch_ptr 0
		.amdhsa_user_sgpr_queue_ptr 0
		.amdhsa_user_sgpr_kernarg_segment_ptr 1
		.amdhsa_user_sgpr_dispatch_id 0
		.amdhsa_user_sgpr_kernarg_preload_length 0
		.amdhsa_user_sgpr_kernarg_preload_offset 0
		.amdhsa_user_sgpr_private_segment_size 0
		.amdhsa_wavefront_size32 1
		.amdhsa_uses_dynamic_stack 0
		.amdhsa_enable_private_segment 0
		.amdhsa_system_sgpr_workgroup_id_x 1
		.amdhsa_system_sgpr_workgroup_id_y 0
		.amdhsa_system_sgpr_workgroup_id_z 0
		.amdhsa_system_sgpr_workgroup_info 0
		.amdhsa_system_vgpr_workitem_id 0
		.amdhsa_next_free_vgpr 9
		.amdhsa_next_free_sgpr 12
		.amdhsa_named_barrier_count 0
		.amdhsa_reserve_vcc 1
		.amdhsa_float_round_mode_32 0
		.amdhsa_float_round_mode_16_64 0
		.amdhsa_float_denorm_mode_32 3
		.amdhsa_float_denorm_mode_16_64 3
		.amdhsa_fp16_overflow 0
		.amdhsa_memory_ordered 1
		.amdhsa_forward_progress 1
		.amdhsa_inst_pref_size 6
		.amdhsa_round_robin_scheduling 0
		.amdhsa_exception_fp_ieee_invalid_op 0
		.amdhsa_exception_fp_denorm_src 0
		.amdhsa_exception_fp_ieee_div_zero 0
		.amdhsa_exception_fp_ieee_overflow 0
		.amdhsa_exception_fp_ieee_underflow 0
		.amdhsa_exception_fp_ieee_inexact 0
		.amdhsa_exception_int_div_zero 0
	.end_amdhsa_kernel
	.section	.text._ZN2at6native14lpnorm_cleanupIN3c108BFloat16ELNS0_8NormTypeE1ES3_Lb1EfEEvPKT3_NS0_19TensorListAddressesEi,"axG",@progbits,_ZN2at6native14lpnorm_cleanupIN3c108BFloat16ELNS0_8NormTypeE1ES3_Lb1EfEEvPKT3_NS0_19TensorListAddressesEi,comdat
.Lfunc_end145:
	.size	_ZN2at6native14lpnorm_cleanupIN3c108BFloat16ELNS0_8NormTypeE1ES3_Lb1EfEEvPKT3_NS0_19TensorListAddressesEi, .Lfunc_end145-_ZN2at6native14lpnorm_cleanupIN3c108BFloat16ELNS0_8NormTypeE1ES3_Lb1EfEEvPKT3_NS0_19TensorListAddressesEi
                                        ; -- End function
	.set _ZN2at6native14lpnorm_cleanupIN3c108BFloat16ELNS0_8NormTypeE1ES3_Lb1EfEEvPKT3_NS0_19TensorListAddressesEi.num_vgpr, 9
	.set _ZN2at6native14lpnorm_cleanupIN3c108BFloat16ELNS0_8NormTypeE1ES3_Lb1EfEEvPKT3_NS0_19TensorListAddressesEi.num_agpr, 0
	.set _ZN2at6native14lpnorm_cleanupIN3c108BFloat16ELNS0_8NormTypeE1ES3_Lb1EfEEvPKT3_NS0_19TensorListAddressesEi.numbered_sgpr, 12
	.set _ZN2at6native14lpnorm_cleanupIN3c108BFloat16ELNS0_8NormTypeE1ES3_Lb1EfEEvPKT3_NS0_19TensorListAddressesEi.num_named_barrier, 0
	.set _ZN2at6native14lpnorm_cleanupIN3c108BFloat16ELNS0_8NormTypeE1ES3_Lb1EfEEvPKT3_NS0_19TensorListAddressesEi.private_seg_size, 0
	.set _ZN2at6native14lpnorm_cleanupIN3c108BFloat16ELNS0_8NormTypeE1ES3_Lb1EfEEvPKT3_NS0_19TensorListAddressesEi.uses_vcc, 1
	.set _ZN2at6native14lpnorm_cleanupIN3c108BFloat16ELNS0_8NormTypeE1ES3_Lb1EfEEvPKT3_NS0_19TensorListAddressesEi.uses_flat_scratch, 0
	.set _ZN2at6native14lpnorm_cleanupIN3c108BFloat16ELNS0_8NormTypeE1ES3_Lb1EfEEvPKT3_NS0_19TensorListAddressesEi.has_dyn_sized_stack, 0
	.set _ZN2at6native14lpnorm_cleanupIN3c108BFloat16ELNS0_8NormTypeE1ES3_Lb1EfEEvPKT3_NS0_19TensorListAddressesEi.has_recursion, 0
	.set _ZN2at6native14lpnorm_cleanupIN3c108BFloat16ELNS0_8NormTypeE1ES3_Lb1EfEEvPKT3_NS0_19TensorListAddressesEi.has_indirect_call, 0
	.section	.AMDGPU.csdata,"",@progbits
; Kernel info:
; codeLenInByte = 712
; TotalNumSgprs: 14
; NumVgprs: 9
; ScratchSize: 0
; MemoryBound: 0
; FloatMode: 240
; IeeeMode: 1
; LDSByteSize: 2048 bytes/workgroup (compile time only)
; SGPRBlocks: 0
; VGPRBlocks: 0
; NumSGPRsForWavesPerEU: 14
; NumVGPRsForWavesPerEU: 9
; NamedBarCnt: 0
; Occupancy: 16
; WaveLimiterHint : 0
; COMPUTE_PGM_RSRC2:SCRATCH_EN: 0
; COMPUTE_PGM_RSRC2:USER_SGPR: 2
; COMPUTE_PGM_RSRC2:TRAP_HANDLER: 0
; COMPUTE_PGM_RSRC2:TGID_X_EN: 1
; COMPUTE_PGM_RSRC2:TGID_Y_EN: 0
; COMPUTE_PGM_RSRC2:TGID_Z_EN: 0
; COMPUTE_PGM_RSRC2:TIDIG_COMP_CNT: 0
	.section	.text._ZN2at6native14lpnorm_cleanupIN3c108BFloat16ELNS0_8NormTypeE2ES3_Lb1EfEEvPKT3_NS0_19TensorListAddressesEi,"axG",@progbits,_ZN2at6native14lpnorm_cleanupIN3c108BFloat16ELNS0_8NormTypeE2ES3_Lb1EfEEvPKT3_NS0_19TensorListAddressesEi,comdat
	.protected	_ZN2at6native14lpnorm_cleanupIN3c108BFloat16ELNS0_8NormTypeE2ES3_Lb1EfEEvPKT3_NS0_19TensorListAddressesEi ; -- Begin function _ZN2at6native14lpnorm_cleanupIN3c108BFloat16ELNS0_8NormTypeE2ES3_Lb1EfEEvPKT3_NS0_19TensorListAddressesEi
	.globl	_ZN2at6native14lpnorm_cleanupIN3c108BFloat16ELNS0_8NormTypeE2ES3_Lb1EfEEvPKT3_NS0_19TensorListAddressesEi
	.p2align	8
	.type	_ZN2at6native14lpnorm_cleanupIN3c108BFloat16ELNS0_8NormTypeE2ES3_Lb1EfEEvPKT3_NS0_19TensorListAddressesEi,@function
_ZN2at6native14lpnorm_cleanupIN3c108BFloat16ELNS0_8NormTypeE2ES3_Lb1EfEEvPKT3_NS0_19TensorListAddressesEi: ; @_ZN2at6native14lpnorm_cleanupIN3c108BFloat16ELNS0_8NormTypeE2ES3_Lb1EfEEvPKT3_NS0_19TensorListAddressesEi
; %bb.0:
	s_load_b32 s2, s[0:1], 0xc88
	s_bfe_u32 s3, ttmp6, 0x4000c
	s_and_b32 s4, ttmp6, 15
	s_add_co_i32 s3, s3, 1
	s_getreg_b32 s5, hwreg(HW_REG_IB_STS2, 6, 4)
	s_mul_i32 s3, ttmp9, s3
	v_mov_b32_e32 v1, 0
	s_add_co_i32 s4, s4, s3
	s_cmp_eq_u32 s5, 0
	s_mov_b32 s5, 0
	s_cselect_b32 s8, ttmp9, s4
	s_mov_b32 s9, exec_lo
	s_wait_kmcnt 0x0
	v_cmpx_gt_u32_e64 s2, v0
	s_cbranch_execz .LBB146_4
; %bb.1:
	s_clause 0x1
	s_load_b64 s[6:7], s[0:1], 0x0
	s_load_b32 s4, s[0:1], 0xc9c
	v_dual_mov_b32 v1, 0 :: v_dual_lshlrev_b32 v2, 2, v0
	s_mul_i32 s10, s2, s8
	s_mov_b32 s11, s5
	s_ashr_i32 s3, s2, 31
	s_delay_alu instid0(VALU_DEP_1)
	v_mov_b32_e32 v3, v1
	s_lshl_b64 s[10:11], s[10:11], 2
	v_mov_b64_e32 v[4:5], v[0:1]
	s_wait_kmcnt 0x0
	s_add_nc_u64 s[6:7], s[6:7], s[10:11]
	s_and_b32 s4, s4, 0xffff
	v_add_nc_u64_e32 v[2:3], s[6:7], v[2:3]
	s_lshl_b32 s6, s4, 2
	s_mov_b32 s7, s5
	s_mov_b32 s10, s5
.LBB146_2:                              ; =>This Inner Loop Header: Depth=1
	global_load_b32 v6, v[2:3], off
	v_add_nc_u64_e32 v[4:5], s[4:5], v[4:5]
	s_wait_xcnt 0x0
	v_add_nc_u64_e32 v[2:3], s[6:7], v[2:3]
	s_delay_alu instid0(VALU_DEP_2)
	v_cmp_le_u64_e32 vcc_lo, s[2:3], v[4:5]
	s_or_b32 s10, vcc_lo, s10
	s_wait_loadcnt 0x0
	v_add_f32_e32 v1, v1, v6
	s_and_not1_b32 exec_lo, exec_lo, s10
	s_cbranch_execnz .LBB146_2
; %bb.3:
	s_or_b32 exec_lo, exec_lo, s10
.LBB146_4:
	s_delay_alu instid0(SALU_CYCLE_1) | instskip(SKIP_4) | instid1(VALU_DEP_1)
	s_or_b32 exec_lo, exec_lo, s9
	v_mbcnt_lo_u32_b32 v5, -1, 0
	s_mov_b32 s2, exec_lo
	s_barrier_signal -1
	s_barrier_wait -1
	v_lshl_or_b32 v2, v5, 2, 64
	v_cmp_gt_u32_e32 vcc_lo, 24, v5
	ds_bpermute_b32 v4, v2, v1
	v_cndmask_b32_e64 v3, 0, 8, vcc_lo
	v_cmp_gt_u32_e32 vcc_lo, 28, v5
	s_delay_alu instid0(VALU_DEP_2)
	v_add_lshl_u32 v3, v3, v5, 2
	s_wait_dscnt 0x0
	v_add_f32_e32 v4, v1, v4
	v_cndmask_b32_e64 v1, 0, 4, vcc_lo
	v_cmp_gt_u32_e32 vcc_lo, 30, v5
	ds_bpermute_b32 v6, v3, v4
	v_add_lshl_u32 v1, v1, v5, 2
	s_wait_dscnt 0x0
	v_add_f32_e32 v6, v4, v6
	v_cndmask_b32_e64 v4, 0, 2, vcc_lo
	v_cmp_ne_u32_e32 vcc_lo, 31, v5
	ds_bpermute_b32 v7, v1, v6
	v_add_lshl_u32 v4, v4, v5, 2
	v_add_co_ci_u32_e64 v8, null, 0, v5, vcc_lo
	s_wait_dscnt 0x0
	v_add_f32_e32 v6, v6, v7
	ds_bpermute_b32 v7, v4, v6
	s_wait_dscnt 0x0
	v_dual_add_f32 v5, v6, v7 :: v_dual_lshlrev_b32 v6, 2, v8
	v_and_b32_e32 v7, 31, v0
	ds_bpermute_b32 v8, v6, v5
	v_cmpx_eq_u32_e32 0, v7
	s_cbranch_execz .LBB146_6
; %bb.5:
	s_wait_dscnt 0x0
	v_add_f32_e32 v5, v5, v8
	v_lshrrev_b32_e32 v8, 3, v0
	ds_store_b32 v8, v5
.LBB146_6:
	s_or_b32 exec_lo, exec_lo, s2
	s_wait_dscnt 0x0
	s_barrier_signal -1
	s_barrier_wait -1
	s_load_b32 s2, s[0:1], 0xc9c
	v_mov_b32_e32 v5, 0
	s_wait_kmcnt 0x0
	s_bfe_u32 s2, s2, 0xb0005
	s_delay_alu instid0(SALU_CYCLE_1)
	v_cmp_gt_u32_e32 vcc_lo, s2, v0
	s_and_saveexec_b32 s2, vcc_lo
; %bb.7:
	v_lshlrev_b32_e32 v5, 2, v7
	ds_load_b32 v5, v5
; %bb.8:
	s_or_b32 exec_lo, exec_lo, s2
	s_delay_alu instid0(SALU_CYCLE_1)
	s_mov_b32 s2, exec_lo
	v_cmpx_gt_u32_e32 32, v0
	s_cbranch_execz .LBB146_10
; %bb.9:
	s_wait_dscnt 0x0
	ds_bpermute_b32 v2, v2, v5
	s_wait_dscnt 0x0
	v_add_f32_e32 v2, v5, v2
	ds_bpermute_b32 v3, v3, v2
	s_wait_dscnt 0x0
	v_add_f32_e32 v2, v2, v3
	;; [unrolled: 3-line block ×5, first 2 shown]
.LBB146_10:
	s_or_b32 exec_lo, exec_lo, s2
	s_delay_alu instid0(SALU_CYCLE_1)
	s_mov_b32 s2, exec_lo
	v_cmpx_eq_u32_e32 0, v0
	s_cbranch_execz .LBB146_12
; %bb.11:
	s_wait_dscnt 0x0
	v_cmp_gt_f32_e32 vcc_lo, 0xf800000, v5
	v_mul_f32_e32 v0, 0x4f800000, v5
	s_load_b64 s[0:1], s[0:1], s8 offset:0x8 scale_offset
	s_delay_alu instid0(VALU_DEP_1) | instskip(NEXT) | instid1(VALU_DEP_1)
	v_cndmask_b32_e32 v0, v5, v0, vcc_lo
	v_sqrt_f32_e32 v1, v0
	v_nop
	s_delay_alu instid0(TRANS32_DEP_1) | instskip(NEXT) | instid1(VALU_DEP_1)
	v_dual_add_nc_u32 v2, -1, v1 :: v_dual_add_nc_u32 v3, 1, v1
	v_fma_f32 v4, -v2, v1, v0
	s_delay_alu instid0(VALU_DEP_1) | instskip(NEXT) | instid1(VALU_DEP_1)
	v_cmp_ge_f32_e64 s2, 0, v4
	v_dual_fma_f32 v6, -v3, v1, v0 :: v_dual_cndmask_b32 v1, v1, v2, s2
	s_delay_alu instid0(VALU_DEP_1) | instskip(NEXT) | instid1(VALU_DEP_1)
	v_cmp_lt_f32_e64 s2, 0, v6
	v_cndmask_b32_e64 v1, v1, v3, s2
	s_delay_alu instid0(VALU_DEP_1) | instskip(NEXT) | instid1(VALU_DEP_1)
	v_mul_f32_e32 v2, 0x37800000, v1
	v_cndmask_b32_e32 v1, v1, v2, vcc_lo
	v_cmp_class_f32_e64 vcc_lo, v0, 0x260
	s_delay_alu instid0(VALU_DEP_2) | instskip(SKIP_1) | instid1(VALU_DEP_2)
	v_cndmask_b32_e32 v0, v1, v0, vcc_lo
	v_cmp_le_f32_e32 vcc_lo, 0, v5
	v_bfe_u32 v1, v0, 16, 1
	s_delay_alu instid0(VALU_DEP_1) | instskip(NEXT) | instid1(VALU_DEP_1)
	v_add3_u32 v0, v0, v1, 0x7fff
	v_dual_mov_b32 v1, 0 :: v_dual_lshrrev_b32 v0, 16, v0
	s_delay_alu instid0(VALU_DEP_1)
	v_cndmask_b32_e32 v0, 0x7fc0, v0, vcc_lo
	s_wait_kmcnt 0x0
	global_store_b16 v1, v0, s[0:1]
.LBB146_12:
	s_endpgm
	.section	.rodata,"a",@progbits
	.p2align	6, 0x0
	.amdhsa_kernel _ZN2at6native14lpnorm_cleanupIN3c108BFloat16ELNS0_8NormTypeE2ES3_Lb1EfEEvPKT3_NS0_19TensorListAddressesEi
		.amdhsa_group_segment_fixed_size 2048
		.amdhsa_private_segment_fixed_size 0
		.amdhsa_kernarg_size 3472
		.amdhsa_user_sgpr_count 2
		.amdhsa_user_sgpr_dispatch_ptr 0
		.amdhsa_user_sgpr_queue_ptr 0
		.amdhsa_user_sgpr_kernarg_segment_ptr 1
		.amdhsa_user_sgpr_dispatch_id 0
		.amdhsa_user_sgpr_kernarg_preload_length 0
		.amdhsa_user_sgpr_kernarg_preload_offset 0
		.amdhsa_user_sgpr_private_segment_size 0
		.amdhsa_wavefront_size32 1
		.amdhsa_uses_dynamic_stack 0
		.amdhsa_enable_private_segment 0
		.amdhsa_system_sgpr_workgroup_id_x 1
		.amdhsa_system_sgpr_workgroup_id_y 0
		.amdhsa_system_sgpr_workgroup_id_z 0
		.amdhsa_system_sgpr_workgroup_info 0
		.amdhsa_system_vgpr_workitem_id 0
		.amdhsa_next_free_vgpr 9
		.amdhsa_next_free_sgpr 12
		.amdhsa_named_barrier_count 0
		.amdhsa_reserve_vcc 1
		.amdhsa_float_round_mode_32 0
		.amdhsa_float_round_mode_16_64 0
		.amdhsa_float_denorm_mode_32 3
		.amdhsa_float_denorm_mode_16_64 3
		.amdhsa_fp16_overflow 0
		.amdhsa_memory_ordered 1
		.amdhsa_forward_progress 1
		.amdhsa_inst_pref_size 7
		.amdhsa_round_robin_scheduling 0
		.amdhsa_exception_fp_ieee_invalid_op 0
		.amdhsa_exception_fp_denorm_src 0
		.amdhsa_exception_fp_ieee_div_zero 0
		.amdhsa_exception_fp_ieee_overflow 0
		.amdhsa_exception_fp_ieee_underflow 0
		.amdhsa_exception_fp_ieee_inexact 0
		.amdhsa_exception_int_div_zero 0
	.end_amdhsa_kernel
	.section	.text._ZN2at6native14lpnorm_cleanupIN3c108BFloat16ELNS0_8NormTypeE2ES3_Lb1EfEEvPKT3_NS0_19TensorListAddressesEi,"axG",@progbits,_ZN2at6native14lpnorm_cleanupIN3c108BFloat16ELNS0_8NormTypeE2ES3_Lb1EfEEvPKT3_NS0_19TensorListAddressesEi,comdat
.Lfunc_end146:
	.size	_ZN2at6native14lpnorm_cleanupIN3c108BFloat16ELNS0_8NormTypeE2ES3_Lb1EfEEvPKT3_NS0_19TensorListAddressesEi, .Lfunc_end146-_ZN2at6native14lpnorm_cleanupIN3c108BFloat16ELNS0_8NormTypeE2ES3_Lb1EfEEvPKT3_NS0_19TensorListAddressesEi
                                        ; -- End function
	.set _ZN2at6native14lpnorm_cleanupIN3c108BFloat16ELNS0_8NormTypeE2ES3_Lb1EfEEvPKT3_NS0_19TensorListAddressesEi.num_vgpr, 9
	.set _ZN2at6native14lpnorm_cleanupIN3c108BFloat16ELNS0_8NormTypeE2ES3_Lb1EfEEvPKT3_NS0_19TensorListAddressesEi.num_agpr, 0
	.set _ZN2at6native14lpnorm_cleanupIN3c108BFloat16ELNS0_8NormTypeE2ES3_Lb1EfEEvPKT3_NS0_19TensorListAddressesEi.numbered_sgpr, 12
	.set _ZN2at6native14lpnorm_cleanupIN3c108BFloat16ELNS0_8NormTypeE2ES3_Lb1EfEEvPKT3_NS0_19TensorListAddressesEi.num_named_barrier, 0
	.set _ZN2at6native14lpnorm_cleanupIN3c108BFloat16ELNS0_8NormTypeE2ES3_Lb1EfEEvPKT3_NS0_19TensorListAddressesEi.private_seg_size, 0
	.set _ZN2at6native14lpnorm_cleanupIN3c108BFloat16ELNS0_8NormTypeE2ES3_Lb1EfEEvPKT3_NS0_19TensorListAddressesEi.uses_vcc, 1
	.set _ZN2at6native14lpnorm_cleanupIN3c108BFloat16ELNS0_8NormTypeE2ES3_Lb1EfEEvPKT3_NS0_19TensorListAddressesEi.uses_flat_scratch, 0
	.set _ZN2at6native14lpnorm_cleanupIN3c108BFloat16ELNS0_8NormTypeE2ES3_Lb1EfEEvPKT3_NS0_19TensorListAddressesEi.has_dyn_sized_stack, 0
	.set _ZN2at6native14lpnorm_cleanupIN3c108BFloat16ELNS0_8NormTypeE2ES3_Lb1EfEEvPKT3_NS0_19TensorListAddressesEi.has_recursion, 0
	.set _ZN2at6native14lpnorm_cleanupIN3c108BFloat16ELNS0_8NormTypeE2ES3_Lb1EfEEvPKT3_NS0_19TensorListAddressesEi.has_indirect_call, 0
	.section	.AMDGPU.csdata,"",@progbits
; Kernel info:
; codeLenInByte = 840
; TotalNumSgprs: 14
; NumVgprs: 9
; ScratchSize: 0
; MemoryBound: 0
; FloatMode: 240
; IeeeMode: 1
; LDSByteSize: 2048 bytes/workgroup (compile time only)
; SGPRBlocks: 0
; VGPRBlocks: 0
; NumSGPRsForWavesPerEU: 14
; NumVGPRsForWavesPerEU: 9
; NamedBarCnt: 0
; Occupancy: 16
; WaveLimiterHint : 0
; COMPUTE_PGM_RSRC2:SCRATCH_EN: 0
; COMPUTE_PGM_RSRC2:USER_SGPR: 2
; COMPUTE_PGM_RSRC2:TRAP_HANDLER: 0
; COMPUTE_PGM_RSRC2:TGID_X_EN: 1
; COMPUTE_PGM_RSRC2:TGID_Y_EN: 0
; COMPUTE_PGM_RSRC2:TGID_Z_EN: 0
; COMPUTE_PGM_RSRC2:TIDIG_COMP_CNT: 0
	.section	.text._ZN2at6native14lpnorm_cleanupIN3c108BFloat16ELNS0_8NormTypeE3ES3_Lb1EfEEvPKT3_NS0_19TensorListAddressesEi,"axG",@progbits,_ZN2at6native14lpnorm_cleanupIN3c108BFloat16ELNS0_8NormTypeE3ES3_Lb1EfEEvPKT3_NS0_19TensorListAddressesEi,comdat
	.protected	_ZN2at6native14lpnorm_cleanupIN3c108BFloat16ELNS0_8NormTypeE3ES3_Lb1EfEEvPKT3_NS0_19TensorListAddressesEi ; -- Begin function _ZN2at6native14lpnorm_cleanupIN3c108BFloat16ELNS0_8NormTypeE3ES3_Lb1EfEEvPKT3_NS0_19TensorListAddressesEi
	.globl	_ZN2at6native14lpnorm_cleanupIN3c108BFloat16ELNS0_8NormTypeE3ES3_Lb1EfEEvPKT3_NS0_19TensorListAddressesEi
	.p2align	8
	.type	_ZN2at6native14lpnorm_cleanupIN3c108BFloat16ELNS0_8NormTypeE3ES3_Lb1EfEEvPKT3_NS0_19TensorListAddressesEi,@function
_ZN2at6native14lpnorm_cleanupIN3c108BFloat16ELNS0_8NormTypeE3ES3_Lb1EfEEvPKT3_NS0_19TensorListAddressesEi: ; @_ZN2at6native14lpnorm_cleanupIN3c108BFloat16ELNS0_8NormTypeE3ES3_Lb1EfEEvPKT3_NS0_19TensorListAddressesEi
; %bb.0:
	s_load_b32 s4, s[0:1], 0xc88
	s_bfe_u32 s2, ttmp6, 0x4000c
	s_and_b32 s3, ttmp6, 15
	s_add_co_i32 s2, s2, 1
	s_getreg_b32 s5, hwreg(HW_REG_IB_STS2, 6, 4)
	s_mul_i32 s2, ttmp9, s2
	v_mov_b32_e32 v1, 0
	s_add_co_i32 s3, s3, s2
	s_cmp_eq_u32 s5, 0
	s_mov_b32 s7, 0
	s_cselect_b32 s10, ttmp9, s3
	s_mov_b32 s11, exec_lo
	s_wait_kmcnt 0x0
	v_cmpx_gt_u32_e64 s4, v0
	s_cbranch_execz .LBB147_4
; %bb.1:
	s_clause 0x1
	s_load_b64 s[2:3], s[0:1], 0x0
	s_load_b32 s6, s[0:1], 0xc9c
	v_dual_mov_b32 v1, 0 :: v_dual_lshlrev_b32 v2, 2, v0
	s_mul_i32 s8, s4, s10
	s_mov_b32 s9, s7
	s_ashr_i32 s5, s4, 31
	s_delay_alu instid0(VALU_DEP_1)
	v_mov_b32_e32 v3, v1
	s_lshl_b64 s[8:9], s[8:9], 2
	v_mov_b64_e32 v[4:5], v[0:1]
	s_mov_b32 s12, s7
	s_wait_kmcnt 0x0
	s_add_nc_u64 s[2:3], s[2:3], s[8:9]
	s_and_b32 s6, s6, 0xffff
	v_add_nc_u64_e32 v[2:3], s[2:3], v[2:3]
	s_lshl_b32 s8, s6, 2
	s_mov_b32 s9, s7
.LBB147_2:                              ; =>This Inner Loop Header: Depth=1
	global_load_b32 v6, v[2:3], off
	v_add_nc_u64_e32 v[4:5], s[6:7], v[4:5]
	s_wait_xcnt 0x0
	v_add_nc_u64_e32 v[2:3], s[8:9], v[2:3]
	s_delay_alu instid0(VALU_DEP_2)
	v_cmp_le_u64_e32 vcc_lo, s[4:5], v[4:5]
	s_wait_loadcnt 0x0
	v_cmp_u_f32_e64 s2, v6, v6
	v_cmp_lt_f32_e64 s3, v1, v6
	s_or_b32 s2, s2, s3
	s_or_b32 s12, vcc_lo, s12
	v_cndmask_b32_e64 v1, v1, v6, s2
	s_and_not1_b32 exec_lo, exec_lo, s12
	s_cbranch_execnz .LBB147_2
; %bb.3:
	s_or_b32 exec_lo, exec_lo, s12
.LBB147_4:
	s_delay_alu instid0(SALU_CYCLE_1) | instskip(SKIP_3) | instid1(VALU_DEP_1)
	s_or_b32 exec_lo, exec_lo, s11
	v_mbcnt_lo_u32_b32 v5, -1, 0
	s_barrier_signal -1
	s_barrier_wait -1
	v_lshl_or_b32 v2, v5, 2, 64
	v_cmp_gt_u32_e32 vcc_lo, 24, v5
	v_cmp_ne_u32_e64 s3, 31, v5
	ds_bpermute_b32 v4, v2, v1
	v_cndmask_b32_e64 v3, 0, 8, vcc_lo
	s_delay_alu instid0(VALU_DEP_1)
	v_add_lshl_u32 v3, v3, v5, 2
	s_wait_dscnt 0x0
	v_cmp_u_f32_e32 vcc_lo, v4, v4
	v_cmp_lt_f32_e64 s2, v1, v4
	s_or_b32 vcc_lo, vcc_lo, s2
	v_cndmask_b32_e32 v4, v1, v4, vcc_lo
	v_cmp_gt_u32_e32 vcc_lo, 28, v5
	ds_bpermute_b32 v6, v3, v4
	v_cndmask_b32_e64 v1, 0, 4, vcc_lo
	s_delay_alu instid0(VALU_DEP_1)
	v_add_lshl_u32 v1, v1, v5, 2
	s_wait_dscnt 0x0
	v_cmp_u_f32_e32 vcc_lo, v6, v6
	v_cmp_lt_f32_e64 s2, v4, v6
	s_or_b32 vcc_lo, vcc_lo, s2
	v_cndmask_b32_e32 v6, v4, v6, vcc_lo
	v_cmp_gt_u32_e32 vcc_lo, 30, v5
	v_cndmask_b32_e64 v4, 0, 2, vcc_lo
	s_delay_alu instid0(VALU_DEP_1)
	v_add_lshl_u32 v4, v4, v5, 2
	v_add_co_ci_u32_e64 v5, null, 0, v5, s3
	s_mov_b32 s3, exec_lo
	v_lshlrev_b32_e32 v5, 2, v5
	ds_bpermute_b32 v7, v1, v6
	s_wait_dscnt 0x0
	v_cmp_u_f32_e32 vcc_lo, v7, v7
	v_cmp_lt_f32_e64 s2, v6, v7
	s_or_b32 vcc_lo, vcc_lo, s2
	v_cndmask_b32_e32 v6, v6, v7, vcc_lo
	ds_bpermute_b32 v7, v4, v6
	s_wait_dscnt 0x0
	v_cmp_u_f32_e32 vcc_lo, v7, v7
	v_cmp_lt_f32_e64 s2, v6, v7
	s_or_b32 vcc_lo, vcc_lo, s2
	s_delay_alu instid0(SALU_CYCLE_1)
	v_dual_cndmask_b32 v6, v6, v7, vcc_lo :: v_dual_bitop2_b32 v7, 31, v0 bitop3:0x40
	ds_bpermute_b32 v8, v5, v6
	v_cmpx_eq_u32_e32 0, v7
	s_cbranch_execz .LBB147_6
; %bb.5:
	s_wait_dscnt 0x0
	v_cmp_u_f32_e32 vcc_lo, v8, v8
	v_cmp_lt_f32_e64 s2, v6, v8
	s_or_b32 vcc_lo, vcc_lo, s2
	v_cndmask_b32_e32 v6, v6, v8, vcc_lo
	v_lshrrev_b32_e32 v8, 3, v0
	ds_store_b32 v8, v6
.LBB147_6:
	s_or_b32 exec_lo, exec_lo, s3
	s_wait_dscnt 0x0
	s_barrier_signal -1
	s_barrier_wait -1
	s_load_b32 s2, s[0:1], 0xc9c
	v_mov_b32_e32 v6, 0xff7fffff
	s_wait_kmcnt 0x0
	s_bfe_u32 s2, s2, 0xb0005
	s_delay_alu instid0(SALU_CYCLE_1)
	v_cmp_gt_u32_e32 vcc_lo, s2, v0
	s_and_saveexec_b32 s2, vcc_lo
; %bb.7:
	v_lshlrev_b32_e32 v6, 2, v7
	ds_load_b32 v6, v6
; %bb.8:
	s_or_b32 exec_lo, exec_lo, s2
	s_delay_alu instid0(SALU_CYCLE_1)
	s_mov_b32 s3, exec_lo
	v_cmpx_gt_u32_e32 32, v0
	s_cbranch_execz .LBB147_10
; %bb.9:
	s_wait_dscnt 0x0
	ds_bpermute_b32 v2, v2, v6
	s_wait_dscnt 0x0
	v_cmp_u_f32_e32 vcc_lo, v2, v2
	v_cmp_lt_f32_e64 s2, v6, v2
	s_or_b32 vcc_lo, vcc_lo, s2
	v_cndmask_b32_e32 v2, v6, v2, vcc_lo
	ds_bpermute_b32 v3, v3, v2
	s_wait_dscnt 0x0
	v_cmp_u_f32_e32 vcc_lo, v3, v3
	v_cmp_lt_f32_e64 s2, v2, v3
	s_or_b32 vcc_lo, vcc_lo, s2
	v_cndmask_b32_e32 v2, v2, v3, vcc_lo
	;; [unrolled: 6-line block ×5, first 2 shown]
.LBB147_10:
	s_or_b32 exec_lo, exec_lo, s3
	s_delay_alu instid0(SALU_CYCLE_1)
	s_mov_b32 s2, exec_lo
	v_cmpx_eq_u32_e32 0, v0
	s_cbranch_execz .LBB147_12
; %bb.11:
	s_wait_dscnt 0x0
	v_bfe_u32 v0, v6, 16, 1
	s_load_b64 s[0:1], s[0:1], s10 offset:0x8 scale_offset
	v_cmp_o_f32_e32 vcc_lo, v6, v6
	v_mov_b32_e32 v1, 0
	s_delay_alu instid0(VALU_DEP_3) | instskip(NEXT) | instid1(VALU_DEP_1)
	v_add3_u32 v0, v6, v0, 0x7fff
	v_lshrrev_b32_e32 v0, 16, v0
	s_delay_alu instid0(VALU_DEP_1)
	v_cndmask_b32_e32 v0, 0x7fc0, v0, vcc_lo
	s_wait_kmcnt 0x0
	global_store_b16 v1, v0, s[0:1]
.LBB147_12:
	s_endpgm
	.section	.rodata,"a",@progbits
	.p2align	6, 0x0
	.amdhsa_kernel _ZN2at6native14lpnorm_cleanupIN3c108BFloat16ELNS0_8NormTypeE3ES3_Lb1EfEEvPKT3_NS0_19TensorListAddressesEi
		.amdhsa_group_segment_fixed_size 2048
		.amdhsa_private_segment_fixed_size 0
		.amdhsa_kernarg_size 3472
		.amdhsa_user_sgpr_count 2
		.amdhsa_user_sgpr_dispatch_ptr 0
		.amdhsa_user_sgpr_queue_ptr 0
		.amdhsa_user_sgpr_kernarg_segment_ptr 1
		.amdhsa_user_sgpr_dispatch_id 0
		.amdhsa_user_sgpr_kernarg_preload_length 0
		.amdhsa_user_sgpr_kernarg_preload_offset 0
		.amdhsa_user_sgpr_private_segment_size 0
		.amdhsa_wavefront_size32 1
		.amdhsa_uses_dynamic_stack 0
		.amdhsa_enable_private_segment 0
		.amdhsa_system_sgpr_workgroup_id_x 1
		.amdhsa_system_sgpr_workgroup_id_y 0
		.amdhsa_system_sgpr_workgroup_id_z 0
		.amdhsa_system_sgpr_workgroup_info 0
		.amdhsa_system_vgpr_workitem_id 0
		.amdhsa_next_free_vgpr 9
		.amdhsa_next_free_sgpr 13
		.amdhsa_named_barrier_count 0
		.amdhsa_reserve_vcc 1
		.amdhsa_float_round_mode_32 0
		.amdhsa_float_round_mode_16_64 0
		.amdhsa_float_denorm_mode_32 3
		.amdhsa_float_denorm_mode_16_64 3
		.amdhsa_fp16_overflow 0
		.amdhsa_memory_ordered 1
		.amdhsa_forward_progress 1
		.amdhsa_inst_pref_size 8
		.amdhsa_round_robin_scheduling 0
		.amdhsa_exception_fp_ieee_invalid_op 0
		.amdhsa_exception_fp_denorm_src 0
		.amdhsa_exception_fp_ieee_div_zero 0
		.amdhsa_exception_fp_ieee_overflow 0
		.amdhsa_exception_fp_ieee_underflow 0
		.amdhsa_exception_fp_ieee_inexact 0
		.amdhsa_exception_int_div_zero 0
	.end_amdhsa_kernel
	.section	.text._ZN2at6native14lpnorm_cleanupIN3c108BFloat16ELNS0_8NormTypeE3ES3_Lb1EfEEvPKT3_NS0_19TensorListAddressesEi,"axG",@progbits,_ZN2at6native14lpnorm_cleanupIN3c108BFloat16ELNS0_8NormTypeE3ES3_Lb1EfEEvPKT3_NS0_19TensorListAddressesEi,comdat
.Lfunc_end147:
	.size	_ZN2at6native14lpnorm_cleanupIN3c108BFloat16ELNS0_8NormTypeE3ES3_Lb1EfEEvPKT3_NS0_19TensorListAddressesEi, .Lfunc_end147-_ZN2at6native14lpnorm_cleanupIN3c108BFloat16ELNS0_8NormTypeE3ES3_Lb1EfEEvPKT3_NS0_19TensorListAddressesEi
                                        ; -- End function
	.set _ZN2at6native14lpnorm_cleanupIN3c108BFloat16ELNS0_8NormTypeE3ES3_Lb1EfEEvPKT3_NS0_19TensorListAddressesEi.num_vgpr, 9
	.set _ZN2at6native14lpnorm_cleanupIN3c108BFloat16ELNS0_8NormTypeE3ES3_Lb1EfEEvPKT3_NS0_19TensorListAddressesEi.num_agpr, 0
	.set _ZN2at6native14lpnorm_cleanupIN3c108BFloat16ELNS0_8NormTypeE3ES3_Lb1EfEEvPKT3_NS0_19TensorListAddressesEi.numbered_sgpr, 13
	.set _ZN2at6native14lpnorm_cleanupIN3c108BFloat16ELNS0_8NormTypeE3ES3_Lb1EfEEvPKT3_NS0_19TensorListAddressesEi.num_named_barrier, 0
	.set _ZN2at6native14lpnorm_cleanupIN3c108BFloat16ELNS0_8NormTypeE3ES3_Lb1EfEEvPKT3_NS0_19TensorListAddressesEi.private_seg_size, 0
	.set _ZN2at6native14lpnorm_cleanupIN3c108BFloat16ELNS0_8NormTypeE3ES3_Lb1EfEEvPKT3_NS0_19TensorListAddressesEi.uses_vcc, 1
	.set _ZN2at6native14lpnorm_cleanupIN3c108BFloat16ELNS0_8NormTypeE3ES3_Lb1EfEEvPKT3_NS0_19TensorListAddressesEi.uses_flat_scratch, 0
	.set _ZN2at6native14lpnorm_cleanupIN3c108BFloat16ELNS0_8NormTypeE3ES3_Lb1EfEEvPKT3_NS0_19TensorListAddressesEi.has_dyn_sized_stack, 0
	.set _ZN2at6native14lpnorm_cleanupIN3c108BFloat16ELNS0_8NormTypeE3ES3_Lb1EfEEvPKT3_NS0_19TensorListAddressesEi.has_recursion, 0
	.set _ZN2at6native14lpnorm_cleanupIN3c108BFloat16ELNS0_8NormTypeE3ES3_Lb1EfEEvPKT3_NS0_19TensorListAddressesEi.has_indirect_call, 0
	.section	.AMDGPU.csdata,"",@progbits
; Kernel info:
; codeLenInByte = 912
; TotalNumSgprs: 15
; NumVgprs: 9
; ScratchSize: 0
; MemoryBound: 0
; FloatMode: 240
; IeeeMode: 1
; LDSByteSize: 2048 bytes/workgroup (compile time only)
; SGPRBlocks: 0
; VGPRBlocks: 0
; NumSGPRsForWavesPerEU: 15
; NumVGPRsForWavesPerEU: 9
; NamedBarCnt: 0
; Occupancy: 16
; WaveLimiterHint : 0
; COMPUTE_PGM_RSRC2:SCRATCH_EN: 0
; COMPUTE_PGM_RSRC2:USER_SGPR: 2
; COMPUTE_PGM_RSRC2:TRAP_HANDLER: 0
; COMPUTE_PGM_RSRC2:TGID_X_EN: 1
; COMPUTE_PGM_RSRC2:TGID_Y_EN: 0
; COMPUTE_PGM_RSRC2:TGID_Z_EN: 0
; COMPUTE_PGM_RSRC2:TIDIG_COMP_CNT: 0
	.section	.text._ZN2at6native14lpnorm_cleanupIdLNS0_8NormTypeE0EdLb0EdEEvPKT3_NS0_19TensorListAddressesEi,"axG",@progbits,_ZN2at6native14lpnorm_cleanupIdLNS0_8NormTypeE0EdLb0EdEEvPKT3_NS0_19TensorListAddressesEi,comdat
	.protected	_ZN2at6native14lpnorm_cleanupIdLNS0_8NormTypeE0EdLb0EdEEvPKT3_NS0_19TensorListAddressesEi ; -- Begin function _ZN2at6native14lpnorm_cleanupIdLNS0_8NormTypeE0EdLb0EdEEvPKT3_NS0_19TensorListAddressesEi
	.globl	_ZN2at6native14lpnorm_cleanupIdLNS0_8NormTypeE0EdLb0EdEEvPKT3_NS0_19TensorListAddressesEi
	.p2align	8
	.type	_ZN2at6native14lpnorm_cleanupIdLNS0_8NormTypeE0EdLb0EdEEvPKT3_NS0_19TensorListAddressesEi,@function
_ZN2at6native14lpnorm_cleanupIdLNS0_8NormTypeE0EdLb0EdEEvPKT3_NS0_19TensorListAddressesEi: ; @_ZN2at6native14lpnorm_cleanupIdLNS0_8NormTypeE0EdLb0EdEEvPKT3_NS0_19TensorListAddressesEi
; %bb.0:
	s_load_b32 s2, s[0:1], 0xc88
	s_bfe_u32 s3, ttmp6, 0x4000c
	s_and_b32 s4, ttmp6, 15
	s_add_co_i32 s3, s3, 1
	v_mov_b64_e32 v[2:3], 0
	s_mul_i32 s3, ttmp9, s3
	s_mov_b32 s5, 0
	s_add_co_i32 s4, s4, s3
	s_getreg_b32 s3, hwreg(HW_REG_IB_STS2, 6, 4)
	s_mov_b32 s9, exec_lo
	s_cmp_eq_u32 s3, 0
	s_cselect_b32 s8, ttmp9, s4
	s_wait_kmcnt 0x0
	v_cmpx_gt_u32_e64 s2, v0
	s_cbranch_execz .LBB148_4
; %bb.1:
	s_clause 0x1
	s_load_b64 s[6:7], s[0:1], 0x0
	s_load_b32 s4, s[0:1], 0xc9c
	v_dual_mov_b32 v1, 0 :: v_dual_lshlrev_b32 v2, 3, v0
	s_mul_i32 s10, s2, s8
	s_mov_b32 s11, s5
	s_ashr_i32 s3, s2, 31
	s_delay_alu instid0(VALU_DEP_1)
	v_mov_b32_e32 v3, v1
	s_lshl_b64 s[10:11], s[10:11], 3
	v_mov_b64_e32 v[6:7], v[0:1]
	s_wait_kmcnt 0x0
	s_add_nc_u64 s[6:7], s[6:7], s[10:11]
	s_and_b32 s4, s4, 0xffff
	v_add_nc_u64_e32 v[4:5], s[6:7], v[2:3]
	v_mov_b64_e32 v[2:3], 0
	s_lshl_b32 s6, s4, 3
	s_mov_b32 s7, s5
	s_mov_b32 s10, s5
.LBB148_2:                              ; =>This Inner Loop Header: Depth=1
	global_load_b64 v[8:9], v[4:5], off
	v_add_nc_u64_e32 v[6:7], s[4:5], v[6:7]
	s_wait_xcnt 0x0
	v_add_nc_u64_e32 v[4:5], s[6:7], v[4:5]
	s_delay_alu instid0(VALU_DEP_2)
	v_cmp_le_u64_e32 vcc_lo, s[2:3], v[6:7]
	s_or_b32 s10, vcc_lo, s10
	s_wait_loadcnt 0x0
	v_add_f64_e32 v[2:3], v[2:3], v[8:9]
	s_and_not1_b32 exec_lo, exec_lo, s10
	s_cbranch_execnz .LBB148_2
; %bb.3:
	s_or_b32 exec_lo, exec_lo, s10
.LBB148_4:
	s_delay_alu instid0(SALU_CYCLE_1) | instskip(SKIP_4) | instid1(VALU_DEP_2)
	s_or_b32 exec_lo, exec_lo, s9
	v_mbcnt_lo_u32_b32 v9, -1, 0
	v_and_b32_e32 v10, 31, v0
	s_mov_b32 s2, exec_lo
	s_barrier_signal -1
	v_lshl_or_b32 v1, v9, 2, 64
	v_cmp_gt_u32_e32 vcc_lo, 24, v9
	s_barrier_wait -1
	ds_bpermute_b32 v4, v1, v2
	ds_bpermute_b32 v5, v1, v3
	s_wait_dscnt 0x0
	v_add_f64_e32 v[2:3], v[2:3], v[4:5]
	v_cndmask_b32_e64 v4, 0, 8, vcc_lo
	v_cmp_gt_u32_e32 vcc_lo, 28, v9
	s_delay_alu instid0(VALU_DEP_2)
	v_add_lshl_u32 v6, v4, v9, 2
	ds_bpermute_b32 v4, v6, v2
	ds_bpermute_b32 v5, v6, v3
	s_wait_dscnt 0x0
	v_add_f64_e32 v[2:3], v[2:3], v[4:5]
	v_cndmask_b32_e64 v4, 0, 4, vcc_lo
	v_cmp_gt_u32_e32 vcc_lo, 30, v9
	s_delay_alu instid0(VALU_DEP_2)
	v_add_lshl_u32 v7, v4, v9, 2
	ds_bpermute_b32 v4, v7, v2
	ds_bpermute_b32 v5, v7, v3
	s_wait_dscnt 0x0
	v_add_f64_e32 v[2:3], v[2:3], v[4:5]
	v_cndmask_b32_e64 v4, 0, 2, vcc_lo
	v_cmp_ne_u32_e32 vcc_lo, 31, v9
	s_delay_alu instid0(VALU_DEP_2)
	v_add_lshl_u32 v8, v4, v9, 2
	ds_bpermute_b32 v4, v8, v2
	ds_bpermute_b32 v5, v8, v3
	s_wait_dscnt 0x0
	v_add_f64_e32 v[2:3], v[2:3], v[4:5]
	v_add_co_ci_u32_e64 v4, null, 0, v9, vcc_lo
	s_delay_alu instid0(VALU_DEP_1)
	v_lshlrev_b32_e32 v9, 2, v4
	ds_bpermute_b32 v4, v9, v2
	ds_bpermute_b32 v5, v9, v3
	v_cmpx_eq_u32_e32 0, v10
	s_cbranch_execz .LBB148_6
; %bb.5:
	s_wait_dscnt 0x0
	v_add_f64_e32 v[2:3], v[2:3], v[4:5]
	v_lshrrev_b32_e32 v4, 2, v0
	ds_store_b64 v4, v[2:3]
.LBB148_6:
	s_or_b32 exec_lo, exec_lo, s2
	s_wait_dscnt 0x0
	s_barrier_signal -1
	s_barrier_wait -1
	s_load_b32 s2, s[0:1], 0xc9c
	v_mov_b64_e32 v[2:3], 0
	s_wait_kmcnt 0x0
	s_bfe_u32 s2, s2, 0xb0005
	s_delay_alu instid0(SALU_CYCLE_1)
	v_cmp_gt_u32_e32 vcc_lo, s2, v0
	s_and_saveexec_b32 s2, vcc_lo
; %bb.7:
	v_lshlrev_b32_e32 v2, 3, v10
	ds_load_b64 v[2:3], v2
; %bb.8:
	s_or_b32 exec_lo, exec_lo, s2
	s_delay_alu instid0(SALU_CYCLE_1)
	s_mov_b32 s2, exec_lo
	v_cmpx_gt_u32_e32 32, v0
	s_cbranch_execz .LBB148_10
; %bb.9:
	s_wait_dscnt 0x0
	ds_bpermute_b32 v4, v1, v2
	ds_bpermute_b32 v5, v1, v3
	s_wait_dscnt 0x0
	v_add_f64_e32 v[2:3], v[2:3], v[4:5]
	ds_bpermute_b32 v4, v6, v2
	ds_bpermute_b32 v5, v6, v3
	s_wait_dscnt 0x0
	v_add_f64_e32 v[2:3], v[2:3], v[4:5]
	;; [unrolled: 4-line block ×5, first 2 shown]
.LBB148_10:
	s_or_b32 exec_lo, exec_lo, s2
	s_delay_alu instid0(SALU_CYCLE_1)
	s_mov_b32 s2, exec_lo
	v_cmpx_eq_u32_e32 0, v0
	s_cbranch_execz .LBB148_12
; %bb.11:
	s_load_b64 s[0:1], s[0:1], s8 offset:0x8 scale_offset
	v_mov_b32_e32 v0, 0
	s_wait_dscnt 0x0
	s_wait_kmcnt 0x0
	global_store_b64 v0, v[2:3], s[0:1]
.LBB148_12:
	s_endpgm
	.section	.rodata,"a",@progbits
	.p2align	6, 0x0
	.amdhsa_kernel _ZN2at6native14lpnorm_cleanupIdLNS0_8NormTypeE0EdLb0EdEEvPKT3_NS0_19TensorListAddressesEi
		.amdhsa_group_segment_fixed_size 4096
		.amdhsa_private_segment_fixed_size 0
		.amdhsa_kernarg_size 3472
		.amdhsa_user_sgpr_count 2
		.amdhsa_user_sgpr_dispatch_ptr 0
		.amdhsa_user_sgpr_queue_ptr 0
		.amdhsa_user_sgpr_kernarg_segment_ptr 1
		.amdhsa_user_sgpr_dispatch_id 0
		.amdhsa_user_sgpr_kernarg_preload_length 0
		.amdhsa_user_sgpr_kernarg_preload_offset 0
		.amdhsa_user_sgpr_private_segment_size 0
		.amdhsa_wavefront_size32 1
		.amdhsa_uses_dynamic_stack 0
		.amdhsa_enable_private_segment 0
		.amdhsa_system_sgpr_workgroup_id_x 1
		.amdhsa_system_sgpr_workgroup_id_y 0
		.amdhsa_system_sgpr_workgroup_id_z 0
		.amdhsa_system_sgpr_workgroup_info 0
		.amdhsa_system_vgpr_workitem_id 0
		.amdhsa_next_free_vgpr 11
		.amdhsa_next_free_sgpr 12
		.amdhsa_named_barrier_count 0
		.amdhsa_reserve_vcc 1
		.amdhsa_float_round_mode_32 0
		.amdhsa_float_round_mode_16_64 0
		.amdhsa_float_denorm_mode_32 3
		.amdhsa_float_denorm_mode_16_64 3
		.amdhsa_fp16_overflow 0
		.amdhsa_memory_ordered 1
		.amdhsa_forward_progress 1
		.amdhsa_inst_pref_size 6
		.amdhsa_round_robin_scheduling 0
		.amdhsa_exception_fp_ieee_invalid_op 0
		.amdhsa_exception_fp_denorm_src 0
		.amdhsa_exception_fp_ieee_div_zero 0
		.amdhsa_exception_fp_ieee_overflow 0
		.amdhsa_exception_fp_ieee_underflow 0
		.amdhsa_exception_fp_ieee_inexact 0
		.amdhsa_exception_int_div_zero 0
	.end_amdhsa_kernel
	.section	.text._ZN2at6native14lpnorm_cleanupIdLNS0_8NormTypeE0EdLb0EdEEvPKT3_NS0_19TensorListAddressesEi,"axG",@progbits,_ZN2at6native14lpnorm_cleanupIdLNS0_8NormTypeE0EdLb0EdEEvPKT3_NS0_19TensorListAddressesEi,comdat
.Lfunc_end148:
	.size	_ZN2at6native14lpnorm_cleanupIdLNS0_8NormTypeE0EdLb0EdEEvPKT3_NS0_19TensorListAddressesEi, .Lfunc_end148-_ZN2at6native14lpnorm_cleanupIdLNS0_8NormTypeE0EdLb0EdEEvPKT3_NS0_19TensorListAddressesEi
                                        ; -- End function
	.set _ZN2at6native14lpnorm_cleanupIdLNS0_8NormTypeE0EdLb0EdEEvPKT3_NS0_19TensorListAddressesEi.num_vgpr, 11
	.set _ZN2at6native14lpnorm_cleanupIdLNS0_8NormTypeE0EdLb0EdEEvPKT3_NS0_19TensorListAddressesEi.num_agpr, 0
	.set _ZN2at6native14lpnorm_cleanupIdLNS0_8NormTypeE0EdLb0EdEEvPKT3_NS0_19TensorListAddressesEi.numbered_sgpr, 12
	.set _ZN2at6native14lpnorm_cleanupIdLNS0_8NormTypeE0EdLb0EdEEvPKT3_NS0_19TensorListAddressesEi.num_named_barrier, 0
	.set _ZN2at6native14lpnorm_cleanupIdLNS0_8NormTypeE0EdLb0EdEEvPKT3_NS0_19TensorListAddressesEi.private_seg_size, 0
	.set _ZN2at6native14lpnorm_cleanupIdLNS0_8NormTypeE0EdLb0EdEEvPKT3_NS0_19TensorListAddressesEi.uses_vcc, 1
	.set _ZN2at6native14lpnorm_cleanupIdLNS0_8NormTypeE0EdLb0EdEEvPKT3_NS0_19TensorListAddressesEi.uses_flat_scratch, 0
	.set _ZN2at6native14lpnorm_cleanupIdLNS0_8NormTypeE0EdLb0EdEEvPKT3_NS0_19TensorListAddressesEi.has_dyn_sized_stack, 0
	.set _ZN2at6native14lpnorm_cleanupIdLNS0_8NormTypeE0EdLb0EdEEvPKT3_NS0_19TensorListAddressesEi.has_recursion, 0
	.set _ZN2at6native14lpnorm_cleanupIdLNS0_8NormTypeE0EdLb0EdEEvPKT3_NS0_19TensorListAddressesEi.has_indirect_call, 0
	.section	.AMDGPU.csdata,"",@progbits
; Kernel info:
; codeLenInByte = 756
; TotalNumSgprs: 14
; NumVgprs: 11
; ScratchSize: 0
; MemoryBound: 0
; FloatMode: 240
; IeeeMode: 1
; LDSByteSize: 4096 bytes/workgroup (compile time only)
; SGPRBlocks: 0
; VGPRBlocks: 0
; NumSGPRsForWavesPerEU: 14
; NumVGPRsForWavesPerEU: 11
; NamedBarCnt: 0
; Occupancy: 16
; WaveLimiterHint : 0
; COMPUTE_PGM_RSRC2:SCRATCH_EN: 0
; COMPUTE_PGM_RSRC2:USER_SGPR: 2
; COMPUTE_PGM_RSRC2:TRAP_HANDLER: 0
; COMPUTE_PGM_RSRC2:TGID_X_EN: 1
; COMPUTE_PGM_RSRC2:TGID_Y_EN: 0
; COMPUTE_PGM_RSRC2:TGID_Z_EN: 0
; COMPUTE_PGM_RSRC2:TIDIG_COMP_CNT: 0
	.section	.text._ZN2at6native14lpnorm_cleanupIdLNS0_8NormTypeE1EdLb0EdEEvPKT3_NS0_19TensorListAddressesEi,"axG",@progbits,_ZN2at6native14lpnorm_cleanupIdLNS0_8NormTypeE1EdLb0EdEEvPKT3_NS0_19TensorListAddressesEi,comdat
	.protected	_ZN2at6native14lpnorm_cleanupIdLNS0_8NormTypeE1EdLb0EdEEvPKT3_NS0_19TensorListAddressesEi ; -- Begin function _ZN2at6native14lpnorm_cleanupIdLNS0_8NormTypeE1EdLb0EdEEvPKT3_NS0_19TensorListAddressesEi
	.globl	_ZN2at6native14lpnorm_cleanupIdLNS0_8NormTypeE1EdLb0EdEEvPKT3_NS0_19TensorListAddressesEi
	.p2align	8
	.type	_ZN2at6native14lpnorm_cleanupIdLNS0_8NormTypeE1EdLb0EdEEvPKT3_NS0_19TensorListAddressesEi,@function
_ZN2at6native14lpnorm_cleanupIdLNS0_8NormTypeE1EdLb0EdEEvPKT3_NS0_19TensorListAddressesEi: ; @_ZN2at6native14lpnorm_cleanupIdLNS0_8NormTypeE1EdLb0EdEEvPKT3_NS0_19TensorListAddressesEi
; %bb.0:
	s_load_b32 s2, s[0:1], 0xc88
	s_bfe_u32 s3, ttmp6, 0x4000c
	s_and_b32 s4, ttmp6, 15
	s_add_co_i32 s3, s3, 1
	v_mov_b64_e32 v[2:3], 0
	s_mul_i32 s3, ttmp9, s3
	s_mov_b32 s5, 0
	s_add_co_i32 s4, s4, s3
	s_getreg_b32 s3, hwreg(HW_REG_IB_STS2, 6, 4)
	s_mov_b32 s9, exec_lo
	s_cmp_eq_u32 s3, 0
	s_cselect_b32 s8, ttmp9, s4
	s_wait_kmcnt 0x0
	v_cmpx_gt_u32_e64 s2, v0
	s_cbranch_execz .LBB149_4
; %bb.1:
	s_clause 0x1
	s_load_b64 s[6:7], s[0:1], 0x0
	s_load_b32 s4, s[0:1], 0xc9c
	v_dual_mov_b32 v1, 0 :: v_dual_lshlrev_b32 v2, 3, v0
	s_mul_i32 s10, s2, s8
	s_mov_b32 s11, s5
	s_ashr_i32 s3, s2, 31
	s_delay_alu instid0(VALU_DEP_1)
	v_mov_b32_e32 v3, v1
	s_lshl_b64 s[10:11], s[10:11], 3
	v_mov_b64_e32 v[6:7], v[0:1]
	s_wait_kmcnt 0x0
	s_add_nc_u64 s[6:7], s[6:7], s[10:11]
	s_and_b32 s4, s4, 0xffff
	v_add_nc_u64_e32 v[4:5], s[6:7], v[2:3]
	v_mov_b64_e32 v[2:3], 0
	s_lshl_b32 s6, s4, 3
	s_mov_b32 s7, s5
	s_mov_b32 s10, s5
.LBB149_2:                              ; =>This Inner Loop Header: Depth=1
	global_load_b64 v[8:9], v[4:5], off
	v_add_nc_u64_e32 v[6:7], s[4:5], v[6:7]
	s_wait_xcnt 0x0
	v_add_nc_u64_e32 v[4:5], s[6:7], v[4:5]
	s_delay_alu instid0(VALU_DEP_2)
	v_cmp_le_u64_e32 vcc_lo, s[2:3], v[6:7]
	s_or_b32 s10, vcc_lo, s10
	s_wait_loadcnt 0x0
	v_add_f64_e32 v[2:3], v[2:3], v[8:9]
	s_and_not1_b32 exec_lo, exec_lo, s10
	s_cbranch_execnz .LBB149_2
; %bb.3:
	s_or_b32 exec_lo, exec_lo, s10
.LBB149_4:
	s_delay_alu instid0(SALU_CYCLE_1) | instskip(SKIP_4) | instid1(VALU_DEP_2)
	s_or_b32 exec_lo, exec_lo, s9
	v_mbcnt_lo_u32_b32 v9, -1, 0
	v_and_b32_e32 v10, 31, v0
	s_mov_b32 s2, exec_lo
	s_barrier_signal -1
	v_lshl_or_b32 v1, v9, 2, 64
	v_cmp_gt_u32_e32 vcc_lo, 24, v9
	s_barrier_wait -1
	ds_bpermute_b32 v4, v1, v2
	ds_bpermute_b32 v5, v1, v3
	s_wait_dscnt 0x0
	v_add_f64_e32 v[2:3], v[2:3], v[4:5]
	v_cndmask_b32_e64 v4, 0, 8, vcc_lo
	v_cmp_gt_u32_e32 vcc_lo, 28, v9
	s_delay_alu instid0(VALU_DEP_2)
	v_add_lshl_u32 v6, v4, v9, 2
	ds_bpermute_b32 v4, v6, v2
	ds_bpermute_b32 v5, v6, v3
	s_wait_dscnt 0x0
	v_add_f64_e32 v[2:3], v[2:3], v[4:5]
	v_cndmask_b32_e64 v4, 0, 4, vcc_lo
	v_cmp_gt_u32_e32 vcc_lo, 30, v9
	s_delay_alu instid0(VALU_DEP_2)
	v_add_lshl_u32 v7, v4, v9, 2
	ds_bpermute_b32 v4, v7, v2
	ds_bpermute_b32 v5, v7, v3
	s_wait_dscnt 0x0
	v_add_f64_e32 v[2:3], v[2:3], v[4:5]
	v_cndmask_b32_e64 v4, 0, 2, vcc_lo
	v_cmp_ne_u32_e32 vcc_lo, 31, v9
	s_delay_alu instid0(VALU_DEP_2)
	v_add_lshl_u32 v8, v4, v9, 2
	ds_bpermute_b32 v4, v8, v2
	ds_bpermute_b32 v5, v8, v3
	s_wait_dscnt 0x0
	v_add_f64_e32 v[2:3], v[2:3], v[4:5]
	v_add_co_ci_u32_e64 v4, null, 0, v9, vcc_lo
	s_delay_alu instid0(VALU_DEP_1)
	v_lshlrev_b32_e32 v9, 2, v4
	ds_bpermute_b32 v4, v9, v2
	ds_bpermute_b32 v5, v9, v3
	v_cmpx_eq_u32_e32 0, v10
	s_cbranch_execz .LBB149_6
; %bb.5:
	s_wait_dscnt 0x0
	v_add_f64_e32 v[2:3], v[2:3], v[4:5]
	v_lshrrev_b32_e32 v4, 2, v0
	ds_store_b64 v4, v[2:3]
.LBB149_6:
	s_or_b32 exec_lo, exec_lo, s2
	s_wait_dscnt 0x0
	s_barrier_signal -1
	s_barrier_wait -1
	s_load_b32 s2, s[0:1], 0xc9c
	v_mov_b64_e32 v[2:3], 0
	s_wait_kmcnt 0x0
	s_bfe_u32 s2, s2, 0xb0005
	s_delay_alu instid0(SALU_CYCLE_1)
	v_cmp_gt_u32_e32 vcc_lo, s2, v0
	s_and_saveexec_b32 s2, vcc_lo
; %bb.7:
	v_lshlrev_b32_e32 v2, 3, v10
	ds_load_b64 v[2:3], v2
; %bb.8:
	s_or_b32 exec_lo, exec_lo, s2
	s_delay_alu instid0(SALU_CYCLE_1)
	s_mov_b32 s2, exec_lo
	v_cmpx_gt_u32_e32 32, v0
	s_cbranch_execz .LBB149_10
; %bb.9:
	s_wait_dscnt 0x0
	ds_bpermute_b32 v4, v1, v2
	ds_bpermute_b32 v5, v1, v3
	s_wait_dscnt 0x0
	v_add_f64_e32 v[2:3], v[2:3], v[4:5]
	ds_bpermute_b32 v4, v6, v2
	ds_bpermute_b32 v5, v6, v3
	s_wait_dscnt 0x0
	v_add_f64_e32 v[2:3], v[2:3], v[4:5]
	;; [unrolled: 4-line block ×5, first 2 shown]
.LBB149_10:
	s_or_b32 exec_lo, exec_lo, s2
	s_delay_alu instid0(SALU_CYCLE_1)
	s_mov_b32 s2, exec_lo
	v_cmpx_eq_u32_e32 0, v0
	s_cbranch_execz .LBB149_12
; %bb.11:
	s_load_b64 s[0:1], s[0:1], s8 offset:0x8 scale_offset
	v_mov_b32_e32 v0, 0
	s_wait_dscnt 0x0
	s_wait_kmcnt 0x0
	global_store_b64 v0, v[2:3], s[0:1]
.LBB149_12:
	s_endpgm
	.section	.rodata,"a",@progbits
	.p2align	6, 0x0
	.amdhsa_kernel _ZN2at6native14lpnorm_cleanupIdLNS0_8NormTypeE1EdLb0EdEEvPKT3_NS0_19TensorListAddressesEi
		.amdhsa_group_segment_fixed_size 4096
		.amdhsa_private_segment_fixed_size 0
		.amdhsa_kernarg_size 3472
		.amdhsa_user_sgpr_count 2
		.amdhsa_user_sgpr_dispatch_ptr 0
		.amdhsa_user_sgpr_queue_ptr 0
		.amdhsa_user_sgpr_kernarg_segment_ptr 1
		.amdhsa_user_sgpr_dispatch_id 0
		.amdhsa_user_sgpr_kernarg_preload_length 0
		.amdhsa_user_sgpr_kernarg_preload_offset 0
		.amdhsa_user_sgpr_private_segment_size 0
		.amdhsa_wavefront_size32 1
		.amdhsa_uses_dynamic_stack 0
		.amdhsa_enable_private_segment 0
		.amdhsa_system_sgpr_workgroup_id_x 1
		.amdhsa_system_sgpr_workgroup_id_y 0
		.amdhsa_system_sgpr_workgroup_id_z 0
		.amdhsa_system_sgpr_workgroup_info 0
		.amdhsa_system_vgpr_workitem_id 0
		.amdhsa_next_free_vgpr 11
		.amdhsa_next_free_sgpr 12
		.amdhsa_named_barrier_count 0
		.amdhsa_reserve_vcc 1
		.amdhsa_float_round_mode_32 0
		.amdhsa_float_round_mode_16_64 0
		.amdhsa_float_denorm_mode_32 3
		.amdhsa_float_denorm_mode_16_64 3
		.amdhsa_fp16_overflow 0
		.amdhsa_memory_ordered 1
		.amdhsa_forward_progress 1
		.amdhsa_inst_pref_size 6
		.amdhsa_round_robin_scheduling 0
		.amdhsa_exception_fp_ieee_invalid_op 0
		.amdhsa_exception_fp_denorm_src 0
		.amdhsa_exception_fp_ieee_div_zero 0
		.amdhsa_exception_fp_ieee_overflow 0
		.amdhsa_exception_fp_ieee_underflow 0
		.amdhsa_exception_fp_ieee_inexact 0
		.amdhsa_exception_int_div_zero 0
	.end_amdhsa_kernel
	.section	.text._ZN2at6native14lpnorm_cleanupIdLNS0_8NormTypeE1EdLb0EdEEvPKT3_NS0_19TensorListAddressesEi,"axG",@progbits,_ZN2at6native14lpnorm_cleanupIdLNS0_8NormTypeE1EdLb0EdEEvPKT3_NS0_19TensorListAddressesEi,comdat
.Lfunc_end149:
	.size	_ZN2at6native14lpnorm_cleanupIdLNS0_8NormTypeE1EdLb0EdEEvPKT3_NS0_19TensorListAddressesEi, .Lfunc_end149-_ZN2at6native14lpnorm_cleanupIdLNS0_8NormTypeE1EdLb0EdEEvPKT3_NS0_19TensorListAddressesEi
                                        ; -- End function
	.set _ZN2at6native14lpnorm_cleanupIdLNS0_8NormTypeE1EdLb0EdEEvPKT3_NS0_19TensorListAddressesEi.num_vgpr, 11
	.set _ZN2at6native14lpnorm_cleanupIdLNS0_8NormTypeE1EdLb0EdEEvPKT3_NS0_19TensorListAddressesEi.num_agpr, 0
	.set _ZN2at6native14lpnorm_cleanupIdLNS0_8NormTypeE1EdLb0EdEEvPKT3_NS0_19TensorListAddressesEi.numbered_sgpr, 12
	.set _ZN2at6native14lpnorm_cleanupIdLNS0_8NormTypeE1EdLb0EdEEvPKT3_NS0_19TensorListAddressesEi.num_named_barrier, 0
	.set _ZN2at6native14lpnorm_cleanupIdLNS0_8NormTypeE1EdLb0EdEEvPKT3_NS0_19TensorListAddressesEi.private_seg_size, 0
	.set _ZN2at6native14lpnorm_cleanupIdLNS0_8NormTypeE1EdLb0EdEEvPKT3_NS0_19TensorListAddressesEi.uses_vcc, 1
	.set _ZN2at6native14lpnorm_cleanupIdLNS0_8NormTypeE1EdLb0EdEEvPKT3_NS0_19TensorListAddressesEi.uses_flat_scratch, 0
	.set _ZN2at6native14lpnorm_cleanupIdLNS0_8NormTypeE1EdLb0EdEEvPKT3_NS0_19TensorListAddressesEi.has_dyn_sized_stack, 0
	.set _ZN2at6native14lpnorm_cleanupIdLNS0_8NormTypeE1EdLb0EdEEvPKT3_NS0_19TensorListAddressesEi.has_recursion, 0
	.set _ZN2at6native14lpnorm_cleanupIdLNS0_8NormTypeE1EdLb0EdEEvPKT3_NS0_19TensorListAddressesEi.has_indirect_call, 0
	.section	.AMDGPU.csdata,"",@progbits
; Kernel info:
; codeLenInByte = 756
; TotalNumSgprs: 14
; NumVgprs: 11
; ScratchSize: 0
; MemoryBound: 0
; FloatMode: 240
; IeeeMode: 1
; LDSByteSize: 4096 bytes/workgroup (compile time only)
; SGPRBlocks: 0
; VGPRBlocks: 0
; NumSGPRsForWavesPerEU: 14
; NumVGPRsForWavesPerEU: 11
; NamedBarCnt: 0
; Occupancy: 16
; WaveLimiterHint : 0
; COMPUTE_PGM_RSRC2:SCRATCH_EN: 0
; COMPUTE_PGM_RSRC2:USER_SGPR: 2
; COMPUTE_PGM_RSRC2:TRAP_HANDLER: 0
; COMPUTE_PGM_RSRC2:TGID_X_EN: 1
; COMPUTE_PGM_RSRC2:TGID_Y_EN: 0
; COMPUTE_PGM_RSRC2:TGID_Z_EN: 0
; COMPUTE_PGM_RSRC2:TIDIG_COMP_CNT: 0
	.section	.text._ZN2at6native14lpnorm_cleanupIdLNS0_8NormTypeE2EdLb0EdEEvPKT3_NS0_19TensorListAddressesEi,"axG",@progbits,_ZN2at6native14lpnorm_cleanupIdLNS0_8NormTypeE2EdLb0EdEEvPKT3_NS0_19TensorListAddressesEi,comdat
	.protected	_ZN2at6native14lpnorm_cleanupIdLNS0_8NormTypeE2EdLb0EdEEvPKT3_NS0_19TensorListAddressesEi ; -- Begin function _ZN2at6native14lpnorm_cleanupIdLNS0_8NormTypeE2EdLb0EdEEvPKT3_NS0_19TensorListAddressesEi
	.globl	_ZN2at6native14lpnorm_cleanupIdLNS0_8NormTypeE2EdLb0EdEEvPKT3_NS0_19TensorListAddressesEi
	.p2align	8
	.type	_ZN2at6native14lpnorm_cleanupIdLNS0_8NormTypeE2EdLb0EdEEvPKT3_NS0_19TensorListAddressesEi,@function
_ZN2at6native14lpnorm_cleanupIdLNS0_8NormTypeE2EdLb0EdEEvPKT3_NS0_19TensorListAddressesEi: ; @_ZN2at6native14lpnorm_cleanupIdLNS0_8NormTypeE2EdLb0EdEEvPKT3_NS0_19TensorListAddressesEi
; %bb.0:
	s_load_b32 s2, s[0:1], 0xc88
	s_bfe_u32 s3, ttmp6, 0x4000c
	s_and_b32 s4, ttmp6, 15
	s_add_co_i32 s3, s3, 1
	v_mov_b64_e32 v[2:3], 0
	s_mul_i32 s3, ttmp9, s3
	s_mov_b32 s5, 0
	s_add_co_i32 s4, s4, s3
	s_getreg_b32 s3, hwreg(HW_REG_IB_STS2, 6, 4)
	s_mov_b32 s9, exec_lo
	s_cmp_eq_u32 s3, 0
	s_cselect_b32 s8, ttmp9, s4
	s_wait_kmcnt 0x0
	v_cmpx_gt_u32_e64 s2, v0
	s_cbranch_execz .LBB150_4
; %bb.1:
	s_clause 0x1
	s_load_b64 s[6:7], s[0:1], 0x0
	s_load_b32 s4, s[0:1], 0xc9c
	v_dual_mov_b32 v1, 0 :: v_dual_lshlrev_b32 v2, 3, v0
	s_mul_i32 s10, s2, s8
	s_mov_b32 s11, s5
	s_ashr_i32 s3, s2, 31
	s_delay_alu instid0(VALU_DEP_1)
	v_mov_b32_e32 v3, v1
	s_lshl_b64 s[10:11], s[10:11], 3
	v_mov_b64_e32 v[6:7], v[0:1]
	s_wait_kmcnt 0x0
	s_add_nc_u64 s[6:7], s[6:7], s[10:11]
	s_and_b32 s4, s4, 0xffff
	v_add_nc_u64_e32 v[4:5], s[6:7], v[2:3]
	v_mov_b64_e32 v[2:3], 0
	s_lshl_b32 s6, s4, 3
	s_mov_b32 s7, s5
	s_mov_b32 s10, s5
.LBB150_2:                              ; =>This Inner Loop Header: Depth=1
	global_load_b64 v[8:9], v[4:5], off
	v_add_nc_u64_e32 v[6:7], s[4:5], v[6:7]
	s_wait_xcnt 0x0
	v_add_nc_u64_e32 v[4:5], s[6:7], v[4:5]
	s_delay_alu instid0(VALU_DEP_2)
	v_cmp_le_u64_e32 vcc_lo, s[2:3], v[6:7]
	s_or_b32 s10, vcc_lo, s10
	s_wait_loadcnt 0x0
	v_add_f64_e32 v[2:3], v[2:3], v[8:9]
	s_and_not1_b32 exec_lo, exec_lo, s10
	s_cbranch_execnz .LBB150_2
; %bb.3:
	s_or_b32 exec_lo, exec_lo, s10
.LBB150_4:
	s_delay_alu instid0(SALU_CYCLE_1) | instskip(SKIP_4) | instid1(VALU_DEP_2)
	s_or_b32 exec_lo, exec_lo, s9
	v_mbcnt_lo_u32_b32 v9, -1, 0
	v_and_b32_e32 v10, 31, v0
	s_mov_b32 s2, exec_lo
	s_barrier_signal -1
	v_lshl_or_b32 v1, v9, 2, 64
	v_cmp_gt_u32_e32 vcc_lo, 24, v9
	s_barrier_wait -1
	ds_bpermute_b32 v4, v1, v2
	ds_bpermute_b32 v5, v1, v3
	s_wait_dscnt 0x0
	v_add_f64_e32 v[2:3], v[2:3], v[4:5]
	v_cndmask_b32_e64 v4, 0, 8, vcc_lo
	v_cmp_gt_u32_e32 vcc_lo, 28, v9
	s_delay_alu instid0(VALU_DEP_2)
	v_add_lshl_u32 v6, v4, v9, 2
	ds_bpermute_b32 v4, v6, v2
	ds_bpermute_b32 v5, v6, v3
	s_wait_dscnt 0x0
	v_add_f64_e32 v[2:3], v[2:3], v[4:5]
	v_cndmask_b32_e64 v4, 0, 4, vcc_lo
	v_cmp_gt_u32_e32 vcc_lo, 30, v9
	s_delay_alu instid0(VALU_DEP_2)
	v_add_lshl_u32 v7, v4, v9, 2
	ds_bpermute_b32 v4, v7, v2
	ds_bpermute_b32 v5, v7, v3
	s_wait_dscnt 0x0
	v_add_f64_e32 v[2:3], v[2:3], v[4:5]
	v_cndmask_b32_e64 v4, 0, 2, vcc_lo
	v_cmp_ne_u32_e32 vcc_lo, 31, v9
	s_delay_alu instid0(VALU_DEP_2)
	v_add_lshl_u32 v8, v4, v9, 2
	ds_bpermute_b32 v4, v8, v2
	ds_bpermute_b32 v5, v8, v3
	s_wait_dscnt 0x0
	v_add_f64_e32 v[2:3], v[2:3], v[4:5]
	v_add_co_ci_u32_e64 v4, null, 0, v9, vcc_lo
	s_delay_alu instid0(VALU_DEP_1)
	v_lshlrev_b32_e32 v9, 2, v4
	ds_bpermute_b32 v4, v9, v2
	ds_bpermute_b32 v5, v9, v3
	v_cmpx_eq_u32_e32 0, v10
	s_cbranch_execz .LBB150_6
; %bb.5:
	s_wait_dscnt 0x0
	v_add_f64_e32 v[2:3], v[2:3], v[4:5]
	v_lshrrev_b32_e32 v4, 2, v0
	ds_store_b64 v4, v[2:3]
.LBB150_6:
	s_or_b32 exec_lo, exec_lo, s2
	s_wait_dscnt 0x0
	s_barrier_signal -1
	s_barrier_wait -1
	s_load_b32 s2, s[0:1], 0xc9c
	v_mov_b64_e32 v[2:3], 0
	s_wait_kmcnt 0x0
	s_bfe_u32 s2, s2, 0xb0005
	s_delay_alu instid0(SALU_CYCLE_1)
	v_cmp_gt_u32_e32 vcc_lo, s2, v0
	s_and_saveexec_b32 s2, vcc_lo
; %bb.7:
	v_lshlrev_b32_e32 v2, 3, v10
	ds_load_b64 v[2:3], v2
; %bb.8:
	s_or_b32 exec_lo, exec_lo, s2
	s_delay_alu instid0(SALU_CYCLE_1)
	s_mov_b32 s2, exec_lo
	v_cmpx_gt_u32_e32 32, v0
	s_cbranch_execz .LBB150_10
; %bb.9:
	s_wait_dscnt 0x0
	ds_bpermute_b32 v4, v1, v2
	ds_bpermute_b32 v5, v1, v3
	s_wait_dscnt 0x0
	v_add_f64_e32 v[2:3], v[2:3], v[4:5]
	ds_bpermute_b32 v4, v6, v2
	ds_bpermute_b32 v5, v6, v3
	s_wait_dscnt 0x0
	v_add_f64_e32 v[2:3], v[2:3], v[4:5]
	;; [unrolled: 4-line block ×5, first 2 shown]
.LBB150_10:
	s_or_b32 exec_lo, exec_lo, s2
	s_delay_alu instid0(SALU_CYCLE_1)
	s_mov_b32 s2, exec_lo
	v_cmpx_eq_u32_e32 0, v0
	s_cbranch_execz .LBB150_12
; %bb.11:
	s_load_b64 s[0:1], s[0:1], s8 offset:0x8 scale_offset
	v_mov_b32_e32 v0, 0
	s_wait_dscnt 0x0
	s_wait_kmcnt 0x0
	global_store_b64 v0, v[2:3], s[0:1]
.LBB150_12:
	s_endpgm
	.section	.rodata,"a",@progbits
	.p2align	6, 0x0
	.amdhsa_kernel _ZN2at6native14lpnorm_cleanupIdLNS0_8NormTypeE2EdLb0EdEEvPKT3_NS0_19TensorListAddressesEi
		.amdhsa_group_segment_fixed_size 4096
		.amdhsa_private_segment_fixed_size 0
		.amdhsa_kernarg_size 3472
		.amdhsa_user_sgpr_count 2
		.amdhsa_user_sgpr_dispatch_ptr 0
		.amdhsa_user_sgpr_queue_ptr 0
		.amdhsa_user_sgpr_kernarg_segment_ptr 1
		.amdhsa_user_sgpr_dispatch_id 0
		.amdhsa_user_sgpr_kernarg_preload_length 0
		.amdhsa_user_sgpr_kernarg_preload_offset 0
		.amdhsa_user_sgpr_private_segment_size 0
		.amdhsa_wavefront_size32 1
		.amdhsa_uses_dynamic_stack 0
		.amdhsa_enable_private_segment 0
		.amdhsa_system_sgpr_workgroup_id_x 1
		.amdhsa_system_sgpr_workgroup_id_y 0
		.amdhsa_system_sgpr_workgroup_id_z 0
		.amdhsa_system_sgpr_workgroup_info 0
		.amdhsa_system_vgpr_workitem_id 0
		.amdhsa_next_free_vgpr 11
		.amdhsa_next_free_sgpr 12
		.amdhsa_named_barrier_count 0
		.amdhsa_reserve_vcc 1
		.amdhsa_float_round_mode_32 0
		.amdhsa_float_round_mode_16_64 0
		.amdhsa_float_denorm_mode_32 3
		.amdhsa_float_denorm_mode_16_64 3
		.amdhsa_fp16_overflow 0
		.amdhsa_memory_ordered 1
		.amdhsa_forward_progress 1
		.amdhsa_inst_pref_size 6
		.amdhsa_round_robin_scheduling 0
		.amdhsa_exception_fp_ieee_invalid_op 0
		.amdhsa_exception_fp_denorm_src 0
		.amdhsa_exception_fp_ieee_div_zero 0
		.amdhsa_exception_fp_ieee_overflow 0
		.amdhsa_exception_fp_ieee_underflow 0
		.amdhsa_exception_fp_ieee_inexact 0
		.amdhsa_exception_int_div_zero 0
	.end_amdhsa_kernel
	.section	.text._ZN2at6native14lpnorm_cleanupIdLNS0_8NormTypeE2EdLb0EdEEvPKT3_NS0_19TensorListAddressesEi,"axG",@progbits,_ZN2at6native14lpnorm_cleanupIdLNS0_8NormTypeE2EdLb0EdEEvPKT3_NS0_19TensorListAddressesEi,comdat
.Lfunc_end150:
	.size	_ZN2at6native14lpnorm_cleanupIdLNS0_8NormTypeE2EdLb0EdEEvPKT3_NS0_19TensorListAddressesEi, .Lfunc_end150-_ZN2at6native14lpnorm_cleanupIdLNS0_8NormTypeE2EdLb0EdEEvPKT3_NS0_19TensorListAddressesEi
                                        ; -- End function
	.set _ZN2at6native14lpnorm_cleanupIdLNS0_8NormTypeE2EdLb0EdEEvPKT3_NS0_19TensorListAddressesEi.num_vgpr, 11
	.set _ZN2at6native14lpnorm_cleanupIdLNS0_8NormTypeE2EdLb0EdEEvPKT3_NS0_19TensorListAddressesEi.num_agpr, 0
	.set _ZN2at6native14lpnorm_cleanupIdLNS0_8NormTypeE2EdLb0EdEEvPKT3_NS0_19TensorListAddressesEi.numbered_sgpr, 12
	.set _ZN2at6native14lpnorm_cleanupIdLNS0_8NormTypeE2EdLb0EdEEvPKT3_NS0_19TensorListAddressesEi.num_named_barrier, 0
	.set _ZN2at6native14lpnorm_cleanupIdLNS0_8NormTypeE2EdLb0EdEEvPKT3_NS0_19TensorListAddressesEi.private_seg_size, 0
	.set _ZN2at6native14lpnorm_cleanupIdLNS0_8NormTypeE2EdLb0EdEEvPKT3_NS0_19TensorListAddressesEi.uses_vcc, 1
	.set _ZN2at6native14lpnorm_cleanupIdLNS0_8NormTypeE2EdLb0EdEEvPKT3_NS0_19TensorListAddressesEi.uses_flat_scratch, 0
	.set _ZN2at6native14lpnorm_cleanupIdLNS0_8NormTypeE2EdLb0EdEEvPKT3_NS0_19TensorListAddressesEi.has_dyn_sized_stack, 0
	.set _ZN2at6native14lpnorm_cleanupIdLNS0_8NormTypeE2EdLb0EdEEvPKT3_NS0_19TensorListAddressesEi.has_recursion, 0
	.set _ZN2at6native14lpnorm_cleanupIdLNS0_8NormTypeE2EdLb0EdEEvPKT3_NS0_19TensorListAddressesEi.has_indirect_call, 0
	.section	.AMDGPU.csdata,"",@progbits
; Kernel info:
; codeLenInByte = 756
; TotalNumSgprs: 14
; NumVgprs: 11
; ScratchSize: 0
; MemoryBound: 0
; FloatMode: 240
; IeeeMode: 1
; LDSByteSize: 4096 bytes/workgroup (compile time only)
; SGPRBlocks: 0
; VGPRBlocks: 0
; NumSGPRsForWavesPerEU: 14
; NumVGPRsForWavesPerEU: 11
; NamedBarCnt: 0
; Occupancy: 16
; WaveLimiterHint : 0
; COMPUTE_PGM_RSRC2:SCRATCH_EN: 0
; COMPUTE_PGM_RSRC2:USER_SGPR: 2
; COMPUTE_PGM_RSRC2:TRAP_HANDLER: 0
; COMPUTE_PGM_RSRC2:TGID_X_EN: 1
; COMPUTE_PGM_RSRC2:TGID_Y_EN: 0
; COMPUTE_PGM_RSRC2:TGID_Z_EN: 0
; COMPUTE_PGM_RSRC2:TIDIG_COMP_CNT: 0
	.section	.text._ZN2at6native14lpnorm_cleanupIdLNS0_8NormTypeE0EfLb0EfEEvPKT3_NS0_19TensorListAddressesEi,"axG",@progbits,_ZN2at6native14lpnorm_cleanupIdLNS0_8NormTypeE0EfLb0EfEEvPKT3_NS0_19TensorListAddressesEi,comdat
	.protected	_ZN2at6native14lpnorm_cleanupIdLNS0_8NormTypeE0EfLb0EfEEvPKT3_NS0_19TensorListAddressesEi ; -- Begin function _ZN2at6native14lpnorm_cleanupIdLNS0_8NormTypeE0EfLb0EfEEvPKT3_NS0_19TensorListAddressesEi
	.globl	_ZN2at6native14lpnorm_cleanupIdLNS0_8NormTypeE0EfLb0EfEEvPKT3_NS0_19TensorListAddressesEi
	.p2align	8
	.type	_ZN2at6native14lpnorm_cleanupIdLNS0_8NormTypeE0EfLb0EfEEvPKT3_NS0_19TensorListAddressesEi,@function
_ZN2at6native14lpnorm_cleanupIdLNS0_8NormTypeE0EfLb0EfEEvPKT3_NS0_19TensorListAddressesEi: ; @_ZN2at6native14lpnorm_cleanupIdLNS0_8NormTypeE0EfLb0EfEEvPKT3_NS0_19TensorListAddressesEi
; %bb.0:
	s_load_b32 s2, s[0:1], 0xc88
	s_bfe_u32 s3, ttmp6, 0x4000c
	s_and_b32 s4, ttmp6, 15
	s_add_co_i32 s3, s3, 1
	s_getreg_b32 s5, hwreg(HW_REG_IB_STS2, 6, 4)
	s_mul_i32 s3, ttmp9, s3
	v_mov_b32_e32 v1, 0
	s_add_co_i32 s4, s4, s3
	s_cmp_eq_u32 s5, 0
	s_mov_b32 s5, 0
	s_cselect_b32 s8, ttmp9, s4
	s_mov_b32 s9, exec_lo
	s_wait_kmcnt 0x0
	v_cmpx_gt_u32_e64 s2, v0
	s_cbranch_execz .LBB151_4
; %bb.1:
	s_clause 0x1
	s_load_b64 s[6:7], s[0:1], 0x0
	s_load_b32 s4, s[0:1], 0xc9c
	v_dual_mov_b32 v1, 0 :: v_dual_lshlrev_b32 v2, 2, v0
	s_mul_i32 s10, s2, s8
	s_mov_b32 s11, s5
	s_ashr_i32 s3, s2, 31
	s_delay_alu instid0(VALU_DEP_1)
	v_mov_b32_e32 v3, v1
	s_lshl_b64 s[10:11], s[10:11], 2
	v_mov_b64_e32 v[4:5], v[0:1]
	s_wait_kmcnt 0x0
	s_add_nc_u64 s[6:7], s[6:7], s[10:11]
	s_and_b32 s4, s4, 0xffff
	v_add_nc_u64_e32 v[2:3], s[6:7], v[2:3]
	s_lshl_b32 s6, s4, 2
	s_mov_b32 s7, s5
	s_mov_b32 s10, s5
.LBB151_2:                              ; =>This Inner Loop Header: Depth=1
	global_load_b32 v6, v[2:3], off
	v_add_nc_u64_e32 v[4:5], s[4:5], v[4:5]
	s_wait_xcnt 0x0
	v_add_nc_u64_e32 v[2:3], s[6:7], v[2:3]
	s_delay_alu instid0(VALU_DEP_2)
	v_cmp_le_u64_e32 vcc_lo, s[2:3], v[4:5]
	s_or_b32 s10, vcc_lo, s10
	s_wait_loadcnt 0x0
	v_add_f32_e32 v1, v1, v6
	s_and_not1_b32 exec_lo, exec_lo, s10
	s_cbranch_execnz .LBB151_2
; %bb.3:
	s_or_b32 exec_lo, exec_lo, s10
.LBB151_4:
	s_delay_alu instid0(SALU_CYCLE_1) | instskip(SKIP_4) | instid1(VALU_DEP_1)
	s_or_b32 exec_lo, exec_lo, s9
	v_mbcnt_lo_u32_b32 v5, -1, 0
	s_mov_b32 s2, exec_lo
	s_barrier_signal -1
	s_barrier_wait -1
	v_lshl_or_b32 v2, v5, 2, 64
	v_cmp_gt_u32_e32 vcc_lo, 24, v5
	ds_bpermute_b32 v4, v2, v1
	v_cndmask_b32_e64 v3, 0, 8, vcc_lo
	v_cmp_gt_u32_e32 vcc_lo, 28, v5
	s_delay_alu instid0(VALU_DEP_2)
	v_add_lshl_u32 v3, v3, v5, 2
	s_wait_dscnt 0x0
	v_add_f32_e32 v4, v1, v4
	v_cndmask_b32_e64 v1, 0, 4, vcc_lo
	v_cmp_gt_u32_e32 vcc_lo, 30, v5
	ds_bpermute_b32 v6, v3, v4
	v_add_lshl_u32 v1, v1, v5, 2
	s_wait_dscnt 0x0
	v_add_f32_e32 v6, v4, v6
	v_cndmask_b32_e64 v4, 0, 2, vcc_lo
	v_cmp_ne_u32_e32 vcc_lo, 31, v5
	s_delay_alu instid0(VALU_DEP_2) | instskip(SKIP_1) | instid1(VALU_DEP_1)
	v_add_lshl_u32 v4, v4, v5, 2
	v_add_co_ci_u32_e64 v5, null, 0, v5, vcc_lo
	v_lshlrev_b32_e32 v5, 2, v5
	ds_bpermute_b32 v7, v1, v6
	s_wait_dscnt 0x0
	v_add_f32_e32 v6, v6, v7
	ds_bpermute_b32 v7, v4, v6
	s_wait_dscnt 0x0
	v_dual_add_f32 v7, v6, v7 :: v_dual_bitop2_b32 v6, 31, v0 bitop3:0x40
	ds_bpermute_b32 v8, v5, v7
	v_cmpx_eq_u32_e32 0, v6
	s_cbranch_execz .LBB151_6
; %bb.5:
	s_wait_dscnt 0x0
	v_add_f32_e32 v7, v7, v8
	v_lshrrev_b32_e32 v8, 3, v0
	ds_store_b32 v8, v7
.LBB151_6:
	s_or_b32 exec_lo, exec_lo, s2
	s_wait_dscnt 0x0
	s_barrier_signal -1
	s_barrier_wait -1
	s_load_b32 s2, s[0:1], 0xc9c
	v_mov_b32_e32 v7, 0
	s_wait_kmcnt 0x0
	s_bfe_u32 s2, s2, 0xb0005
	s_delay_alu instid0(SALU_CYCLE_1)
	v_cmp_gt_u32_e32 vcc_lo, s2, v0
	s_and_saveexec_b32 s2, vcc_lo
; %bb.7:
	v_lshlrev_b32_e32 v6, 2, v6
	ds_load_b32 v7, v6
; %bb.8:
	s_or_b32 exec_lo, exec_lo, s2
	s_delay_alu instid0(SALU_CYCLE_1)
	s_mov_b32 s2, exec_lo
	v_cmpx_gt_u32_e32 32, v0
	s_cbranch_execz .LBB151_10
; %bb.9:
	s_wait_dscnt 0x0
	ds_bpermute_b32 v2, v2, v7
	s_wait_dscnt 0x0
	v_add_f32_e32 v2, v7, v2
	ds_bpermute_b32 v3, v3, v2
	s_wait_dscnt 0x0
	v_add_f32_e32 v2, v2, v3
	;; [unrolled: 3-line block ×5, first 2 shown]
.LBB151_10:
	s_or_b32 exec_lo, exec_lo, s2
	s_delay_alu instid0(SALU_CYCLE_1)
	s_mov_b32 s2, exec_lo
	v_cmpx_eq_u32_e32 0, v0
	s_cbranch_execz .LBB151_12
; %bb.11:
	s_load_b64 s[0:1], s[0:1], s8 offset:0x8 scale_offset
	v_mov_b32_e32 v0, 0
	s_wait_dscnt 0x0
	s_wait_kmcnt 0x0
	global_store_b32 v0, v7, s[0:1]
.LBB151_12:
	s_endpgm
	.section	.rodata,"a",@progbits
	.p2align	6, 0x0
	.amdhsa_kernel _ZN2at6native14lpnorm_cleanupIdLNS0_8NormTypeE0EfLb0EfEEvPKT3_NS0_19TensorListAddressesEi
		.amdhsa_group_segment_fixed_size 2048
		.amdhsa_private_segment_fixed_size 0
		.amdhsa_kernarg_size 3472
		.amdhsa_user_sgpr_count 2
		.amdhsa_user_sgpr_dispatch_ptr 0
		.amdhsa_user_sgpr_queue_ptr 0
		.amdhsa_user_sgpr_kernarg_segment_ptr 1
		.amdhsa_user_sgpr_dispatch_id 0
		.amdhsa_user_sgpr_kernarg_preload_length 0
		.amdhsa_user_sgpr_kernarg_preload_offset 0
		.amdhsa_user_sgpr_private_segment_size 0
		.amdhsa_wavefront_size32 1
		.amdhsa_uses_dynamic_stack 0
		.amdhsa_enable_private_segment 0
		.amdhsa_system_sgpr_workgroup_id_x 1
		.amdhsa_system_sgpr_workgroup_id_y 0
		.amdhsa_system_sgpr_workgroup_id_z 0
		.amdhsa_system_sgpr_workgroup_info 0
		.amdhsa_system_vgpr_workitem_id 0
		.amdhsa_next_free_vgpr 9
		.amdhsa_next_free_sgpr 12
		.amdhsa_named_barrier_count 0
		.amdhsa_reserve_vcc 1
		.amdhsa_float_round_mode_32 0
		.amdhsa_float_round_mode_16_64 0
		.amdhsa_float_denorm_mode_32 3
		.amdhsa_float_denorm_mode_16_64 3
		.amdhsa_fp16_overflow 0
		.amdhsa_memory_ordered 1
		.amdhsa_forward_progress 1
		.amdhsa_inst_pref_size 6
		.amdhsa_round_robin_scheduling 0
		.amdhsa_exception_fp_ieee_invalid_op 0
		.amdhsa_exception_fp_denorm_src 0
		.amdhsa_exception_fp_ieee_div_zero 0
		.amdhsa_exception_fp_ieee_overflow 0
		.amdhsa_exception_fp_ieee_underflow 0
		.amdhsa_exception_fp_ieee_inexact 0
		.amdhsa_exception_int_div_zero 0
	.end_amdhsa_kernel
	.section	.text._ZN2at6native14lpnorm_cleanupIdLNS0_8NormTypeE0EfLb0EfEEvPKT3_NS0_19TensorListAddressesEi,"axG",@progbits,_ZN2at6native14lpnorm_cleanupIdLNS0_8NormTypeE0EfLb0EfEEvPKT3_NS0_19TensorListAddressesEi,comdat
.Lfunc_end151:
	.size	_ZN2at6native14lpnorm_cleanupIdLNS0_8NormTypeE0EfLb0EfEEvPKT3_NS0_19TensorListAddressesEi, .Lfunc_end151-_ZN2at6native14lpnorm_cleanupIdLNS0_8NormTypeE0EfLb0EfEEvPKT3_NS0_19TensorListAddressesEi
                                        ; -- End function
	.set _ZN2at6native14lpnorm_cleanupIdLNS0_8NormTypeE0EfLb0EfEEvPKT3_NS0_19TensorListAddressesEi.num_vgpr, 9
	.set _ZN2at6native14lpnorm_cleanupIdLNS0_8NormTypeE0EfLb0EfEEvPKT3_NS0_19TensorListAddressesEi.num_agpr, 0
	.set _ZN2at6native14lpnorm_cleanupIdLNS0_8NormTypeE0EfLb0EfEEvPKT3_NS0_19TensorListAddressesEi.numbered_sgpr, 12
	.set _ZN2at6native14lpnorm_cleanupIdLNS0_8NormTypeE0EfLb0EfEEvPKT3_NS0_19TensorListAddressesEi.num_named_barrier, 0
	.set _ZN2at6native14lpnorm_cleanupIdLNS0_8NormTypeE0EfLb0EfEEvPKT3_NS0_19TensorListAddressesEi.private_seg_size, 0
	.set _ZN2at6native14lpnorm_cleanupIdLNS0_8NormTypeE0EfLb0EfEEvPKT3_NS0_19TensorListAddressesEi.uses_vcc, 1
	.set _ZN2at6native14lpnorm_cleanupIdLNS0_8NormTypeE0EfLb0EfEEvPKT3_NS0_19TensorListAddressesEi.uses_flat_scratch, 0
	.set _ZN2at6native14lpnorm_cleanupIdLNS0_8NormTypeE0EfLb0EfEEvPKT3_NS0_19TensorListAddressesEi.has_dyn_sized_stack, 0
	.set _ZN2at6native14lpnorm_cleanupIdLNS0_8NormTypeE0EfLb0EfEEvPKT3_NS0_19TensorListAddressesEi.has_recursion, 0
	.set _ZN2at6native14lpnorm_cleanupIdLNS0_8NormTypeE0EfLb0EfEEvPKT3_NS0_19TensorListAddressesEi.has_indirect_call, 0
	.section	.AMDGPU.csdata,"",@progbits
; Kernel info:
; codeLenInByte = 668
; TotalNumSgprs: 14
; NumVgprs: 9
; ScratchSize: 0
; MemoryBound: 0
; FloatMode: 240
; IeeeMode: 1
; LDSByteSize: 2048 bytes/workgroup (compile time only)
; SGPRBlocks: 0
; VGPRBlocks: 0
; NumSGPRsForWavesPerEU: 14
; NumVGPRsForWavesPerEU: 9
; NamedBarCnt: 0
; Occupancy: 16
; WaveLimiterHint : 0
; COMPUTE_PGM_RSRC2:SCRATCH_EN: 0
; COMPUTE_PGM_RSRC2:USER_SGPR: 2
; COMPUTE_PGM_RSRC2:TRAP_HANDLER: 0
; COMPUTE_PGM_RSRC2:TGID_X_EN: 1
; COMPUTE_PGM_RSRC2:TGID_Y_EN: 0
; COMPUTE_PGM_RSRC2:TGID_Z_EN: 0
; COMPUTE_PGM_RSRC2:TIDIG_COMP_CNT: 0
	.section	.text._ZN2at6native14lpnorm_cleanupIdLNS0_8NormTypeE1EfLb0EfEEvPKT3_NS0_19TensorListAddressesEi,"axG",@progbits,_ZN2at6native14lpnorm_cleanupIdLNS0_8NormTypeE1EfLb0EfEEvPKT3_NS0_19TensorListAddressesEi,comdat
	.protected	_ZN2at6native14lpnorm_cleanupIdLNS0_8NormTypeE1EfLb0EfEEvPKT3_NS0_19TensorListAddressesEi ; -- Begin function _ZN2at6native14lpnorm_cleanupIdLNS0_8NormTypeE1EfLb0EfEEvPKT3_NS0_19TensorListAddressesEi
	.globl	_ZN2at6native14lpnorm_cleanupIdLNS0_8NormTypeE1EfLb0EfEEvPKT3_NS0_19TensorListAddressesEi
	.p2align	8
	.type	_ZN2at6native14lpnorm_cleanupIdLNS0_8NormTypeE1EfLb0EfEEvPKT3_NS0_19TensorListAddressesEi,@function
_ZN2at6native14lpnorm_cleanupIdLNS0_8NormTypeE1EfLb0EfEEvPKT3_NS0_19TensorListAddressesEi: ; @_ZN2at6native14lpnorm_cleanupIdLNS0_8NormTypeE1EfLb0EfEEvPKT3_NS0_19TensorListAddressesEi
; %bb.0:
	s_load_b32 s2, s[0:1], 0xc88
	s_bfe_u32 s3, ttmp6, 0x4000c
	s_and_b32 s4, ttmp6, 15
	s_add_co_i32 s3, s3, 1
	s_getreg_b32 s5, hwreg(HW_REG_IB_STS2, 6, 4)
	s_mul_i32 s3, ttmp9, s3
	v_mov_b32_e32 v1, 0
	s_add_co_i32 s4, s4, s3
	s_cmp_eq_u32 s5, 0
	s_mov_b32 s5, 0
	s_cselect_b32 s8, ttmp9, s4
	s_mov_b32 s9, exec_lo
	s_wait_kmcnt 0x0
	v_cmpx_gt_u32_e64 s2, v0
	s_cbranch_execz .LBB152_4
; %bb.1:
	s_clause 0x1
	s_load_b64 s[6:7], s[0:1], 0x0
	s_load_b32 s4, s[0:1], 0xc9c
	v_dual_mov_b32 v1, 0 :: v_dual_lshlrev_b32 v2, 2, v0
	s_mul_i32 s10, s2, s8
	s_mov_b32 s11, s5
	s_ashr_i32 s3, s2, 31
	s_delay_alu instid0(VALU_DEP_1)
	v_mov_b32_e32 v3, v1
	s_lshl_b64 s[10:11], s[10:11], 2
	v_mov_b64_e32 v[4:5], v[0:1]
	s_wait_kmcnt 0x0
	s_add_nc_u64 s[6:7], s[6:7], s[10:11]
	s_and_b32 s4, s4, 0xffff
	v_add_nc_u64_e32 v[2:3], s[6:7], v[2:3]
	s_lshl_b32 s6, s4, 2
	s_mov_b32 s7, s5
	s_mov_b32 s10, s5
.LBB152_2:                              ; =>This Inner Loop Header: Depth=1
	global_load_b32 v6, v[2:3], off
	v_add_nc_u64_e32 v[4:5], s[4:5], v[4:5]
	s_wait_xcnt 0x0
	v_add_nc_u64_e32 v[2:3], s[6:7], v[2:3]
	s_delay_alu instid0(VALU_DEP_2)
	v_cmp_le_u64_e32 vcc_lo, s[2:3], v[4:5]
	s_or_b32 s10, vcc_lo, s10
	s_wait_loadcnt 0x0
	v_add_f32_e32 v1, v1, v6
	s_and_not1_b32 exec_lo, exec_lo, s10
	s_cbranch_execnz .LBB152_2
; %bb.3:
	s_or_b32 exec_lo, exec_lo, s10
.LBB152_4:
	s_delay_alu instid0(SALU_CYCLE_1) | instskip(SKIP_4) | instid1(VALU_DEP_1)
	s_or_b32 exec_lo, exec_lo, s9
	v_mbcnt_lo_u32_b32 v5, -1, 0
	s_mov_b32 s2, exec_lo
	s_barrier_signal -1
	s_barrier_wait -1
	v_lshl_or_b32 v2, v5, 2, 64
	v_cmp_gt_u32_e32 vcc_lo, 24, v5
	ds_bpermute_b32 v4, v2, v1
	v_cndmask_b32_e64 v3, 0, 8, vcc_lo
	v_cmp_gt_u32_e32 vcc_lo, 28, v5
	s_delay_alu instid0(VALU_DEP_2)
	v_add_lshl_u32 v3, v3, v5, 2
	s_wait_dscnt 0x0
	v_add_f32_e32 v4, v1, v4
	v_cndmask_b32_e64 v1, 0, 4, vcc_lo
	v_cmp_gt_u32_e32 vcc_lo, 30, v5
	ds_bpermute_b32 v6, v3, v4
	v_add_lshl_u32 v1, v1, v5, 2
	s_wait_dscnt 0x0
	v_add_f32_e32 v6, v4, v6
	v_cndmask_b32_e64 v4, 0, 2, vcc_lo
	v_cmp_ne_u32_e32 vcc_lo, 31, v5
	s_delay_alu instid0(VALU_DEP_2) | instskip(SKIP_1) | instid1(VALU_DEP_1)
	v_add_lshl_u32 v4, v4, v5, 2
	v_add_co_ci_u32_e64 v5, null, 0, v5, vcc_lo
	v_lshlrev_b32_e32 v5, 2, v5
	ds_bpermute_b32 v7, v1, v6
	s_wait_dscnt 0x0
	v_add_f32_e32 v6, v6, v7
	ds_bpermute_b32 v7, v4, v6
	s_wait_dscnt 0x0
	v_dual_add_f32 v7, v6, v7 :: v_dual_bitop2_b32 v6, 31, v0 bitop3:0x40
	ds_bpermute_b32 v8, v5, v7
	v_cmpx_eq_u32_e32 0, v6
	s_cbranch_execz .LBB152_6
; %bb.5:
	s_wait_dscnt 0x0
	v_add_f32_e32 v7, v7, v8
	v_lshrrev_b32_e32 v8, 3, v0
	ds_store_b32 v8, v7
.LBB152_6:
	s_or_b32 exec_lo, exec_lo, s2
	s_wait_dscnt 0x0
	s_barrier_signal -1
	s_barrier_wait -1
	s_load_b32 s2, s[0:1], 0xc9c
	v_mov_b32_e32 v7, 0
	s_wait_kmcnt 0x0
	s_bfe_u32 s2, s2, 0xb0005
	s_delay_alu instid0(SALU_CYCLE_1)
	v_cmp_gt_u32_e32 vcc_lo, s2, v0
	s_and_saveexec_b32 s2, vcc_lo
; %bb.7:
	v_lshlrev_b32_e32 v6, 2, v6
	ds_load_b32 v7, v6
; %bb.8:
	s_or_b32 exec_lo, exec_lo, s2
	s_delay_alu instid0(SALU_CYCLE_1)
	s_mov_b32 s2, exec_lo
	v_cmpx_gt_u32_e32 32, v0
	s_cbranch_execz .LBB152_10
; %bb.9:
	s_wait_dscnt 0x0
	ds_bpermute_b32 v2, v2, v7
	s_wait_dscnt 0x0
	v_add_f32_e32 v2, v7, v2
	ds_bpermute_b32 v3, v3, v2
	s_wait_dscnt 0x0
	v_add_f32_e32 v2, v2, v3
	;; [unrolled: 3-line block ×5, first 2 shown]
.LBB152_10:
	s_or_b32 exec_lo, exec_lo, s2
	s_delay_alu instid0(SALU_CYCLE_1)
	s_mov_b32 s2, exec_lo
	v_cmpx_eq_u32_e32 0, v0
	s_cbranch_execz .LBB152_12
; %bb.11:
	s_load_b64 s[0:1], s[0:1], s8 offset:0x8 scale_offset
	v_mov_b32_e32 v0, 0
	s_wait_dscnt 0x0
	s_wait_kmcnt 0x0
	global_store_b32 v0, v7, s[0:1]
.LBB152_12:
	s_endpgm
	.section	.rodata,"a",@progbits
	.p2align	6, 0x0
	.amdhsa_kernel _ZN2at6native14lpnorm_cleanupIdLNS0_8NormTypeE1EfLb0EfEEvPKT3_NS0_19TensorListAddressesEi
		.amdhsa_group_segment_fixed_size 2048
		.amdhsa_private_segment_fixed_size 0
		.amdhsa_kernarg_size 3472
		.amdhsa_user_sgpr_count 2
		.amdhsa_user_sgpr_dispatch_ptr 0
		.amdhsa_user_sgpr_queue_ptr 0
		.amdhsa_user_sgpr_kernarg_segment_ptr 1
		.amdhsa_user_sgpr_dispatch_id 0
		.amdhsa_user_sgpr_kernarg_preload_length 0
		.amdhsa_user_sgpr_kernarg_preload_offset 0
		.amdhsa_user_sgpr_private_segment_size 0
		.amdhsa_wavefront_size32 1
		.amdhsa_uses_dynamic_stack 0
		.amdhsa_enable_private_segment 0
		.amdhsa_system_sgpr_workgroup_id_x 1
		.amdhsa_system_sgpr_workgroup_id_y 0
		.amdhsa_system_sgpr_workgroup_id_z 0
		.amdhsa_system_sgpr_workgroup_info 0
		.amdhsa_system_vgpr_workitem_id 0
		.amdhsa_next_free_vgpr 9
		.amdhsa_next_free_sgpr 12
		.amdhsa_named_barrier_count 0
		.amdhsa_reserve_vcc 1
		.amdhsa_float_round_mode_32 0
		.amdhsa_float_round_mode_16_64 0
		.amdhsa_float_denorm_mode_32 3
		.amdhsa_float_denorm_mode_16_64 3
		.amdhsa_fp16_overflow 0
		.amdhsa_memory_ordered 1
		.amdhsa_forward_progress 1
		.amdhsa_inst_pref_size 6
		.amdhsa_round_robin_scheduling 0
		.amdhsa_exception_fp_ieee_invalid_op 0
		.amdhsa_exception_fp_denorm_src 0
		.amdhsa_exception_fp_ieee_div_zero 0
		.amdhsa_exception_fp_ieee_overflow 0
		.amdhsa_exception_fp_ieee_underflow 0
		.amdhsa_exception_fp_ieee_inexact 0
		.amdhsa_exception_int_div_zero 0
	.end_amdhsa_kernel
	.section	.text._ZN2at6native14lpnorm_cleanupIdLNS0_8NormTypeE1EfLb0EfEEvPKT3_NS0_19TensorListAddressesEi,"axG",@progbits,_ZN2at6native14lpnorm_cleanupIdLNS0_8NormTypeE1EfLb0EfEEvPKT3_NS0_19TensorListAddressesEi,comdat
.Lfunc_end152:
	.size	_ZN2at6native14lpnorm_cleanupIdLNS0_8NormTypeE1EfLb0EfEEvPKT3_NS0_19TensorListAddressesEi, .Lfunc_end152-_ZN2at6native14lpnorm_cleanupIdLNS0_8NormTypeE1EfLb0EfEEvPKT3_NS0_19TensorListAddressesEi
                                        ; -- End function
	.set _ZN2at6native14lpnorm_cleanupIdLNS0_8NormTypeE1EfLb0EfEEvPKT3_NS0_19TensorListAddressesEi.num_vgpr, 9
	.set _ZN2at6native14lpnorm_cleanupIdLNS0_8NormTypeE1EfLb0EfEEvPKT3_NS0_19TensorListAddressesEi.num_agpr, 0
	.set _ZN2at6native14lpnorm_cleanupIdLNS0_8NormTypeE1EfLb0EfEEvPKT3_NS0_19TensorListAddressesEi.numbered_sgpr, 12
	.set _ZN2at6native14lpnorm_cleanupIdLNS0_8NormTypeE1EfLb0EfEEvPKT3_NS0_19TensorListAddressesEi.num_named_barrier, 0
	.set _ZN2at6native14lpnorm_cleanupIdLNS0_8NormTypeE1EfLb0EfEEvPKT3_NS0_19TensorListAddressesEi.private_seg_size, 0
	.set _ZN2at6native14lpnorm_cleanupIdLNS0_8NormTypeE1EfLb0EfEEvPKT3_NS0_19TensorListAddressesEi.uses_vcc, 1
	.set _ZN2at6native14lpnorm_cleanupIdLNS0_8NormTypeE1EfLb0EfEEvPKT3_NS0_19TensorListAddressesEi.uses_flat_scratch, 0
	.set _ZN2at6native14lpnorm_cleanupIdLNS0_8NormTypeE1EfLb0EfEEvPKT3_NS0_19TensorListAddressesEi.has_dyn_sized_stack, 0
	.set _ZN2at6native14lpnorm_cleanupIdLNS0_8NormTypeE1EfLb0EfEEvPKT3_NS0_19TensorListAddressesEi.has_recursion, 0
	.set _ZN2at6native14lpnorm_cleanupIdLNS0_8NormTypeE1EfLb0EfEEvPKT3_NS0_19TensorListAddressesEi.has_indirect_call, 0
	.section	.AMDGPU.csdata,"",@progbits
; Kernel info:
; codeLenInByte = 668
; TotalNumSgprs: 14
; NumVgprs: 9
; ScratchSize: 0
; MemoryBound: 0
; FloatMode: 240
; IeeeMode: 1
; LDSByteSize: 2048 bytes/workgroup (compile time only)
; SGPRBlocks: 0
; VGPRBlocks: 0
; NumSGPRsForWavesPerEU: 14
; NumVGPRsForWavesPerEU: 9
; NamedBarCnt: 0
; Occupancy: 16
; WaveLimiterHint : 0
; COMPUTE_PGM_RSRC2:SCRATCH_EN: 0
; COMPUTE_PGM_RSRC2:USER_SGPR: 2
; COMPUTE_PGM_RSRC2:TRAP_HANDLER: 0
; COMPUTE_PGM_RSRC2:TGID_X_EN: 1
; COMPUTE_PGM_RSRC2:TGID_Y_EN: 0
; COMPUTE_PGM_RSRC2:TGID_Z_EN: 0
; COMPUTE_PGM_RSRC2:TIDIG_COMP_CNT: 0
	.section	.text._ZN2at6native14lpnorm_cleanupIdLNS0_8NormTypeE2EfLb0EfEEvPKT3_NS0_19TensorListAddressesEi,"axG",@progbits,_ZN2at6native14lpnorm_cleanupIdLNS0_8NormTypeE2EfLb0EfEEvPKT3_NS0_19TensorListAddressesEi,comdat
	.protected	_ZN2at6native14lpnorm_cleanupIdLNS0_8NormTypeE2EfLb0EfEEvPKT3_NS0_19TensorListAddressesEi ; -- Begin function _ZN2at6native14lpnorm_cleanupIdLNS0_8NormTypeE2EfLb0EfEEvPKT3_NS0_19TensorListAddressesEi
	.globl	_ZN2at6native14lpnorm_cleanupIdLNS0_8NormTypeE2EfLb0EfEEvPKT3_NS0_19TensorListAddressesEi
	.p2align	8
	.type	_ZN2at6native14lpnorm_cleanupIdLNS0_8NormTypeE2EfLb0EfEEvPKT3_NS0_19TensorListAddressesEi,@function
_ZN2at6native14lpnorm_cleanupIdLNS0_8NormTypeE2EfLb0EfEEvPKT3_NS0_19TensorListAddressesEi: ; @_ZN2at6native14lpnorm_cleanupIdLNS0_8NormTypeE2EfLb0EfEEvPKT3_NS0_19TensorListAddressesEi
; %bb.0:
	s_load_b32 s2, s[0:1], 0xc88
	s_bfe_u32 s3, ttmp6, 0x4000c
	s_and_b32 s4, ttmp6, 15
	s_add_co_i32 s3, s3, 1
	s_getreg_b32 s5, hwreg(HW_REG_IB_STS2, 6, 4)
	s_mul_i32 s3, ttmp9, s3
	v_mov_b32_e32 v1, 0
	s_add_co_i32 s4, s4, s3
	s_cmp_eq_u32 s5, 0
	s_mov_b32 s5, 0
	s_cselect_b32 s8, ttmp9, s4
	s_mov_b32 s9, exec_lo
	s_wait_kmcnt 0x0
	v_cmpx_gt_u32_e64 s2, v0
	s_cbranch_execz .LBB153_4
; %bb.1:
	s_clause 0x1
	s_load_b64 s[6:7], s[0:1], 0x0
	s_load_b32 s4, s[0:1], 0xc9c
	v_dual_mov_b32 v1, 0 :: v_dual_lshlrev_b32 v2, 2, v0
	s_mul_i32 s10, s2, s8
	s_mov_b32 s11, s5
	s_ashr_i32 s3, s2, 31
	s_delay_alu instid0(VALU_DEP_1)
	v_mov_b32_e32 v3, v1
	s_lshl_b64 s[10:11], s[10:11], 2
	v_mov_b64_e32 v[4:5], v[0:1]
	s_wait_kmcnt 0x0
	s_add_nc_u64 s[6:7], s[6:7], s[10:11]
	s_and_b32 s4, s4, 0xffff
	v_add_nc_u64_e32 v[2:3], s[6:7], v[2:3]
	s_lshl_b32 s6, s4, 2
	s_mov_b32 s7, s5
	s_mov_b32 s10, s5
.LBB153_2:                              ; =>This Inner Loop Header: Depth=1
	global_load_b32 v6, v[2:3], off
	v_add_nc_u64_e32 v[4:5], s[4:5], v[4:5]
	s_wait_xcnt 0x0
	v_add_nc_u64_e32 v[2:3], s[6:7], v[2:3]
	s_delay_alu instid0(VALU_DEP_2)
	v_cmp_le_u64_e32 vcc_lo, s[2:3], v[4:5]
	s_or_b32 s10, vcc_lo, s10
	s_wait_loadcnt 0x0
	v_add_f32_e32 v1, v1, v6
	s_and_not1_b32 exec_lo, exec_lo, s10
	s_cbranch_execnz .LBB153_2
; %bb.3:
	s_or_b32 exec_lo, exec_lo, s10
.LBB153_4:
	s_delay_alu instid0(SALU_CYCLE_1) | instskip(SKIP_4) | instid1(VALU_DEP_1)
	s_or_b32 exec_lo, exec_lo, s9
	v_mbcnt_lo_u32_b32 v5, -1, 0
	s_mov_b32 s2, exec_lo
	s_barrier_signal -1
	s_barrier_wait -1
	v_lshl_or_b32 v2, v5, 2, 64
	v_cmp_gt_u32_e32 vcc_lo, 24, v5
	ds_bpermute_b32 v4, v2, v1
	v_cndmask_b32_e64 v3, 0, 8, vcc_lo
	v_cmp_gt_u32_e32 vcc_lo, 28, v5
	s_delay_alu instid0(VALU_DEP_2)
	v_add_lshl_u32 v3, v3, v5, 2
	s_wait_dscnt 0x0
	v_add_f32_e32 v4, v1, v4
	v_cndmask_b32_e64 v1, 0, 4, vcc_lo
	v_cmp_gt_u32_e32 vcc_lo, 30, v5
	ds_bpermute_b32 v6, v3, v4
	v_add_lshl_u32 v1, v1, v5, 2
	s_wait_dscnt 0x0
	v_add_f32_e32 v6, v4, v6
	v_cndmask_b32_e64 v4, 0, 2, vcc_lo
	v_cmp_ne_u32_e32 vcc_lo, 31, v5
	s_delay_alu instid0(VALU_DEP_2) | instskip(SKIP_1) | instid1(VALU_DEP_1)
	v_add_lshl_u32 v4, v4, v5, 2
	v_add_co_ci_u32_e64 v5, null, 0, v5, vcc_lo
	v_lshlrev_b32_e32 v5, 2, v5
	ds_bpermute_b32 v7, v1, v6
	s_wait_dscnt 0x0
	v_add_f32_e32 v6, v6, v7
	ds_bpermute_b32 v7, v4, v6
	s_wait_dscnt 0x0
	v_dual_add_f32 v7, v6, v7 :: v_dual_bitop2_b32 v6, 31, v0 bitop3:0x40
	ds_bpermute_b32 v8, v5, v7
	v_cmpx_eq_u32_e32 0, v6
	s_cbranch_execz .LBB153_6
; %bb.5:
	s_wait_dscnt 0x0
	v_add_f32_e32 v7, v7, v8
	v_lshrrev_b32_e32 v8, 3, v0
	ds_store_b32 v8, v7
.LBB153_6:
	s_or_b32 exec_lo, exec_lo, s2
	s_wait_dscnt 0x0
	s_barrier_signal -1
	s_barrier_wait -1
	s_load_b32 s2, s[0:1], 0xc9c
	v_mov_b32_e32 v7, 0
	s_wait_kmcnt 0x0
	s_bfe_u32 s2, s2, 0xb0005
	s_delay_alu instid0(SALU_CYCLE_1)
	v_cmp_gt_u32_e32 vcc_lo, s2, v0
	s_and_saveexec_b32 s2, vcc_lo
; %bb.7:
	v_lshlrev_b32_e32 v6, 2, v6
	ds_load_b32 v7, v6
; %bb.8:
	s_or_b32 exec_lo, exec_lo, s2
	s_delay_alu instid0(SALU_CYCLE_1)
	s_mov_b32 s2, exec_lo
	v_cmpx_gt_u32_e32 32, v0
	s_cbranch_execz .LBB153_10
; %bb.9:
	s_wait_dscnt 0x0
	ds_bpermute_b32 v2, v2, v7
	s_wait_dscnt 0x0
	v_add_f32_e32 v2, v7, v2
	ds_bpermute_b32 v3, v3, v2
	s_wait_dscnt 0x0
	v_add_f32_e32 v2, v2, v3
	;; [unrolled: 3-line block ×5, first 2 shown]
.LBB153_10:
	s_or_b32 exec_lo, exec_lo, s2
	s_delay_alu instid0(SALU_CYCLE_1)
	s_mov_b32 s2, exec_lo
	v_cmpx_eq_u32_e32 0, v0
	s_cbranch_execz .LBB153_12
; %bb.11:
	s_load_b64 s[0:1], s[0:1], s8 offset:0x8 scale_offset
	v_mov_b32_e32 v0, 0
	s_wait_dscnt 0x0
	s_wait_kmcnt 0x0
	global_store_b32 v0, v7, s[0:1]
.LBB153_12:
	s_endpgm
	.section	.rodata,"a",@progbits
	.p2align	6, 0x0
	.amdhsa_kernel _ZN2at6native14lpnorm_cleanupIdLNS0_8NormTypeE2EfLb0EfEEvPKT3_NS0_19TensorListAddressesEi
		.amdhsa_group_segment_fixed_size 2048
		.amdhsa_private_segment_fixed_size 0
		.amdhsa_kernarg_size 3472
		.amdhsa_user_sgpr_count 2
		.amdhsa_user_sgpr_dispatch_ptr 0
		.amdhsa_user_sgpr_queue_ptr 0
		.amdhsa_user_sgpr_kernarg_segment_ptr 1
		.amdhsa_user_sgpr_dispatch_id 0
		.amdhsa_user_sgpr_kernarg_preload_length 0
		.amdhsa_user_sgpr_kernarg_preload_offset 0
		.amdhsa_user_sgpr_private_segment_size 0
		.amdhsa_wavefront_size32 1
		.amdhsa_uses_dynamic_stack 0
		.amdhsa_enable_private_segment 0
		.amdhsa_system_sgpr_workgroup_id_x 1
		.amdhsa_system_sgpr_workgroup_id_y 0
		.amdhsa_system_sgpr_workgroup_id_z 0
		.amdhsa_system_sgpr_workgroup_info 0
		.amdhsa_system_vgpr_workitem_id 0
		.amdhsa_next_free_vgpr 9
		.amdhsa_next_free_sgpr 12
		.amdhsa_named_barrier_count 0
		.amdhsa_reserve_vcc 1
		.amdhsa_float_round_mode_32 0
		.amdhsa_float_round_mode_16_64 0
		.amdhsa_float_denorm_mode_32 3
		.amdhsa_float_denorm_mode_16_64 3
		.amdhsa_fp16_overflow 0
		.amdhsa_memory_ordered 1
		.amdhsa_forward_progress 1
		.amdhsa_inst_pref_size 6
		.amdhsa_round_robin_scheduling 0
		.amdhsa_exception_fp_ieee_invalid_op 0
		.amdhsa_exception_fp_denorm_src 0
		.amdhsa_exception_fp_ieee_div_zero 0
		.amdhsa_exception_fp_ieee_overflow 0
		.amdhsa_exception_fp_ieee_underflow 0
		.amdhsa_exception_fp_ieee_inexact 0
		.amdhsa_exception_int_div_zero 0
	.end_amdhsa_kernel
	.section	.text._ZN2at6native14lpnorm_cleanupIdLNS0_8NormTypeE2EfLb0EfEEvPKT3_NS0_19TensorListAddressesEi,"axG",@progbits,_ZN2at6native14lpnorm_cleanupIdLNS0_8NormTypeE2EfLb0EfEEvPKT3_NS0_19TensorListAddressesEi,comdat
.Lfunc_end153:
	.size	_ZN2at6native14lpnorm_cleanupIdLNS0_8NormTypeE2EfLb0EfEEvPKT3_NS0_19TensorListAddressesEi, .Lfunc_end153-_ZN2at6native14lpnorm_cleanupIdLNS0_8NormTypeE2EfLb0EfEEvPKT3_NS0_19TensorListAddressesEi
                                        ; -- End function
	.set _ZN2at6native14lpnorm_cleanupIdLNS0_8NormTypeE2EfLb0EfEEvPKT3_NS0_19TensorListAddressesEi.num_vgpr, 9
	.set _ZN2at6native14lpnorm_cleanupIdLNS0_8NormTypeE2EfLb0EfEEvPKT3_NS0_19TensorListAddressesEi.num_agpr, 0
	.set _ZN2at6native14lpnorm_cleanupIdLNS0_8NormTypeE2EfLb0EfEEvPKT3_NS0_19TensorListAddressesEi.numbered_sgpr, 12
	.set _ZN2at6native14lpnorm_cleanupIdLNS0_8NormTypeE2EfLb0EfEEvPKT3_NS0_19TensorListAddressesEi.num_named_barrier, 0
	.set _ZN2at6native14lpnorm_cleanupIdLNS0_8NormTypeE2EfLb0EfEEvPKT3_NS0_19TensorListAddressesEi.private_seg_size, 0
	.set _ZN2at6native14lpnorm_cleanupIdLNS0_8NormTypeE2EfLb0EfEEvPKT3_NS0_19TensorListAddressesEi.uses_vcc, 1
	.set _ZN2at6native14lpnorm_cleanupIdLNS0_8NormTypeE2EfLb0EfEEvPKT3_NS0_19TensorListAddressesEi.uses_flat_scratch, 0
	.set _ZN2at6native14lpnorm_cleanupIdLNS0_8NormTypeE2EfLb0EfEEvPKT3_NS0_19TensorListAddressesEi.has_dyn_sized_stack, 0
	.set _ZN2at6native14lpnorm_cleanupIdLNS0_8NormTypeE2EfLb0EfEEvPKT3_NS0_19TensorListAddressesEi.has_recursion, 0
	.set _ZN2at6native14lpnorm_cleanupIdLNS0_8NormTypeE2EfLb0EfEEvPKT3_NS0_19TensorListAddressesEi.has_indirect_call, 0
	.section	.AMDGPU.csdata,"",@progbits
; Kernel info:
; codeLenInByte = 668
; TotalNumSgprs: 14
; NumVgprs: 9
; ScratchSize: 0
; MemoryBound: 0
; FloatMode: 240
; IeeeMode: 1
; LDSByteSize: 2048 bytes/workgroup (compile time only)
; SGPRBlocks: 0
; VGPRBlocks: 0
; NumSGPRsForWavesPerEU: 14
; NumVGPRsForWavesPerEU: 9
; NamedBarCnt: 0
; Occupancy: 16
; WaveLimiterHint : 0
; COMPUTE_PGM_RSRC2:SCRATCH_EN: 0
; COMPUTE_PGM_RSRC2:USER_SGPR: 2
; COMPUTE_PGM_RSRC2:TRAP_HANDLER: 0
; COMPUTE_PGM_RSRC2:TGID_X_EN: 1
; COMPUTE_PGM_RSRC2:TGID_Y_EN: 0
; COMPUTE_PGM_RSRC2:TGID_Z_EN: 0
; COMPUTE_PGM_RSRC2:TIDIG_COMP_CNT: 0
	.section	.text._ZN2at6native14lpnorm_cleanupIdLNS0_8NormTypeE0EN3c104HalfELb0EfEEvPKT3_NS0_19TensorListAddressesEi,"axG",@progbits,_ZN2at6native14lpnorm_cleanupIdLNS0_8NormTypeE0EN3c104HalfELb0EfEEvPKT3_NS0_19TensorListAddressesEi,comdat
	.protected	_ZN2at6native14lpnorm_cleanupIdLNS0_8NormTypeE0EN3c104HalfELb0EfEEvPKT3_NS0_19TensorListAddressesEi ; -- Begin function _ZN2at6native14lpnorm_cleanupIdLNS0_8NormTypeE0EN3c104HalfELb0EfEEvPKT3_NS0_19TensorListAddressesEi
	.globl	_ZN2at6native14lpnorm_cleanupIdLNS0_8NormTypeE0EN3c104HalfELb0EfEEvPKT3_NS0_19TensorListAddressesEi
	.p2align	8
	.type	_ZN2at6native14lpnorm_cleanupIdLNS0_8NormTypeE0EN3c104HalfELb0EfEEvPKT3_NS0_19TensorListAddressesEi,@function
_ZN2at6native14lpnorm_cleanupIdLNS0_8NormTypeE0EN3c104HalfELb0EfEEvPKT3_NS0_19TensorListAddressesEi: ; @_ZN2at6native14lpnorm_cleanupIdLNS0_8NormTypeE0EN3c104HalfELb0EfEEvPKT3_NS0_19TensorListAddressesEi
; %bb.0:
	s_load_b32 s2, s[0:1], 0xc88
	s_bfe_u32 s3, ttmp6, 0x4000c
	s_and_b32 s4, ttmp6, 15
	s_add_co_i32 s3, s3, 1
	s_getreg_b32 s5, hwreg(HW_REG_IB_STS2, 6, 4)
	s_mul_i32 s3, ttmp9, s3
	v_mov_b32_e32 v1, 0
	s_add_co_i32 s4, s4, s3
	s_cmp_eq_u32 s5, 0
	s_mov_b32 s5, 0
	s_cselect_b32 s8, ttmp9, s4
	s_mov_b32 s9, exec_lo
	s_wait_kmcnt 0x0
	v_cmpx_gt_u32_e64 s2, v0
	s_cbranch_execz .LBB154_4
; %bb.1:
	s_clause 0x1
	s_load_b64 s[6:7], s[0:1], 0x0
	s_load_b32 s4, s[0:1], 0xc9c
	v_dual_mov_b32 v1, 0 :: v_dual_lshlrev_b32 v2, 2, v0
	s_mul_i32 s10, s2, s8
	s_mov_b32 s11, s5
	s_ashr_i32 s3, s2, 31
	s_delay_alu instid0(VALU_DEP_1)
	v_mov_b32_e32 v3, v1
	s_lshl_b64 s[10:11], s[10:11], 2
	v_mov_b64_e32 v[4:5], v[0:1]
	s_wait_kmcnt 0x0
	s_add_nc_u64 s[6:7], s[6:7], s[10:11]
	s_and_b32 s4, s4, 0xffff
	v_add_nc_u64_e32 v[2:3], s[6:7], v[2:3]
	s_lshl_b32 s6, s4, 2
	s_mov_b32 s7, s5
	s_mov_b32 s10, s5
.LBB154_2:                              ; =>This Inner Loop Header: Depth=1
	global_load_b32 v6, v[2:3], off
	v_add_nc_u64_e32 v[4:5], s[4:5], v[4:5]
	s_wait_xcnt 0x0
	v_add_nc_u64_e32 v[2:3], s[6:7], v[2:3]
	s_delay_alu instid0(VALU_DEP_2)
	v_cmp_le_u64_e32 vcc_lo, s[2:3], v[4:5]
	s_or_b32 s10, vcc_lo, s10
	s_wait_loadcnt 0x0
	v_add_f32_e32 v1, v1, v6
	s_and_not1_b32 exec_lo, exec_lo, s10
	s_cbranch_execnz .LBB154_2
; %bb.3:
	s_or_b32 exec_lo, exec_lo, s10
.LBB154_4:
	s_delay_alu instid0(SALU_CYCLE_1) | instskip(SKIP_4) | instid1(VALU_DEP_1)
	s_or_b32 exec_lo, exec_lo, s9
	v_mbcnt_lo_u32_b32 v5, -1, 0
	s_mov_b32 s2, exec_lo
	s_barrier_signal -1
	s_barrier_wait -1
	v_lshl_or_b32 v2, v5, 2, 64
	v_cmp_gt_u32_e32 vcc_lo, 24, v5
	ds_bpermute_b32 v4, v2, v1
	v_cndmask_b32_e64 v3, 0, 8, vcc_lo
	v_cmp_gt_u32_e32 vcc_lo, 28, v5
	s_delay_alu instid0(VALU_DEP_2)
	v_add_lshl_u32 v3, v3, v5, 2
	s_wait_dscnt 0x0
	v_add_f32_e32 v4, v1, v4
	v_cndmask_b32_e64 v1, 0, 4, vcc_lo
	v_cmp_gt_u32_e32 vcc_lo, 30, v5
	ds_bpermute_b32 v6, v3, v4
	v_add_lshl_u32 v1, v1, v5, 2
	s_wait_dscnt 0x0
	v_add_f32_e32 v6, v4, v6
	v_cndmask_b32_e64 v4, 0, 2, vcc_lo
	v_cmp_ne_u32_e32 vcc_lo, 31, v5
	s_delay_alu instid0(VALU_DEP_2) | instskip(SKIP_1) | instid1(VALU_DEP_1)
	v_add_lshl_u32 v4, v4, v5, 2
	v_add_co_ci_u32_e64 v5, null, 0, v5, vcc_lo
	v_lshlrev_b32_e32 v5, 2, v5
	ds_bpermute_b32 v7, v1, v6
	s_wait_dscnt 0x0
	v_add_f32_e32 v6, v6, v7
	ds_bpermute_b32 v7, v4, v6
	s_wait_dscnt 0x0
	v_dual_add_f32 v7, v6, v7 :: v_dual_bitop2_b32 v6, 31, v0 bitop3:0x40
	ds_bpermute_b32 v8, v5, v7
	v_cmpx_eq_u32_e32 0, v6
	s_cbranch_execz .LBB154_6
; %bb.5:
	s_wait_dscnt 0x0
	v_add_f32_e32 v7, v7, v8
	v_lshrrev_b32_e32 v8, 3, v0
	ds_store_b32 v8, v7
.LBB154_6:
	s_or_b32 exec_lo, exec_lo, s2
	s_wait_dscnt 0x0
	s_barrier_signal -1
	s_barrier_wait -1
	s_load_b32 s2, s[0:1], 0xc9c
	v_mov_b32_e32 v7, 0
	s_wait_kmcnt 0x0
	s_bfe_u32 s2, s2, 0xb0005
	s_delay_alu instid0(SALU_CYCLE_1)
	v_cmp_gt_u32_e32 vcc_lo, s2, v0
	s_and_saveexec_b32 s2, vcc_lo
; %bb.7:
	v_lshlrev_b32_e32 v6, 2, v6
	ds_load_b32 v7, v6
; %bb.8:
	s_or_b32 exec_lo, exec_lo, s2
	s_delay_alu instid0(SALU_CYCLE_1)
	s_mov_b32 s2, exec_lo
	v_cmpx_gt_u32_e32 32, v0
	s_cbranch_execz .LBB154_10
; %bb.9:
	s_wait_dscnt 0x0
	ds_bpermute_b32 v2, v2, v7
	s_wait_dscnt 0x0
	v_add_f32_e32 v2, v7, v2
	ds_bpermute_b32 v3, v3, v2
	s_wait_dscnt 0x0
	v_add_f32_e32 v2, v2, v3
	;; [unrolled: 3-line block ×5, first 2 shown]
.LBB154_10:
	s_or_b32 exec_lo, exec_lo, s2
	s_delay_alu instid0(SALU_CYCLE_1)
	s_mov_b32 s2, exec_lo
	v_cmpx_eq_u32_e32 0, v0
	s_cbranch_execz .LBB154_12
; %bb.11:
	s_load_b64 s[0:1], s[0:1], s8 offset:0x8 scale_offset
	s_wait_dscnt 0x0
	v_cvt_f16_f32_e32 v0, v7
	v_mov_b32_e32 v1, 0
	s_wait_kmcnt 0x0
	global_store_b16 v1, v0, s[0:1]
.LBB154_12:
	s_endpgm
	.section	.rodata,"a",@progbits
	.p2align	6, 0x0
	.amdhsa_kernel _ZN2at6native14lpnorm_cleanupIdLNS0_8NormTypeE0EN3c104HalfELb0EfEEvPKT3_NS0_19TensorListAddressesEi
		.amdhsa_group_segment_fixed_size 2048
		.amdhsa_private_segment_fixed_size 0
		.amdhsa_kernarg_size 3472
		.amdhsa_user_sgpr_count 2
		.amdhsa_user_sgpr_dispatch_ptr 0
		.amdhsa_user_sgpr_queue_ptr 0
		.amdhsa_user_sgpr_kernarg_segment_ptr 1
		.amdhsa_user_sgpr_dispatch_id 0
		.amdhsa_user_sgpr_kernarg_preload_length 0
		.amdhsa_user_sgpr_kernarg_preload_offset 0
		.amdhsa_user_sgpr_private_segment_size 0
		.amdhsa_wavefront_size32 1
		.amdhsa_uses_dynamic_stack 0
		.amdhsa_enable_private_segment 0
		.amdhsa_system_sgpr_workgroup_id_x 1
		.amdhsa_system_sgpr_workgroup_id_y 0
		.amdhsa_system_sgpr_workgroup_id_z 0
		.amdhsa_system_sgpr_workgroup_info 0
		.amdhsa_system_vgpr_workitem_id 0
		.amdhsa_next_free_vgpr 9
		.amdhsa_next_free_sgpr 12
		.amdhsa_named_barrier_count 0
		.amdhsa_reserve_vcc 1
		.amdhsa_float_round_mode_32 0
		.amdhsa_float_round_mode_16_64 0
		.amdhsa_float_denorm_mode_32 3
		.amdhsa_float_denorm_mode_16_64 3
		.amdhsa_fp16_overflow 0
		.amdhsa_memory_ordered 1
		.amdhsa_forward_progress 1
		.amdhsa_inst_pref_size 6
		.amdhsa_round_robin_scheduling 0
		.amdhsa_exception_fp_ieee_invalid_op 0
		.amdhsa_exception_fp_denorm_src 0
		.amdhsa_exception_fp_ieee_div_zero 0
		.amdhsa_exception_fp_ieee_overflow 0
		.amdhsa_exception_fp_ieee_underflow 0
		.amdhsa_exception_fp_ieee_inexact 0
		.amdhsa_exception_int_div_zero 0
	.end_amdhsa_kernel
	.section	.text._ZN2at6native14lpnorm_cleanupIdLNS0_8NormTypeE0EN3c104HalfELb0EfEEvPKT3_NS0_19TensorListAddressesEi,"axG",@progbits,_ZN2at6native14lpnorm_cleanupIdLNS0_8NormTypeE0EN3c104HalfELb0EfEEvPKT3_NS0_19TensorListAddressesEi,comdat
.Lfunc_end154:
	.size	_ZN2at6native14lpnorm_cleanupIdLNS0_8NormTypeE0EN3c104HalfELb0EfEEvPKT3_NS0_19TensorListAddressesEi, .Lfunc_end154-_ZN2at6native14lpnorm_cleanupIdLNS0_8NormTypeE0EN3c104HalfELb0EfEEvPKT3_NS0_19TensorListAddressesEi
                                        ; -- End function
	.set _ZN2at6native14lpnorm_cleanupIdLNS0_8NormTypeE0EN3c104HalfELb0EfEEvPKT3_NS0_19TensorListAddressesEi.num_vgpr, 9
	.set _ZN2at6native14lpnorm_cleanupIdLNS0_8NormTypeE0EN3c104HalfELb0EfEEvPKT3_NS0_19TensorListAddressesEi.num_agpr, 0
	.set _ZN2at6native14lpnorm_cleanupIdLNS0_8NormTypeE0EN3c104HalfELb0EfEEvPKT3_NS0_19TensorListAddressesEi.numbered_sgpr, 12
	.set _ZN2at6native14lpnorm_cleanupIdLNS0_8NormTypeE0EN3c104HalfELb0EfEEvPKT3_NS0_19TensorListAddressesEi.num_named_barrier, 0
	.set _ZN2at6native14lpnorm_cleanupIdLNS0_8NormTypeE0EN3c104HalfELb0EfEEvPKT3_NS0_19TensorListAddressesEi.private_seg_size, 0
	.set _ZN2at6native14lpnorm_cleanupIdLNS0_8NormTypeE0EN3c104HalfELb0EfEEvPKT3_NS0_19TensorListAddressesEi.uses_vcc, 1
	.set _ZN2at6native14lpnorm_cleanupIdLNS0_8NormTypeE0EN3c104HalfELb0EfEEvPKT3_NS0_19TensorListAddressesEi.uses_flat_scratch, 0
	.set _ZN2at6native14lpnorm_cleanupIdLNS0_8NormTypeE0EN3c104HalfELb0EfEEvPKT3_NS0_19TensorListAddressesEi.has_dyn_sized_stack, 0
	.set _ZN2at6native14lpnorm_cleanupIdLNS0_8NormTypeE0EN3c104HalfELb0EfEEvPKT3_NS0_19TensorListAddressesEi.has_recursion, 0
	.set _ZN2at6native14lpnorm_cleanupIdLNS0_8NormTypeE0EN3c104HalfELb0EfEEvPKT3_NS0_19TensorListAddressesEi.has_indirect_call, 0
	.section	.AMDGPU.csdata,"",@progbits
; Kernel info:
; codeLenInByte = 672
; TotalNumSgprs: 14
; NumVgprs: 9
; ScratchSize: 0
; MemoryBound: 0
; FloatMode: 240
; IeeeMode: 1
; LDSByteSize: 2048 bytes/workgroup (compile time only)
; SGPRBlocks: 0
; VGPRBlocks: 0
; NumSGPRsForWavesPerEU: 14
; NumVGPRsForWavesPerEU: 9
; NamedBarCnt: 0
; Occupancy: 16
; WaveLimiterHint : 0
; COMPUTE_PGM_RSRC2:SCRATCH_EN: 0
; COMPUTE_PGM_RSRC2:USER_SGPR: 2
; COMPUTE_PGM_RSRC2:TRAP_HANDLER: 0
; COMPUTE_PGM_RSRC2:TGID_X_EN: 1
; COMPUTE_PGM_RSRC2:TGID_Y_EN: 0
; COMPUTE_PGM_RSRC2:TGID_Z_EN: 0
; COMPUTE_PGM_RSRC2:TIDIG_COMP_CNT: 0
	.section	.text._ZN2at6native14lpnorm_cleanupIdLNS0_8NormTypeE1EN3c104HalfELb0EfEEvPKT3_NS0_19TensorListAddressesEi,"axG",@progbits,_ZN2at6native14lpnorm_cleanupIdLNS0_8NormTypeE1EN3c104HalfELb0EfEEvPKT3_NS0_19TensorListAddressesEi,comdat
	.protected	_ZN2at6native14lpnorm_cleanupIdLNS0_8NormTypeE1EN3c104HalfELb0EfEEvPKT3_NS0_19TensorListAddressesEi ; -- Begin function _ZN2at6native14lpnorm_cleanupIdLNS0_8NormTypeE1EN3c104HalfELb0EfEEvPKT3_NS0_19TensorListAddressesEi
	.globl	_ZN2at6native14lpnorm_cleanupIdLNS0_8NormTypeE1EN3c104HalfELb0EfEEvPKT3_NS0_19TensorListAddressesEi
	.p2align	8
	.type	_ZN2at6native14lpnorm_cleanupIdLNS0_8NormTypeE1EN3c104HalfELb0EfEEvPKT3_NS0_19TensorListAddressesEi,@function
_ZN2at6native14lpnorm_cleanupIdLNS0_8NormTypeE1EN3c104HalfELb0EfEEvPKT3_NS0_19TensorListAddressesEi: ; @_ZN2at6native14lpnorm_cleanupIdLNS0_8NormTypeE1EN3c104HalfELb0EfEEvPKT3_NS0_19TensorListAddressesEi
; %bb.0:
	s_load_b32 s2, s[0:1], 0xc88
	s_bfe_u32 s3, ttmp6, 0x4000c
	s_and_b32 s4, ttmp6, 15
	s_add_co_i32 s3, s3, 1
	s_getreg_b32 s5, hwreg(HW_REG_IB_STS2, 6, 4)
	s_mul_i32 s3, ttmp9, s3
	v_mov_b32_e32 v1, 0
	s_add_co_i32 s4, s4, s3
	s_cmp_eq_u32 s5, 0
	s_mov_b32 s5, 0
	s_cselect_b32 s8, ttmp9, s4
	s_mov_b32 s9, exec_lo
	s_wait_kmcnt 0x0
	v_cmpx_gt_u32_e64 s2, v0
	s_cbranch_execz .LBB155_4
; %bb.1:
	s_clause 0x1
	s_load_b64 s[6:7], s[0:1], 0x0
	s_load_b32 s4, s[0:1], 0xc9c
	v_dual_mov_b32 v1, 0 :: v_dual_lshlrev_b32 v2, 2, v0
	s_mul_i32 s10, s2, s8
	s_mov_b32 s11, s5
	s_ashr_i32 s3, s2, 31
	s_delay_alu instid0(VALU_DEP_1)
	v_mov_b32_e32 v3, v1
	s_lshl_b64 s[10:11], s[10:11], 2
	v_mov_b64_e32 v[4:5], v[0:1]
	s_wait_kmcnt 0x0
	s_add_nc_u64 s[6:7], s[6:7], s[10:11]
	s_and_b32 s4, s4, 0xffff
	v_add_nc_u64_e32 v[2:3], s[6:7], v[2:3]
	s_lshl_b32 s6, s4, 2
	s_mov_b32 s7, s5
	s_mov_b32 s10, s5
.LBB155_2:                              ; =>This Inner Loop Header: Depth=1
	global_load_b32 v6, v[2:3], off
	v_add_nc_u64_e32 v[4:5], s[4:5], v[4:5]
	s_wait_xcnt 0x0
	v_add_nc_u64_e32 v[2:3], s[6:7], v[2:3]
	s_delay_alu instid0(VALU_DEP_2)
	v_cmp_le_u64_e32 vcc_lo, s[2:3], v[4:5]
	s_or_b32 s10, vcc_lo, s10
	s_wait_loadcnt 0x0
	v_add_f32_e32 v1, v1, v6
	s_and_not1_b32 exec_lo, exec_lo, s10
	s_cbranch_execnz .LBB155_2
; %bb.3:
	s_or_b32 exec_lo, exec_lo, s10
.LBB155_4:
	s_delay_alu instid0(SALU_CYCLE_1) | instskip(SKIP_4) | instid1(VALU_DEP_1)
	s_or_b32 exec_lo, exec_lo, s9
	v_mbcnt_lo_u32_b32 v5, -1, 0
	s_mov_b32 s2, exec_lo
	s_barrier_signal -1
	s_barrier_wait -1
	v_lshl_or_b32 v2, v5, 2, 64
	v_cmp_gt_u32_e32 vcc_lo, 24, v5
	ds_bpermute_b32 v4, v2, v1
	v_cndmask_b32_e64 v3, 0, 8, vcc_lo
	v_cmp_gt_u32_e32 vcc_lo, 28, v5
	s_delay_alu instid0(VALU_DEP_2)
	v_add_lshl_u32 v3, v3, v5, 2
	s_wait_dscnt 0x0
	v_add_f32_e32 v4, v1, v4
	v_cndmask_b32_e64 v1, 0, 4, vcc_lo
	v_cmp_gt_u32_e32 vcc_lo, 30, v5
	ds_bpermute_b32 v6, v3, v4
	v_add_lshl_u32 v1, v1, v5, 2
	s_wait_dscnt 0x0
	v_add_f32_e32 v6, v4, v6
	v_cndmask_b32_e64 v4, 0, 2, vcc_lo
	v_cmp_ne_u32_e32 vcc_lo, 31, v5
	s_delay_alu instid0(VALU_DEP_2) | instskip(SKIP_1) | instid1(VALU_DEP_1)
	v_add_lshl_u32 v4, v4, v5, 2
	v_add_co_ci_u32_e64 v5, null, 0, v5, vcc_lo
	v_lshlrev_b32_e32 v5, 2, v5
	ds_bpermute_b32 v7, v1, v6
	s_wait_dscnt 0x0
	v_add_f32_e32 v6, v6, v7
	ds_bpermute_b32 v7, v4, v6
	s_wait_dscnt 0x0
	v_dual_add_f32 v7, v6, v7 :: v_dual_bitop2_b32 v6, 31, v0 bitop3:0x40
	ds_bpermute_b32 v8, v5, v7
	v_cmpx_eq_u32_e32 0, v6
	s_cbranch_execz .LBB155_6
; %bb.5:
	s_wait_dscnt 0x0
	v_add_f32_e32 v7, v7, v8
	v_lshrrev_b32_e32 v8, 3, v0
	ds_store_b32 v8, v7
.LBB155_6:
	s_or_b32 exec_lo, exec_lo, s2
	s_wait_dscnt 0x0
	s_barrier_signal -1
	s_barrier_wait -1
	s_load_b32 s2, s[0:1], 0xc9c
	v_mov_b32_e32 v7, 0
	s_wait_kmcnt 0x0
	s_bfe_u32 s2, s2, 0xb0005
	s_delay_alu instid0(SALU_CYCLE_1)
	v_cmp_gt_u32_e32 vcc_lo, s2, v0
	s_and_saveexec_b32 s2, vcc_lo
; %bb.7:
	v_lshlrev_b32_e32 v6, 2, v6
	ds_load_b32 v7, v6
; %bb.8:
	s_or_b32 exec_lo, exec_lo, s2
	s_delay_alu instid0(SALU_CYCLE_1)
	s_mov_b32 s2, exec_lo
	v_cmpx_gt_u32_e32 32, v0
	s_cbranch_execz .LBB155_10
; %bb.9:
	s_wait_dscnt 0x0
	ds_bpermute_b32 v2, v2, v7
	s_wait_dscnt 0x0
	v_add_f32_e32 v2, v7, v2
	ds_bpermute_b32 v3, v3, v2
	s_wait_dscnt 0x0
	v_add_f32_e32 v2, v2, v3
	;; [unrolled: 3-line block ×5, first 2 shown]
.LBB155_10:
	s_or_b32 exec_lo, exec_lo, s2
	s_delay_alu instid0(SALU_CYCLE_1)
	s_mov_b32 s2, exec_lo
	v_cmpx_eq_u32_e32 0, v0
	s_cbranch_execz .LBB155_12
; %bb.11:
	s_load_b64 s[0:1], s[0:1], s8 offset:0x8 scale_offset
	s_wait_dscnt 0x0
	v_cvt_f16_f32_e32 v0, v7
	v_mov_b32_e32 v1, 0
	s_wait_kmcnt 0x0
	global_store_b16 v1, v0, s[0:1]
.LBB155_12:
	s_endpgm
	.section	.rodata,"a",@progbits
	.p2align	6, 0x0
	.amdhsa_kernel _ZN2at6native14lpnorm_cleanupIdLNS0_8NormTypeE1EN3c104HalfELb0EfEEvPKT3_NS0_19TensorListAddressesEi
		.amdhsa_group_segment_fixed_size 2048
		.amdhsa_private_segment_fixed_size 0
		.amdhsa_kernarg_size 3472
		.amdhsa_user_sgpr_count 2
		.amdhsa_user_sgpr_dispatch_ptr 0
		.amdhsa_user_sgpr_queue_ptr 0
		.amdhsa_user_sgpr_kernarg_segment_ptr 1
		.amdhsa_user_sgpr_dispatch_id 0
		.amdhsa_user_sgpr_kernarg_preload_length 0
		.amdhsa_user_sgpr_kernarg_preload_offset 0
		.amdhsa_user_sgpr_private_segment_size 0
		.amdhsa_wavefront_size32 1
		.amdhsa_uses_dynamic_stack 0
		.amdhsa_enable_private_segment 0
		.amdhsa_system_sgpr_workgroup_id_x 1
		.amdhsa_system_sgpr_workgroup_id_y 0
		.amdhsa_system_sgpr_workgroup_id_z 0
		.amdhsa_system_sgpr_workgroup_info 0
		.amdhsa_system_vgpr_workitem_id 0
		.amdhsa_next_free_vgpr 9
		.amdhsa_next_free_sgpr 12
		.amdhsa_named_barrier_count 0
		.amdhsa_reserve_vcc 1
		.amdhsa_float_round_mode_32 0
		.amdhsa_float_round_mode_16_64 0
		.amdhsa_float_denorm_mode_32 3
		.amdhsa_float_denorm_mode_16_64 3
		.amdhsa_fp16_overflow 0
		.amdhsa_memory_ordered 1
		.amdhsa_forward_progress 1
		.amdhsa_inst_pref_size 6
		.amdhsa_round_robin_scheduling 0
		.amdhsa_exception_fp_ieee_invalid_op 0
		.amdhsa_exception_fp_denorm_src 0
		.amdhsa_exception_fp_ieee_div_zero 0
		.amdhsa_exception_fp_ieee_overflow 0
		.amdhsa_exception_fp_ieee_underflow 0
		.amdhsa_exception_fp_ieee_inexact 0
		.amdhsa_exception_int_div_zero 0
	.end_amdhsa_kernel
	.section	.text._ZN2at6native14lpnorm_cleanupIdLNS0_8NormTypeE1EN3c104HalfELb0EfEEvPKT3_NS0_19TensorListAddressesEi,"axG",@progbits,_ZN2at6native14lpnorm_cleanupIdLNS0_8NormTypeE1EN3c104HalfELb0EfEEvPKT3_NS0_19TensorListAddressesEi,comdat
.Lfunc_end155:
	.size	_ZN2at6native14lpnorm_cleanupIdLNS0_8NormTypeE1EN3c104HalfELb0EfEEvPKT3_NS0_19TensorListAddressesEi, .Lfunc_end155-_ZN2at6native14lpnorm_cleanupIdLNS0_8NormTypeE1EN3c104HalfELb0EfEEvPKT3_NS0_19TensorListAddressesEi
                                        ; -- End function
	.set _ZN2at6native14lpnorm_cleanupIdLNS0_8NormTypeE1EN3c104HalfELb0EfEEvPKT3_NS0_19TensorListAddressesEi.num_vgpr, 9
	.set _ZN2at6native14lpnorm_cleanupIdLNS0_8NormTypeE1EN3c104HalfELb0EfEEvPKT3_NS0_19TensorListAddressesEi.num_agpr, 0
	.set _ZN2at6native14lpnorm_cleanupIdLNS0_8NormTypeE1EN3c104HalfELb0EfEEvPKT3_NS0_19TensorListAddressesEi.numbered_sgpr, 12
	.set _ZN2at6native14lpnorm_cleanupIdLNS0_8NormTypeE1EN3c104HalfELb0EfEEvPKT3_NS0_19TensorListAddressesEi.num_named_barrier, 0
	.set _ZN2at6native14lpnorm_cleanupIdLNS0_8NormTypeE1EN3c104HalfELb0EfEEvPKT3_NS0_19TensorListAddressesEi.private_seg_size, 0
	.set _ZN2at6native14lpnorm_cleanupIdLNS0_8NormTypeE1EN3c104HalfELb0EfEEvPKT3_NS0_19TensorListAddressesEi.uses_vcc, 1
	.set _ZN2at6native14lpnorm_cleanupIdLNS0_8NormTypeE1EN3c104HalfELb0EfEEvPKT3_NS0_19TensorListAddressesEi.uses_flat_scratch, 0
	.set _ZN2at6native14lpnorm_cleanupIdLNS0_8NormTypeE1EN3c104HalfELb0EfEEvPKT3_NS0_19TensorListAddressesEi.has_dyn_sized_stack, 0
	.set _ZN2at6native14lpnorm_cleanupIdLNS0_8NormTypeE1EN3c104HalfELb0EfEEvPKT3_NS0_19TensorListAddressesEi.has_recursion, 0
	.set _ZN2at6native14lpnorm_cleanupIdLNS0_8NormTypeE1EN3c104HalfELb0EfEEvPKT3_NS0_19TensorListAddressesEi.has_indirect_call, 0
	.section	.AMDGPU.csdata,"",@progbits
; Kernel info:
; codeLenInByte = 672
; TotalNumSgprs: 14
; NumVgprs: 9
; ScratchSize: 0
; MemoryBound: 0
; FloatMode: 240
; IeeeMode: 1
; LDSByteSize: 2048 bytes/workgroup (compile time only)
; SGPRBlocks: 0
; VGPRBlocks: 0
; NumSGPRsForWavesPerEU: 14
; NumVGPRsForWavesPerEU: 9
; NamedBarCnt: 0
; Occupancy: 16
; WaveLimiterHint : 0
; COMPUTE_PGM_RSRC2:SCRATCH_EN: 0
; COMPUTE_PGM_RSRC2:USER_SGPR: 2
; COMPUTE_PGM_RSRC2:TRAP_HANDLER: 0
; COMPUTE_PGM_RSRC2:TGID_X_EN: 1
; COMPUTE_PGM_RSRC2:TGID_Y_EN: 0
; COMPUTE_PGM_RSRC2:TGID_Z_EN: 0
; COMPUTE_PGM_RSRC2:TIDIG_COMP_CNT: 0
	.section	.text._ZN2at6native14lpnorm_cleanupIdLNS0_8NormTypeE2EN3c104HalfELb0EfEEvPKT3_NS0_19TensorListAddressesEi,"axG",@progbits,_ZN2at6native14lpnorm_cleanupIdLNS0_8NormTypeE2EN3c104HalfELb0EfEEvPKT3_NS0_19TensorListAddressesEi,comdat
	.protected	_ZN2at6native14lpnorm_cleanupIdLNS0_8NormTypeE2EN3c104HalfELb0EfEEvPKT3_NS0_19TensorListAddressesEi ; -- Begin function _ZN2at6native14lpnorm_cleanupIdLNS0_8NormTypeE2EN3c104HalfELb0EfEEvPKT3_NS0_19TensorListAddressesEi
	.globl	_ZN2at6native14lpnorm_cleanupIdLNS0_8NormTypeE2EN3c104HalfELb0EfEEvPKT3_NS0_19TensorListAddressesEi
	.p2align	8
	.type	_ZN2at6native14lpnorm_cleanupIdLNS0_8NormTypeE2EN3c104HalfELb0EfEEvPKT3_NS0_19TensorListAddressesEi,@function
_ZN2at6native14lpnorm_cleanupIdLNS0_8NormTypeE2EN3c104HalfELb0EfEEvPKT3_NS0_19TensorListAddressesEi: ; @_ZN2at6native14lpnorm_cleanupIdLNS0_8NormTypeE2EN3c104HalfELb0EfEEvPKT3_NS0_19TensorListAddressesEi
; %bb.0:
	s_load_b32 s2, s[0:1], 0xc88
	s_bfe_u32 s3, ttmp6, 0x4000c
	s_and_b32 s4, ttmp6, 15
	s_add_co_i32 s3, s3, 1
	s_getreg_b32 s5, hwreg(HW_REG_IB_STS2, 6, 4)
	s_mul_i32 s3, ttmp9, s3
	v_mov_b32_e32 v1, 0
	s_add_co_i32 s4, s4, s3
	s_cmp_eq_u32 s5, 0
	s_mov_b32 s5, 0
	s_cselect_b32 s8, ttmp9, s4
	s_mov_b32 s9, exec_lo
	s_wait_kmcnt 0x0
	v_cmpx_gt_u32_e64 s2, v0
	s_cbranch_execz .LBB156_4
; %bb.1:
	s_clause 0x1
	s_load_b64 s[6:7], s[0:1], 0x0
	s_load_b32 s4, s[0:1], 0xc9c
	v_dual_mov_b32 v1, 0 :: v_dual_lshlrev_b32 v2, 2, v0
	s_mul_i32 s10, s2, s8
	s_mov_b32 s11, s5
	s_ashr_i32 s3, s2, 31
	s_delay_alu instid0(VALU_DEP_1)
	v_mov_b32_e32 v3, v1
	s_lshl_b64 s[10:11], s[10:11], 2
	v_mov_b64_e32 v[4:5], v[0:1]
	s_wait_kmcnt 0x0
	s_add_nc_u64 s[6:7], s[6:7], s[10:11]
	s_and_b32 s4, s4, 0xffff
	v_add_nc_u64_e32 v[2:3], s[6:7], v[2:3]
	s_lshl_b32 s6, s4, 2
	s_mov_b32 s7, s5
	s_mov_b32 s10, s5
.LBB156_2:                              ; =>This Inner Loop Header: Depth=1
	global_load_b32 v6, v[2:3], off
	v_add_nc_u64_e32 v[4:5], s[4:5], v[4:5]
	s_wait_xcnt 0x0
	v_add_nc_u64_e32 v[2:3], s[6:7], v[2:3]
	s_delay_alu instid0(VALU_DEP_2)
	v_cmp_le_u64_e32 vcc_lo, s[2:3], v[4:5]
	s_or_b32 s10, vcc_lo, s10
	s_wait_loadcnt 0x0
	v_add_f32_e32 v1, v1, v6
	s_and_not1_b32 exec_lo, exec_lo, s10
	s_cbranch_execnz .LBB156_2
; %bb.3:
	s_or_b32 exec_lo, exec_lo, s10
.LBB156_4:
	s_delay_alu instid0(SALU_CYCLE_1) | instskip(SKIP_4) | instid1(VALU_DEP_1)
	s_or_b32 exec_lo, exec_lo, s9
	v_mbcnt_lo_u32_b32 v5, -1, 0
	s_mov_b32 s2, exec_lo
	s_barrier_signal -1
	s_barrier_wait -1
	v_lshl_or_b32 v2, v5, 2, 64
	v_cmp_gt_u32_e32 vcc_lo, 24, v5
	ds_bpermute_b32 v4, v2, v1
	v_cndmask_b32_e64 v3, 0, 8, vcc_lo
	v_cmp_gt_u32_e32 vcc_lo, 28, v5
	s_delay_alu instid0(VALU_DEP_2)
	v_add_lshl_u32 v3, v3, v5, 2
	s_wait_dscnt 0x0
	v_add_f32_e32 v4, v1, v4
	v_cndmask_b32_e64 v1, 0, 4, vcc_lo
	v_cmp_gt_u32_e32 vcc_lo, 30, v5
	ds_bpermute_b32 v6, v3, v4
	v_add_lshl_u32 v1, v1, v5, 2
	s_wait_dscnt 0x0
	v_add_f32_e32 v6, v4, v6
	v_cndmask_b32_e64 v4, 0, 2, vcc_lo
	v_cmp_ne_u32_e32 vcc_lo, 31, v5
	s_delay_alu instid0(VALU_DEP_2) | instskip(SKIP_1) | instid1(VALU_DEP_1)
	v_add_lshl_u32 v4, v4, v5, 2
	v_add_co_ci_u32_e64 v5, null, 0, v5, vcc_lo
	v_lshlrev_b32_e32 v5, 2, v5
	ds_bpermute_b32 v7, v1, v6
	s_wait_dscnt 0x0
	v_add_f32_e32 v6, v6, v7
	ds_bpermute_b32 v7, v4, v6
	s_wait_dscnt 0x0
	v_dual_add_f32 v7, v6, v7 :: v_dual_bitop2_b32 v6, 31, v0 bitop3:0x40
	ds_bpermute_b32 v8, v5, v7
	v_cmpx_eq_u32_e32 0, v6
	s_cbranch_execz .LBB156_6
; %bb.5:
	s_wait_dscnt 0x0
	v_add_f32_e32 v7, v7, v8
	v_lshrrev_b32_e32 v8, 3, v0
	ds_store_b32 v8, v7
.LBB156_6:
	s_or_b32 exec_lo, exec_lo, s2
	s_wait_dscnt 0x0
	s_barrier_signal -1
	s_barrier_wait -1
	s_load_b32 s2, s[0:1], 0xc9c
	v_mov_b32_e32 v7, 0
	s_wait_kmcnt 0x0
	s_bfe_u32 s2, s2, 0xb0005
	s_delay_alu instid0(SALU_CYCLE_1)
	v_cmp_gt_u32_e32 vcc_lo, s2, v0
	s_and_saveexec_b32 s2, vcc_lo
; %bb.7:
	v_lshlrev_b32_e32 v6, 2, v6
	ds_load_b32 v7, v6
; %bb.8:
	s_or_b32 exec_lo, exec_lo, s2
	s_delay_alu instid0(SALU_CYCLE_1)
	s_mov_b32 s2, exec_lo
	v_cmpx_gt_u32_e32 32, v0
	s_cbranch_execz .LBB156_10
; %bb.9:
	s_wait_dscnt 0x0
	ds_bpermute_b32 v2, v2, v7
	s_wait_dscnt 0x0
	v_add_f32_e32 v2, v7, v2
	ds_bpermute_b32 v3, v3, v2
	s_wait_dscnt 0x0
	v_add_f32_e32 v2, v2, v3
	;; [unrolled: 3-line block ×5, first 2 shown]
.LBB156_10:
	s_or_b32 exec_lo, exec_lo, s2
	s_delay_alu instid0(SALU_CYCLE_1)
	s_mov_b32 s2, exec_lo
	v_cmpx_eq_u32_e32 0, v0
	s_cbranch_execz .LBB156_12
; %bb.11:
	s_load_b64 s[0:1], s[0:1], s8 offset:0x8 scale_offset
	s_wait_dscnt 0x0
	v_cvt_f16_f32_e32 v0, v7
	v_mov_b32_e32 v1, 0
	s_wait_kmcnt 0x0
	global_store_b16 v1, v0, s[0:1]
.LBB156_12:
	s_endpgm
	.section	.rodata,"a",@progbits
	.p2align	6, 0x0
	.amdhsa_kernel _ZN2at6native14lpnorm_cleanupIdLNS0_8NormTypeE2EN3c104HalfELb0EfEEvPKT3_NS0_19TensorListAddressesEi
		.amdhsa_group_segment_fixed_size 2048
		.amdhsa_private_segment_fixed_size 0
		.amdhsa_kernarg_size 3472
		.amdhsa_user_sgpr_count 2
		.amdhsa_user_sgpr_dispatch_ptr 0
		.amdhsa_user_sgpr_queue_ptr 0
		.amdhsa_user_sgpr_kernarg_segment_ptr 1
		.amdhsa_user_sgpr_dispatch_id 0
		.amdhsa_user_sgpr_kernarg_preload_length 0
		.amdhsa_user_sgpr_kernarg_preload_offset 0
		.amdhsa_user_sgpr_private_segment_size 0
		.amdhsa_wavefront_size32 1
		.amdhsa_uses_dynamic_stack 0
		.amdhsa_enable_private_segment 0
		.amdhsa_system_sgpr_workgroup_id_x 1
		.amdhsa_system_sgpr_workgroup_id_y 0
		.amdhsa_system_sgpr_workgroup_id_z 0
		.amdhsa_system_sgpr_workgroup_info 0
		.amdhsa_system_vgpr_workitem_id 0
		.amdhsa_next_free_vgpr 9
		.amdhsa_next_free_sgpr 12
		.amdhsa_named_barrier_count 0
		.amdhsa_reserve_vcc 1
		.amdhsa_float_round_mode_32 0
		.amdhsa_float_round_mode_16_64 0
		.amdhsa_float_denorm_mode_32 3
		.amdhsa_float_denorm_mode_16_64 3
		.amdhsa_fp16_overflow 0
		.amdhsa_memory_ordered 1
		.amdhsa_forward_progress 1
		.amdhsa_inst_pref_size 6
		.amdhsa_round_robin_scheduling 0
		.amdhsa_exception_fp_ieee_invalid_op 0
		.amdhsa_exception_fp_denorm_src 0
		.amdhsa_exception_fp_ieee_div_zero 0
		.amdhsa_exception_fp_ieee_overflow 0
		.amdhsa_exception_fp_ieee_underflow 0
		.amdhsa_exception_fp_ieee_inexact 0
		.amdhsa_exception_int_div_zero 0
	.end_amdhsa_kernel
	.section	.text._ZN2at6native14lpnorm_cleanupIdLNS0_8NormTypeE2EN3c104HalfELb0EfEEvPKT3_NS0_19TensorListAddressesEi,"axG",@progbits,_ZN2at6native14lpnorm_cleanupIdLNS0_8NormTypeE2EN3c104HalfELb0EfEEvPKT3_NS0_19TensorListAddressesEi,comdat
.Lfunc_end156:
	.size	_ZN2at6native14lpnorm_cleanupIdLNS0_8NormTypeE2EN3c104HalfELb0EfEEvPKT3_NS0_19TensorListAddressesEi, .Lfunc_end156-_ZN2at6native14lpnorm_cleanupIdLNS0_8NormTypeE2EN3c104HalfELb0EfEEvPKT3_NS0_19TensorListAddressesEi
                                        ; -- End function
	.set _ZN2at6native14lpnorm_cleanupIdLNS0_8NormTypeE2EN3c104HalfELb0EfEEvPKT3_NS0_19TensorListAddressesEi.num_vgpr, 9
	.set _ZN2at6native14lpnorm_cleanupIdLNS0_8NormTypeE2EN3c104HalfELb0EfEEvPKT3_NS0_19TensorListAddressesEi.num_agpr, 0
	.set _ZN2at6native14lpnorm_cleanupIdLNS0_8NormTypeE2EN3c104HalfELb0EfEEvPKT3_NS0_19TensorListAddressesEi.numbered_sgpr, 12
	.set _ZN2at6native14lpnorm_cleanupIdLNS0_8NormTypeE2EN3c104HalfELb0EfEEvPKT3_NS0_19TensorListAddressesEi.num_named_barrier, 0
	.set _ZN2at6native14lpnorm_cleanupIdLNS0_8NormTypeE2EN3c104HalfELb0EfEEvPKT3_NS0_19TensorListAddressesEi.private_seg_size, 0
	.set _ZN2at6native14lpnorm_cleanupIdLNS0_8NormTypeE2EN3c104HalfELb0EfEEvPKT3_NS0_19TensorListAddressesEi.uses_vcc, 1
	.set _ZN2at6native14lpnorm_cleanupIdLNS0_8NormTypeE2EN3c104HalfELb0EfEEvPKT3_NS0_19TensorListAddressesEi.uses_flat_scratch, 0
	.set _ZN2at6native14lpnorm_cleanupIdLNS0_8NormTypeE2EN3c104HalfELb0EfEEvPKT3_NS0_19TensorListAddressesEi.has_dyn_sized_stack, 0
	.set _ZN2at6native14lpnorm_cleanupIdLNS0_8NormTypeE2EN3c104HalfELb0EfEEvPKT3_NS0_19TensorListAddressesEi.has_recursion, 0
	.set _ZN2at6native14lpnorm_cleanupIdLNS0_8NormTypeE2EN3c104HalfELb0EfEEvPKT3_NS0_19TensorListAddressesEi.has_indirect_call, 0
	.section	.AMDGPU.csdata,"",@progbits
; Kernel info:
; codeLenInByte = 672
; TotalNumSgprs: 14
; NumVgprs: 9
; ScratchSize: 0
; MemoryBound: 0
; FloatMode: 240
; IeeeMode: 1
; LDSByteSize: 2048 bytes/workgroup (compile time only)
; SGPRBlocks: 0
; VGPRBlocks: 0
; NumSGPRsForWavesPerEU: 14
; NumVGPRsForWavesPerEU: 9
; NamedBarCnt: 0
; Occupancy: 16
; WaveLimiterHint : 0
; COMPUTE_PGM_RSRC2:SCRATCH_EN: 0
; COMPUTE_PGM_RSRC2:USER_SGPR: 2
; COMPUTE_PGM_RSRC2:TRAP_HANDLER: 0
; COMPUTE_PGM_RSRC2:TGID_X_EN: 1
; COMPUTE_PGM_RSRC2:TGID_Y_EN: 0
; COMPUTE_PGM_RSRC2:TGID_Z_EN: 0
; COMPUTE_PGM_RSRC2:TIDIG_COMP_CNT: 0
	.section	.text._ZN2at6native14lpnorm_cleanupIdLNS0_8NormTypeE0EN3c108BFloat16ELb0EfEEvPKT3_NS0_19TensorListAddressesEi,"axG",@progbits,_ZN2at6native14lpnorm_cleanupIdLNS0_8NormTypeE0EN3c108BFloat16ELb0EfEEvPKT3_NS0_19TensorListAddressesEi,comdat
	.protected	_ZN2at6native14lpnorm_cleanupIdLNS0_8NormTypeE0EN3c108BFloat16ELb0EfEEvPKT3_NS0_19TensorListAddressesEi ; -- Begin function _ZN2at6native14lpnorm_cleanupIdLNS0_8NormTypeE0EN3c108BFloat16ELb0EfEEvPKT3_NS0_19TensorListAddressesEi
	.globl	_ZN2at6native14lpnorm_cleanupIdLNS0_8NormTypeE0EN3c108BFloat16ELb0EfEEvPKT3_NS0_19TensorListAddressesEi
	.p2align	8
	.type	_ZN2at6native14lpnorm_cleanupIdLNS0_8NormTypeE0EN3c108BFloat16ELb0EfEEvPKT3_NS0_19TensorListAddressesEi,@function
_ZN2at6native14lpnorm_cleanupIdLNS0_8NormTypeE0EN3c108BFloat16ELb0EfEEvPKT3_NS0_19TensorListAddressesEi: ; @_ZN2at6native14lpnorm_cleanupIdLNS0_8NormTypeE0EN3c108BFloat16ELb0EfEEvPKT3_NS0_19TensorListAddressesEi
; %bb.0:
	s_load_b32 s2, s[0:1], 0xc88
	s_bfe_u32 s3, ttmp6, 0x4000c
	s_and_b32 s4, ttmp6, 15
	s_add_co_i32 s3, s3, 1
	s_getreg_b32 s5, hwreg(HW_REG_IB_STS2, 6, 4)
	s_mul_i32 s3, ttmp9, s3
	v_mov_b32_e32 v1, 0
	s_add_co_i32 s4, s4, s3
	s_cmp_eq_u32 s5, 0
	s_mov_b32 s5, 0
	s_cselect_b32 s8, ttmp9, s4
	s_mov_b32 s9, exec_lo
	s_wait_kmcnt 0x0
	v_cmpx_gt_u32_e64 s2, v0
	s_cbranch_execz .LBB157_4
; %bb.1:
	s_clause 0x1
	s_load_b64 s[6:7], s[0:1], 0x0
	s_load_b32 s4, s[0:1], 0xc9c
	v_dual_mov_b32 v1, 0 :: v_dual_lshlrev_b32 v2, 2, v0
	s_mul_i32 s10, s2, s8
	s_mov_b32 s11, s5
	s_ashr_i32 s3, s2, 31
	s_delay_alu instid0(VALU_DEP_1)
	v_mov_b32_e32 v3, v1
	s_lshl_b64 s[10:11], s[10:11], 2
	v_mov_b64_e32 v[4:5], v[0:1]
	s_wait_kmcnt 0x0
	s_add_nc_u64 s[6:7], s[6:7], s[10:11]
	s_and_b32 s4, s4, 0xffff
	v_add_nc_u64_e32 v[2:3], s[6:7], v[2:3]
	s_lshl_b32 s6, s4, 2
	s_mov_b32 s7, s5
	s_mov_b32 s10, s5
.LBB157_2:                              ; =>This Inner Loop Header: Depth=1
	global_load_b32 v6, v[2:3], off
	v_add_nc_u64_e32 v[4:5], s[4:5], v[4:5]
	s_wait_xcnt 0x0
	v_add_nc_u64_e32 v[2:3], s[6:7], v[2:3]
	s_delay_alu instid0(VALU_DEP_2)
	v_cmp_le_u64_e32 vcc_lo, s[2:3], v[4:5]
	s_or_b32 s10, vcc_lo, s10
	s_wait_loadcnt 0x0
	v_add_f32_e32 v1, v1, v6
	s_and_not1_b32 exec_lo, exec_lo, s10
	s_cbranch_execnz .LBB157_2
; %bb.3:
	s_or_b32 exec_lo, exec_lo, s10
.LBB157_4:
	s_delay_alu instid0(SALU_CYCLE_1) | instskip(SKIP_4) | instid1(VALU_DEP_1)
	s_or_b32 exec_lo, exec_lo, s9
	v_mbcnt_lo_u32_b32 v5, -1, 0
	s_mov_b32 s2, exec_lo
	s_barrier_signal -1
	s_barrier_wait -1
	v_lshl_or_b32 v2, v5, 2, 64
	v_cmp_gt_u32_e32 vcc_lo, 24, v5
	ds_bpermute_b32 v4, v2, v1
	v_cndmask_b32_e64 v3, 0, 8, vcc_lo
	v_cmp_gt_u32_e32 vcc_lo, 28, v5
	s_delay_alu instid0(VALU_DEP_2)
	v_add_lshl_u32 v3, v3, v5, 2
	s_wait_dscnt 0x0
	v_add_f32_e32 v4, v1, v4
	v_cndmask_b32_e64 v1, 0, 4, vcc_lo
	v_cmp_gt_u32_e32 vcc_lo, 30, v5
	ds_bpermute_b32 v6, v3, v4
	v_add_lshl_u32 v1, v1, v5, 2
	s_wait_dscnt 0x0
	v_add_f32_e32 v6, v4, v6
	v_cndmask_b32_e64 v4, 0, 2, vcc_lo
	v_cmp_ne_u32_e32 vcc_lo, 31, v5
	s_delay_alu instid0(VALU_DEP_2) | instskip(SKIP_1) | instid1(VALU_DEP_1)
	v_add_lshl_u32 v4, v4, v5, 2
	v_add_co_ci_u32_e64 v5, null, 0, v5, vcc_lo
	v_lshlrev_b32_e32 v5, 2, v5
	ds_bpermute_b32 v7, v1, v6
	s_wait_dscnt 0x0
	v_add_f32_e32 v6, v6, v7
	ds_bpermute_b32 v7, v4, v6
	s_wait_dscnt 0x0
	v_dual_add_f32 v6, v6, v7 :: v_dual_bitop2_b32 v7, 31, v0 bitop3:0x40
	ds_bpermute_b32 v8, v5, v6
	v_cmpx_eq_u32_e32 0, v7
	s_cbranch_execz .LBB157_6
; %bb.5:
	s_wait_dscnt 0x0
	v_add_f32_e32 v6, v6, v8
	v_lshrrev_b32_e32 v8, 3, v0
	ds_store_b32 v8, v6
.LBB157_6:
	s_or_b32 exec_lo, exec_lo, s2
	s_wait_dscnt 0x0
	s_barrier_signal -1
	s_barrier_wait -1
	s_load_b32 s2, s[0:1], 0xc9c
	v_mov_b32_e32 v6, 0
	s_wait_kmcnt 0x0
	s_bfe_u32 s2, s2, 0xb0005
	s_delay_alu instid0(SALU_CYCLE_1)
	v_cmp_gt_u32_e32 vcc_lo, s2, v0
	s_and_saveexec_b32 s2, vcc_lo
; %bb.7:
	v_lshlrev_b32_e32 v6, 2, v7
	ds_load_b32 v6, v6
; %bb.8:
	s_or_b32 exec_lo, exec_lo, s2
	s_delay_alu instid0(SALU_CYCLE_1)
	s_mov_b32 s2, exec_lo
	v_cmpx_gt_u32_e32 32, v0
	s_cbranch_execz .LBB157_10
; %bb.9:
	s_wait_dscnt 0x0
	ds_bpermute_b32 v2, v2, v6
	s_wait_dscnt 0x0
	v_add_f32_e32 v2, v6, v2
	ds_bpermute_b32 v3, v3, v2
	s_wait_dscnt 0x0
	v_add_f32_e32 v2, v2, v3
	;; [unrolled: 3-line block ×5, first 2 shown]
.LBB157_10:
	s_or_b32 exec_lo, exec_lo, s2
	s_delay_alu instid0(SALU_CYCLE_1)
	s_mov_b32 s2, exec_lo
	v_cmpx_eq_u32_e32 0, v0
	s_cbranch_execz .LBB157_12
; %bb.11:
	s_wait_dscnt 0x0
	v_bfe_u32 v0, v6, 16, 1
	s_load_b64 s[0:1], s[0:1], s8 offset:0x8 scale_offset
	v_cmp_o_f32_e32 vcc_lo, v6, v6
	v_mov_b32_e32 v1, 0
	s_delay_alu instid0(VALU_DEP_3) | instskip(NEXT) | instid1(VALU_DEP_1)
	v_add3_u32 v0, v6, v0, 0x7fff
	v_lshrrev_b32_e32 v0, 16, v0
	s_delay_alu instid0(VALU_DEP_1)
	v_cndmask_b32_e32 v0, 0x7fc0, v0, vcc_lo
	s_wait_kmcnt 0x0
	global_store_b16 v1, v0, s[0:1]
.LBB157_12:
	s_endpgm
	.section	.rodata,"a",@progbits
	.p2align	6, 0x0
	.amdhsa_kernel _ZN2at6native14lpnorm_cleanupIdLNS0_8NormTypeE0EN3c108BFloat16ELb0EfEEvPKT3_NS0_19TensorListAddressesEi
		.amdhsa_group_segment_fixed_size 2048
		.amdhsa_private_segment_fixed_size 0
		.amdhsa_kernarg_size 3472
		.amdhsa_user_sgpr_count 2
		.amdhsa_user_sgpr_dispatch_ptr 0
		.amdhsa_user_sgpr_queue_ptr 0
		.amdhsa_user_sgpr_kernarg_segment_ptr 1
		.amdhsa_user_sgpr_dispatch_id 0
		.amdhsa_user_sgpr_kernarg_preload_length 0
		.amdhsa_user_sgpr_kernarg_preload_offset 0
		.amdhsa_user_sgpr_private_segment_size 0
		.amdhsa_wavefront_size32 1
		.amdhsa_uses_dynamic_stack 0
		.amdhsa_enable_private_segment 0
		.amdhsa_system_sgpr_workgroup_id_x 1
		.amdhsa_system_sgpr_workgroup_id_y 0
		.amdhsa_system_sgpr_workgroup_id_z 0
		.amdhsa_system_sgpr_workgroup_info 0
		.amdhsa_system_vgpr_workitem_id 0
		.amdhsa_next_free_vgpr 9
		.amdhsa_next_free_sgpr 12
		.amdhsa_named_barrier_count 0
		.amdhsa_reserve_vcc 1
		.amdhsa_float_round_mode_32 0
		.amdhsa_float_round_mode_16_64 0
		.amdhsa_float_denorm_mode_32 3
		.amdhsa_float_denorm_mode_16_64 3
		.amdhsa_fp16_overflow 0
		.amdhsa_memory_ordered 1
		.amdhsa_forward_progress 1
		.amdhsa_inst_pref_size 6
		.amdhsa_round_robin_scheduling 0
		.amdhsa_exception_fp_ieee_invalid_op 0
		.amdhsa_exception_fp_denorm_src 0
		.amdhsa_exception_fp_ieee_div_zero 0
		.amdhsa_exception_fp_ieee_overflow 0
		.amdhsa_exception_fp_ieee_underflow 0
		.amdhsa_exception_fp_ieee_inexact 0
		.amdhsa_exception_int_div_zero 0
	.end_amdhsa_kernel
	.section	.text._ZN2at6native14lpnorm_cleanupIdLNS0_8NormTypeE0EN3c108BFloat16ELb0EfEEvPKT3_NS0_19TensorListAddressesEi,"axG",@progbits,_ZN2at6native14lpnorm_cleanupIdLNS0_8NormTypeE0EN3c108BFloat16ELb0EfEEvPKT3_NS0_19TensorListAddressesEi,comdat
.Lfunc_end157:
	.size	_ZN2at6native14lpnorm_cleanupIdLNS0_8NormTypeE0EN3c108BFloat16ELb0EfEEvPKT3_NS0_19TensorListAddressesEi, .Lfunc_end157-_ZN2at6native14lpnorm_cleanupIdLNS0_8NormTypeE0EN3c108BFloat16ELb0EfEEvPKT3_NS0_19TensorListAddressesEi
                                        ; -- End function
	.set _ZN2at6native14lpnorm_cleanupIdLNS0_8NormTypeE0EN3c108BFloat16ELb0EfEEvPKT3_NS0_19TensorListAddressesEi.num_vgpr, 9
	.set _ZN2at6native14lpnorm_cleanupIdLNS0_8NormTypeE0EN3c108BFloat16ELb0EfEEvPKT3_NS0_19TensorListAddressesEi.num_agpr, 0
	.set _ZN2at6native14lpnorm_cleanupIdLNS0_8NormTypeE0EN3c108BFloat16ELb0EfEEvPKT3_NS0_19TensorListAddressesEi.numbered_sgpr, 12
	.set _ZN2at6native14lpnorm_cleanupIdLNS0_8NormTypeE0EN3c108BFloat16ELb0EfEEvPKT3_NS0_19TensorListAddressesEi.num_named_barrier, 0
	.set _ZN2at6native14lpnorm_cleanupIdLNS0_8NormTypeE0EN3c108BFloat16ELb0EfEEvPKT3_NS0_19TensorListAddressesEi.private_seg_size, 0
	.set _ZN2at6native14lpnorm_cleanupIdLNS0_8NormTypeE0EN3c108BFloat16ELb0EfEEvPKT3_NS0_19TensorListAddressesEi.uses_vcc, 1
	.set _ZN2at6native14lpnorm_cleanupIdLNS0_8NormTypeE0EN3c108BFloat16ELb0EfEEvPKT3_NS0_19TensorListAddressesEi.uses_flat_scratch, 0
	.set _ZN2at6native14lpnorm_cleanupIdLNS0_8NormTypeE0EN3c108BFloat16ELb0EfEEvPKT3_NS0_19TensorListAddressesEi.has_dyn_sized_stack, 0
	.set _ZN2at6native14lpnorm_cleanupIdLNS0_8NormTypeE0EN3c108BFloat16ELb0EfEEvPKT3_NS0_19TensorListAddressesEi.has_recursion, 0
	.set _ZN2at6native14lpnorm_cleanupIdLNS0_8NormTypeE0EN3c108BFloat16ELb0EfEEvPKT3_NS0_19TensorListAddressesEi.has_indirect_call, 0
	.section	.AMDGPU.csdata,"",@progbits
; Kernel info:
; codeLenInByte = 712
; TotalNumSgprs: 14
; NumVgprs: 9
; ScratchSize: 0
; MemoryBound: 0
; FloatMode: 240
; IeeeMode: 1
; LDSByteSize: 2048 bytes/workgroup (compile time only)
; SGPRBlocks: 0
; VGPRBlocks: 0
; NumSGPRsForWavesPerEU: 14
; NumVGPRsForWavesPerEU: 9
; NamedBarCnt: 0
; Occupancy: 16
; WaveLimiterHint : 0
; COMPUTE_PGM_RSRC2:SCRATCH_EN: 0
; COMPUTE_PGM_RSRC2:USER_SGPR: 2
; COMPUTE_PGM_RSRC2:TRAP_HANDLER: 0
; COMPUTE_PGM_RSRC2:TGID_X_EN: 1
; COMPUTE_PGM_RSRC2:TGID_Y_EN: 0
; COMPUTE_PGM_RSRC2:TGID_Z_EN: 0
; COMPUTE_PGM_RSRC2:TIDIG_COMP_CNT: 0
	.section	.text._ZN2at6native14lpnorm_cleanupIdLNS0_8NormTypeE1EN3c108BFloat16ELb0EfEEvPKT3_NS0_19TensorListAddressesEi,"axG",@progbits,_ZN2at6native14lpnorm_cleanupIdLNS0_8NormTypeE1EN3c108BFloat16ELb0EfEEvPKT3_NS0_19TensorListAddressesEi,comdat
	.protected	_ZN2at6native14lpnorm_cleanupIdLNS0_8NormTypeE1EN3c108BFloat16ELb0EfEEvPKT3_NS0_19TensorListAddressesEi ; -- Begin function _ZN2at6native14lpnorm_cleanupIdLNS0_8NormTypeE1EN3c108BFloat16ELb0EfEEvPKT3_NS0_19TensorListAddressesEi
	.globl	_ZN2at6native14lpnorm_cleanupIdLNS0_8NormTypeE1EN3c108BFloat16ELb0EfEEvPKT3_NS0_19TensorListAddressesEi
	.p2align	8
	.type	_ZN2at6native14lpnorm_cleanupIdLNS0_8NormTypeE1EN3c108BFloat16ELb0EfEEvPKT3_NS0_19TensorListAddressesEi,@function
_ZN2at6native14lpnorm_cleanupIdLNS0_8NormTypeE1EN3c108BFloat16ELb0EfEEvPKT3_NS0_19TensorListAddressesEi: ; @_ZN2at6native14lpnorm_cleanupIdLNS0_8NormTypeE1EN3c108BFloat16ELb0EfEEvPKT3_NS0_19TensorListAddressesEi
; %bb.0:
	s_load_b32 s2, s[0:1], 0xc88
	s_bfe_u32 s3, ttmp6, 0x4000c
	s_and_b32 s4, ttmp6, 15
	s_add_co_i32 s3, s3, 1
	s_getreg_b32 s5, hwreg(HW_REG_IB_STS2, 6, 4)
	s_mul_i32 s3, ttmp9, s3
	v_mov_b32_e32 v1, 0
	s_add_co_i32 s4, s4, s3
	s_cmp_eq_u32 s5, 0
	s_mov_b32 s5, 0
	s_cselect_b32 s8, ttmp9, s4
	s_mov_b32 s9, exec_lo
	s_wait_kmcnt 0x0
	v_cmpx_gt_u32_e64 s2, v0
	s_cbranch_execz .LBB158_4
; %bb.1:
	s_clause 0x1
	s_load_b64 s[6:7], s[0:1], 0x0
	s_load_b32 s4, s[0:1], 0xc9c
	v_dual_mov_b32 v1, 0 :: v_dual_lshlrev_b32 v2, 2, v0
	s_mul_i32 s10, s2, s8
	s_mov_b32 s11, s5
	s_ashr_i32 s3, s2, 31
	s_delay_alu instid0(VALU_DEP_1)
	v_mov_b32_e32 v3, v1
	s_lshl_b64 s[10:11], s[10:11], 2
	v_mov_b64_e32 v[4:5], v[0:1]
	s_wait_kmcnt 0x0
	s_add_nc_u64 s[6:7], s[6:7], s[10:11]
	s_and_b32 s4, s4, 0xffff
	v_add_nc_u64_e32 v[2:3], s[6:7], v[2:3]
	s_lshl_b32 s6, s4, 2
	s_mov_b32 s7, s5
	s_mov_b32 s10, s5
.LBB158_2:                              ; =>This Inner Loop Header: Depth=1
	global_load_b32 v6, v[2:3], off
	v_add_nc_u64_e32 v[4:5], s[4:5], v[4:5]
	s_wait_xcnt 0x0
	v_add_nc_u64_e32 v[2:3], s[6:7], v[2:3]
	s_delay_alu instid0(VALU_DEP_2)
	v_cmp_le_u64_e32 vcc_lo, s[2:3], v[4:5]
	s_or_b32 s10, vcc_lo, s10
	s_wait_loadcnt 0x0
	v_add_f32_e32 v1, v1, v6
	s_and_not1_b32 exec_lo, exec_lo, s10
	s_cbranch_execnz .LBB158_2
; %bb.3:
	s_or_b32 exec_lo, exec_lo, s10
.LBB158_4:
	s_delay_alu instid0(SALU_CYCLE_1) | instskip(SKIP_4) | instid1(VALU_DEP_1)
	s_or_b32 exec_lo, exec_lo, s9
	v_mbcnt_lo_u32_b32 v5, -1, 0
	s_mov_b32 s2, exec_lo
	s_barrier_signal -1
	s_barrier_wait -1
	v_lshl_or_b32 v2, v5, 2, 64
	v_cmp_gt_u32_e32 vcc_lo, 24, v5
	ds_bpermute_b32 v4, v2, v1
	v_cndmask_b32_e64 v3, 0, 8, vcc_lo
	v_cmp_gt_u32_e32 vcc_lo, 28, v5
	s_delay_alu instid0(VALU_DEP_2)
	v_add_lshl_u32 v3, v3, v5, 2
	s_wait_dscnt 0x0
	v_add_f32_e32 v4, v1, v4
	v_cndmask_b32_e64 v1, 0, 4, vcc_lo
	v_cmp_gt_u32_e32 vcc_lo, 30, v5
	ds_bpermute_b32 v6, v3, v4
	v_add_lshl_u32 v1, v1, v5, 2
	s_wait_dscnt 0x0
	v_add_f32_e32 v6, v4, v6
	v_cndmask_b32_e64 v4, 0, 2, vcc_lo
	v_cmp_ne_u32_e32 vcc_lo, 31, v5
	s_delay_alu instid0(VALU_DEP_2) | instskip(SKIP_1) | instid1(VALU_DEP_1)
	v_add_lshl_u32 v4, v4, v5, 2
	v_add_co_ci_u32_e64 v5, null, 0, v5, vcc_lo
	v_lshlrev_b32_e32 v5, 2, v5
	ds_bpermute_b32 v7, v1, v6
	s_wait_dscnt 0x0
	v_add_f32_e32 v6, v6, v7
	ds_bpermute_b32 v7, v4, v6
	s_wait_dscnt 0x0
	v_dual_add_f32 v6, v6, v7 :: v_dual_bitop2_b32 v7, 31, v0 bitop3:0x40
	ds_bpermute_b32 v8, v5, v6
	v_cmpx_eq_u32_e32 0, v7
	s_cbranch_execz .LBB158_6
; %bb.5:
	s_wait_dscnt 0x0
	v_add_f32_e32 v6, v6, v8
	v_lshrrev_b32_e32 v8, 3, v0
	ds_store_b32 v8, v6
.LBB158_6:
	s_or_b32 exec_lo, exec_lo, s2
	s_wait_dscnt 0x0
	s_barrier_signal -1
	s_barrier_wait -1
	s_load_b32 s2, s[0:1], 0xc9c
	v_mov_b32_e32 v6, 0
	s_wait_kmcnt 0x0
	s_bfe_u32 s2, s2, 0xb0005
	s_delay_alu instid0(SALU_CYCLE_1)
	v_cmp_gt_u32_e32 vcc_lo, s2, v0
	s_and_saveexec_b32 s2, vcc_lo
; %bb.7:
	v_lshlrev_b32_e32 v6, 2, v7
	ds_load_b32 v6, v6
; %bb.8:
	s_or_b32 exec_lo, exec_lo, s2
	s_delay_alu instid0(SALU_CYCLE_1)
	s_mov_b32 s2, exec_lo
	v_cmpx_gt_u32_e32 32, v0
	s_cbranch_execz .LBB158_10
; %bb.9:
	s_wait_dscnt 0x0
	ds_bpermute_b32 v2, v2, v6
	s_wait_dscnt 0x0
	v_add_f32_e32 v2, v6, v2
	ds_bpermute_b32 v3, v3, v2
	s_wait_dscnt 0x0
	v_add_f32_e32 v2, v2, v3
	;; [unrolled: 3-line block ×5, first 2 shown]
.LBB158_10:
	s_or_b32 exec_lo, exec_lo, s2
	s_delay_alu instid0(SALU_CYCLE_1)
	s_mov_b32 s2, exec_lo
	v_cmpx_eq_u32_e32 0, v0
	s_cbranch_execz .LBB158_12
; %bb.11:
	s_wait_dscnt 0x0
	v_bfe_u32 v0, v6, 16, 1
	s_load_b64 s[0:1], s[0:1], s8 offset:0x8 scale_offset
	v_cmp_o_f32_e32 vcc_lo, v6, v6
	v_mov_b32_e32 v1, 0
	s_delay_alu instid0(VALU_DEP_3) | instskip(NEXT) | instid1(VALU_DEP_1)
	v_add3_u32 v0, v6, v0, 0x7fff
	v_lshrrev_b32_e32 v0, 16, v0
	s_delay_alu instid0(VALU_DEP_1)
	v_cndmask_b32_e32 v0, 0x7fc0, v0, vcc_lo
	s_wait_kmcnt 0x0
	global_store_b16 v1, v0, s[0:1]
.LBB158_12:
	s_endpgm
	.section	.rodata,"a",@progbits
	.p2align	6, 0x0
	.amdhsa_kernel _ZN2at6native14lpnorm_cleanupIdLNS0_8NormTypeE1EN3c108BFloat16ELb0EfEEvPKT3_NS0_19TensorListAddressesEi
		.amdhsa_group_segment_fixed_size 2048
		.amdhsa_private_segment_fixed_size 0
		.amdhsa_kernarg_size 3472
		.amdhsa_user_sgpr_count 2
		.amdhsa_user_sgpr_dispatch_ptr 0
		.amdhsa_user_sgpr_queue_ptr 0
		.amdhsa_user_sgpr_kernarg_segment_ptr 1
		.amdhsa_user_sgpr_dispatch_id 0
		.amdhsa_user_sgpr_kernarg_preload_length 0
		.amdhsa_user_sgpr_kernarg_preload_offset 0
		.amdhsa_user_sgpr_private_segment_size 0
		.amdhsa_wavefront_size32 1
		.amdhsa_uses_dynamic_stack 0
		.amdhsa_enable_private_segment 0
		.amdhsa_system_sgpr_workgroup_id_x 1
		.amdhsa_system_sgpr_workgroup_id_y 0
		.amdhsa_system_sgpr_workgroup_id_z 0
		.amdhsa_system_sgpr_workgroup_info 0
		.amdhsa_system_vgpr_workitem_id 0
		.amdhsa_next_free_vgpr 9
		.amdhsa_next_free_sgpr 12
		.amdhsa_named_barrier_count 0
		.amdhsa_reserve_vcc 1
		.amdhsa_float_round_mode_32 0
		.amdhsa_float_round_mode_16_64 0
		.amdhsa_float_denorm_mode_32 3
		.amdhsa_float_denorm_mode_16_64 3
		.amdhsa_fp16_overflow 0
		.amdhsa_memory_ordered 1
		.amdhsa_forward_progress 1
		.amdhsa_inst_pref_size 6
		.amdhsa_round_robin_scheduling 0
		.amdhsa_exception_fp_ieee_invalid_op 0
		.amdhsa_exception_fp_denorm_src 0
		.amdhsa_exception_fp_ieee_div_zero 0
		.amdhsa_exception_fp_ieee_overflow 0
		.amdhsa_exception_fp_ieee_underflow 0
		.amdhsa_exception_fp_ieee_inexact 0
		.amdhsa_exception_int_div_zero 0
	.end_amdhsa_kernel
	.section	.text._ZN2at6native14lpnorm_cleanupIdLNS0_8NormTypeE1EN3c108BFloat16ELb0EfEEvPKT3_NS0_19TensorListAddressesEi,"axG",@progbits,_ZN2at6native14lpnorm_cleanupIdLNS0_8NormTypeE1EN3c108BFloat16ELb0EfEEvPKT3_NS0_19TensorListAddressesEi,comdat
.Lfunc_end158:
	.size	_ZN2at6native14lpnorm_cleanupIdLNS0_8NormTypeE1EN3c108BFloat16ELb0EfEEvPKT3_NS0_19TensorListAddressesEi, .Lfunc_end158-_ZN2at6native14lpnorm_cleanupIdLNS0_8NormTypeE1EN3c108BFloat16ELb0EfEEvPKT3_NS0_19TensorListAddressesEi
                                        ; -- End function
	.set _ZN2at6native14lpnorm_cleanupIdLNS0_8NormTypeE1EN3c108BFloat16ELb0EfEEvPKT3_NS0_19TensorListAddressesEi.num_vgpr, 9
	.set _ZN2at6native14lpnorm_cleanupIdLNS0_8NormTypeE1EN3c108BFloat16ELb0EfEEvPKT3_NS0_19TensorListAddressesEi.num_agpr, 0
	.set _ZN2at6native14lpnorm_cleanupIdLNS0_8NormTypeE1EN3c108BFloat16ELb0EfEEvPKT3_NS0_19TensorListAddressesEi.numbered_sgpr, 12
	.set _ZN2at6native14lpnorm_cleanupIdLNS0_8NormTypeE1EN3c108BFloat16ELb0EfEEvPKT3_NS0_19TensorListAddressesEi.num_named_barrier, 0
	.set _ZN2at6native14lpnorm_cleanupIdLNS0_8NormTypeE1EN3c108BFloat16ELb0EfEEvPKT3_NS0_19TensorListAddressesEi.private_seg_size, 0
	.set _ZN2at6native14lpnorm_cleanupIdLNS0_8NormTypeE1EN3c108BFloat16ELb0EfEEvPKT3_NS0_19TensorListAddressesEi.uses_vcc, 1
	.set _ZN2at6native14lpnorm_cleanupIdLNS0_8NormTypeE1EN3c108BFloat16ELb0EfEEvPKT3_NS0_19TensorListAddressesEi.uses_flat_scratch, 0
	.set _ZN2at6native14lpnorm_cleanupIdLNS0_8NormTypeE1EN3c108BFloat16ELb0EfEEvPKT3_NS0_19TensorListAddressesEi.has_dyn_sized_stack, 0
	.set _ZN2at6native14lpnorm_cleanupIdLNS0_8NormTypeE1EN3c108BFloat16ELb0EfEEvPKT3_NS0_19TensorListAddressesEi.has_recursion, 0
	.set _ZN2at6native14lpnorm_cleanupIdLNS0_8NormTypeE1EN3c108BFloat16ELb0EfEEvPKT3_NS0_19TensorListAddressesEi.has_indirect_call, 0
	.section	.AMDGPU.csdata,"",@progbits
; Kernel info:
; codeLenInByte = 712
; TotalNumSgprs: 14
; NumVgprs: 9
; ScratchSize: 0
; MemoryBound: 0
; FloatMode: 240
; IeeeMode: 1
; LDSByteSize: 2048 bytes/workgroup (compile time only)
; SGPRBlocks: 0
; VGPRBlocks: 0
; NumSGPRsForWavesPerEU: 14
; NumVGPRsForWavesPerEU: 9
; NamedBarCnt: 0
; Occupancy: 16
; WaveLimiterHint : 0
; COMPUTE_PGM_RSRC2:SCRATCH_EN: 0
; COMPUTE_PGM_RSRC2:USER_SGPR: 2
; COMPUTE_PGM_RSRC2:TRAP_HANDLER: 0
; COMPUTE_PGM_RSRC2:TGID_X_EN: 1
; COMPUTE_PGM_RSRC2:TGID_Y_EN: 0
; COMPUTE_PGM_RSRC2:TGID_Z_EN: 0
; COMPUTE_PGM_RSRC2:TIDIG_COMP_CNT: 0
	.section	.text._ZN2at6native14lpnorm_cleanupIdLNS0_8NormTypeE2EN3c108BFloat16ELb0EfEEvPKT3_NS0_19TensorListAddressesEi,"axG",@progbits,_ZN2at6native14lpnorm_cleanupIdLNS0_8NormTypeE2EN3c108BFloat16ELb0EfEEvPKT3_NS0_19TensorListAddressesEi,comdat
	.protected	_ZN2at6native14lpnorm_cleanupIdLNS0_8NormTypeE2EN3c108BFloat16ELb0EfEEvPKT3_NS0_19TensorListAddressesEi ; -- Begin function _ZN2at6native14lpnorm_cleanupIdLNS0_8NormTypeE2EN3c108BFloat16ELb0EfEEvPKT3_NS0_19TensorListAddressesEi
	.globl	_ZN2at6native14lpnorm_cleanupIdLNS0_8NormTypeE2EN3c108BFloat16ELb0EfEEvPKT3_NS0_19TensorListAddressesEi
	.p2align	8
	.type	_ZN2at6native14lpnorm_cleanupIdLNS0_8NormTypeE2EN3c108BFloat16ELb0EfEEvPKT3_NS0_19TensorListAddressesEi,@function
_ZN2at6native14lpnorm_cleanupIdLNS0_8NormTypeE2EN3c108BFloat16ELb0EfEEvPKT3_NS0_19TensorListAddressesEi: ; @_ZN2at6native14lpnorm_cleanupIdLNS0_8NormTypeE2EN3c108BFloat16ELb0EfEEvPKT3_NS0_19TensorListAddressesEi
; %bb.0:
	s_load_b32 s2, s[0:1], 0xc88
	s_bfe_u32 s3, ttmp6, 0x4000c
	s_and_b32 s4, ttmp6, 15
	s_add_co_i32 s3, s3, 1
	s_getreg_b32 s5, hwreg(HW_REG_IB_STS2, 6, 4)
	s_mul_i32 s3, ttmp9, s3
	v_mov_b32_e32 v1, 0
	s_add_co_i32 s4, s4, s3
	s_cmp_eq_u32 s5, 0
	s_mov_b32 s5, 0
	s_cselect_b32 s8, ttmp9, s4
	s_mov_b32 s9, exec_lo
	s_wait_kmcnt 0x0
	v_cmpx_gt_u32_e64 s2, v0
	s_cbranch_execz .LBB159_4
; %bb.1:
	s_clause 0x1
	s_load_b64 s[6:7], s[0:1], 0x0
	s_load_b32 s4, s[0:1], 0xc9c
	v_dual_mov_b32 v1, 0 :: v_dual_lshlrev_b32 v2, 2, v0
	s_mul_i32 s10, s2, s8
	s_mov_b32 s11, s5
	s_ashr_i32 s3, s2, 31
	s_delay_alu instid0(VALU_DEP_1)
	v_mov_b32_e32 v3, v1
	s_lshl_b64 s[10:11], s[10:11], 2
	v_mov_b64_e32 v[4:5], v[0:1]
	s_wait_kmcnt 0x0
	s_add_nc_u64 s[6:7], s[6:7], s[10:11]
	s_and_b32 s4, s4, 0xffff
	v_add_nc_u64_e32 v[2:3], s[6:7], v[2:3]
	s_lshl_b32 s6, s4, 2
	s_mov_b32 s7, s5
	s_mov_b32 s10, s5
.LBB159_2:                              ; =>This Inner Loop Header: Depth=1
	global_load_b32 v6, v[2:3], off
	v_add_nc_u64_e32 v[4:5], s[4:5], v[4:5]
	s_wait_xcnt 0x0
	v_add_nc_u64_e32 v[2:3], s[6:7], v[2:3]
	s_delay_alu instid0(VALU_DEP_2)
	v_cmp_le_u64_e32 vcc_lo, s[2:3], v[4:5]
	s_or_b32 s10, vcc_lo, s10
	s_wait_loadcnt 0x0
	v_add_f32_e32 v1, v1, v6
	s_and_not1_b32 exec_lo, exec_lo, s10
	s_cbranch_execnz .LBB159_2
; %bb.3:
	s_or_b32 exec_lo, exec_lo, s10
.LBB159_4:
	s_delay_alu instid0(SALU_CYCLE_1) | instskip(SKIP_4) | instid1(VALU_DEP_1)
	s_or_b32 exec_lo, exec_lo, s9
	v_mbcnt_lo_u32_b32 v5, -1, 0
	s_mov_b32 s2, exec_lo
	s_barrier_signal -1
	s_barrier_wait -1
	v_lshl_or_b32 v2, v5, 2, 64
	v_cmp_gt_u32_e32 vcc_lo, 24, v5
	ds_bpermute_b32 v4, v2, v1
	v_cndmask_b32_e64 v3, 0, 8, vcc_lo
	v_cmp_gt_u32_e32 vcc_lo, 28, v5
	s_delay_alu instid0(VALU_DEP_2)
	v_add_lshl_u32 v3, v3, v5, 2
	s_wait_dscnt 0x0
	v_add_f32_e32 v4, v1, v4
	v_cndmask_b32_e64 v1, 0, 4, vcc_lo
	v_cmp_gt_u32_e32 vcc_lo, 30, v5
	ds_bpermute_b32 v6, v3, v4
	v_add_lshl_u32 v1, v1, v5, 2
	s_wait_dscnt 0x0
	v_add_f32_e32 v6, v4, v6
	v_cndmask_b32_e64 v4, 0, 2, vcc_lo
	v_cmp_ne_u32_e32 vcc_lo, 31, v5
	s_delay_alu instid0(VALU_DEP_2) | instskip(SKIP_1) | instid1(VALU_DEP_1)
	v_add_lshl_u32 v4, v4, v5, 2
	v_add_co_ci_u32_e64 v5, null, 0, v5, vcc_lo
	v_lshlrev_b32_e32 v5, 2, v5
	ds_bpermute_b32 v7, v1, v6
	s_wait_dscnt 0x0
	v_add_f32_e32 v6, v6, v7
	ds_bpermute_b32 v7, v4, v6
	s_wait_dscnt 0x0
	v_dual_add_f32 v6, v6, v7 :: v_dual_bitop2_b32 v7, 31, v0 bitop3:0x40
	ds_bpermute_b32 v8, v5, v6
	v_cmpx_eq_u32_e32 0, v7
	s_cbranch_execz .LBB159_6
; %bb.5:
	s_wait_dscnt 0x0
	v_add_f32_e32 v6, v6, v8
	v_lshrrev_b32_e32 v8, 3, v0
	ds_store_b32 v8, v6
.LBB159_6:
	s_or_b32 exec_lo, exec_lo, s2
	s_wait_dscnt 0x0
	s_barrier_signal -1
	s_barrier_wait -1
	s_load_b32 s2, s[0:1], 0xc9c
	v_mov_b32_e32 v6, 0
	s_wait_kmcnt 0x0
	s_bfe_u32 s2, s2, 0xb0005
	s_delay_alu instid0(SALU_CYCLE_1)
	v_cmp_gt_u32_e32 vcc_lo, s2, v0
	s_and_saveexec_b32 s2, vcc_lo
; %bb.7:
	v_lshlrev_b32_e32 v6, 2, v7
	ds_load_b32 v6, v6
; %bb.8:
	s_or_b32 exec_lo, exec_lo, s2
	s_delay_alu instid0(SALU_CYCLE_1)
	s_mov_b32 s2, exec_lo
	v_cmpx_gt_u32_e32 32, v0
	s_cbranch_execz .LBB159_10
; %bb.9:
	s_wait_dscnt 0x0
	ds_bpermute_b32 v2, v2, v6
	s_wait_dscnt 0x0
	v_add_f32_e32 v2, v6, v2
	ds_bpermute_b32 v3, v3, v2
	s_wait_dscnt 0x0
	v_add_f32_e32 v2, v2, v3
	ds_bpermute_b32 v1, v1, v2
	s_wait_dscnt 0x0
	v_add_f32_e32 v1, v2, v1
	ds_bpermute_b32 v2, v4, v1
	s_wait_dscnt 0x0
	v_add_f32_e32 v1, v1, v2
	ds_bpermute_b32 v2, v5, v1
	s_wait_dscnt 0x0
	v_add_f32_e32 v6, v1, v2
.LBB159_10:
	s_or_b32 exec_lo, exec_lo, s2
	s_delay_alu instid0(SALU_CYCLE_1)
	s_mov_b32 s2, exec_lo
	v_cmpx_eq_u32_e32 0, v0
	s_cbranch_execz .LBB159_12
; %bb.11:
	s_wait_dscnt 0x0
	v_bfe_u32 v0, v6, 16, 1
	s_load_b64 s[0:1], s[0:1], s8 offset:0x8 scale_offset
	v_cmp_o_f32_e32 vcc_lo, v6, v6
	v_mov_b32_e32 v1, 0
	s_delay_alu instid0(VALU_DEP_3) | instskip(NEXT) | instid1(VALU_DEP_1)
	v_add3_u32 v0, v6, v0, 0x7fff
	v_lshrrev_b32_e32 v0, 16, v0
	s_delay_alu instid0(VALU_DEP_1)
	v_cndmask_b32_e32 v0, 0x7fc0, v0, vcc_lo
	s_wait_kmcnt 0x0
	global_store_b16 v1, v0, s[0:1]
.LBB159_12:
	s_endpgm
	.section	.rodata,"a",@progbits
	.p2align	6, 0x0
	.amdhsa_kernel _ZN2at6native14lpnorm_cleanupIdLNS0_8NormTypeE2EN3c108BFloat16ELb0EfEEvPKT3_NS0_19TensorListAddressesEi
		.amdhsa_group_segment_fixed_size 2048
		.amdhsa_private_segment_fixed_size 0
		.amdhsa_kernarg_size 3472
		.amdhsa_user_sgpr_count 2
		.amdhsa_user_sgpr_dispatch_ptr 0
		.amdhsa_user_sgpr_queue_ptr 0
		.amdhsa_user_sgpr_kernarg_segment_ptr 1
		.amdhsa_user_sgpr_dispatch_id 0
		.amdhsa_user_sgpr_kernarg_preload_length 0
		.amdhsa_user_sgpr_kernarg_preload_offset 0
		.amdhsa_user_sgpr_private_segment_size 0
		.amdhsa_wavefront_size32 1
		.amdhsa_uses_dynamic_stack 0
		.amdhsa_enable_private_segment 0
		.amdhsa_system_sgpr_workgroup_id_x 1
		.amdhsa_system_sgpr_workgroup_id_y 0
		.amdhsa_system_sgpr_workgroup_id_z 0
		.amdhsa_system_sgpr_workgroup_info 0
		.amdhsa_system_vgpr_workitem_id 0
		.amdhsa_next_free_vgpr 9
		.amdhsa_next_free_sgpr 12
		.amdhsa_named_barrier_count 0
		.amdhsa_reserve_vcc 1
		.amdhsa_float_round_mode_32 0
		.amdhsa_float_round_mode_16_64 0
		.amdhsa_float_denorm_mode_32 3
		.amdhsa_float_denorm_mode_16_64 3
		.amdhsa_fp16_overflow 0
		.amdhsa_memory_ordered 1
		.amdhsa_forward_progress 1
		.amdhsa_inst_pref_size 6
		.amdhsa_round_robin_scheduling 0
		.amdhsa_exception_fp_ieee_invalid_op 0
		.amdhsa_exception_fp_denorm_src 0
		.amdhsa_exception_fp_ieee_div_zero 0
		.amdhsa_exception_fp_ieee_overflow 0
		.amdhsa_exception_fp_ieee_underflow 0
		.amdhsa_exception_fp_ieee_inexact 0
		.amdhsa_exception_int_div_zero 0
	.end_amdhsa_kernel
	.section	.text._ZN2at6native14lpnorm_cleanupIdLNS0_8NormTypeE2EN3c108BFloat16ELb0EfEEvPKT3_NS0_19TensorListAddressesEi,"axG",@progbits,_ZN2at6native14lpnorm_cleanupIdLNS0_8NormTypeE2EN3c108BFloat16ELb0EfEEvPKT3_NS0_19TensorListAddressesEi,comdat
.Lfunc_end159:
	.size	_ZN2at6native14lpnorm_cleanupIdLNS0_8NormTypeE2EN3c108BFloat16ELb0EfEEvPKT3_NS0_19TensorListAddressesEi, .Lfunc_end159-_ZN2at6native14lpnorm_cleanupIdLNS0_8NormTypeE2EN3c108BFloat16ELb0EfEEvPKT3_NS0_19TensorListAddressesEi
                                        ; -- End function
	.set _ZN2at6native14lpnorm_cleanupIdLNS0_8NormTypeE2EN3c108BFloat16ELb0EfEEvPKT3_NS0_19TensorListAddressesEi.num_vgpr, 9
	.set _ZN2at6native14lpnorm_cleanupIdLNS0_8NormTypeE2EN3c108BFloat16ELb0EfEEvPKT3_NS0_19TensorListAddressesEi.num_agpr, 0
	.set _ZN2at6native14lpnorm_cleanupIdLNS0_8NormTypeE2EN3c108BFloat16ELb0EfEEvPKT3_NS0_19TensorListAddressesEi.numbered_sgpr, 12
	.set _ZN2at6native14lpnorm_cleanupIdLNS0_8NormTypeE2EN3c108BFloat16ELb0EfEEvPKT3_NS0_19TensorListAddressesEi.num_named_barrier, 0
	.set _ZN2at6native14lpnorm_cleanupIdLNS0_8NormTypeE2EN3c108BFloat16ELb0EfEEvPKT3_NS0_19TensorListAddressesEi.private_seg_size, 0
	.set _ZN2at6native14lpnorm_cleanupIdLNS0_8NormTypeE2EN3c108BFloat16ELb0EfEEvPKT3_NS0_19TensorListAddressesEi.uses_vcc, 1
	.set _ZN2at6native14lpnorm_cleanupIdLNS0_8NormTypeE2EN3c108BFloat16ELb0EfEEvPKT3_NS0_19TensorListAddressesEi.uses_flat_scratch, 0
	.set _ZN2at6native14lpnorm_cleanupIdLNS0_8NormTypeE2EN3c108BFloat16ELb0EfEEvPKT3_NS0_19TensorListAddressesEi.has_dyn_sized_stack, 0
	.set _ZN2at6native14lpnorm_cleanupIdLNS0_8NormTypeE2EN3c108BFloat16ELb0EfEEvPKT3_NS0_19TensorListAddressesEi.has_recursion, 0
	.set _ZN2at6native14lpnorm_cleanupIdLNS0_8NormTypeE2EN3c108BFloat16ELb0EfEEvPKT3_NS0_19TensorListAddressesEi.has_indirect_call, 0
	.section	.AMDGPU.csdata,"",@progbits
; Kernel info:
; codeLenInByte = 712
; TotalNumSgprs: 14
; NumVgprs: 9
; ScratchSize: 0
; MemoryBound: 0
; FloatMode: 240
; IeeeMode: 1
; LDSByteSize: 2048 bytes/workgroup (compile time only)
; SGPRBlocks: 0
; VGPRBlocks: 0
; NumSGPRsForWavesPerEU: 14
; NumVGPRsForWavesPerEU: 9
; NamedBarCnt: 0
; Occupancy: 16
; WaveLimiterHint : 0
; COMPUTE_PGM_RSRC2:SCRATCH_EN: 0
; COMPUTE_PGM_RSRC2:USER_SGPR: 2
; COMPUTE_PGM_RSRC2:TRAP_HANDLER: 0
; COMPUTE_PGM_RSRC2:TGID_X_EN: 1
; COMPUTE_PGM_RSRC2:TGID_Y_EN: 0
; COMPUTE_PGM_RSRC2:TGID_Z_EN: 0
; COMPUTE_PGM_RSRC2:TIDIG_COMP_CNT: 0
	.section	.text._ZN2at6native14lpnorm_cleanupIfLNS0_8NormTypeE0EdLb0EdEEvPKT3_NS0_19TensorListAddressesEi,"axG",@progbits,_ZN2at6native14lpnorm_cleanupIfLNS0_8NormTypeE0EdLb0EdEEvPKT3_NS0_19TensorListAddressesEi,comdat
	.protected	_ZN2at6native14lpnorm_cleanupIfLNS0_8NormTypeE0EdLb0EdEEvPKT3_NS0_19TensorListAddressesEi ; -- Begin function _ZN2at6native14lpnorm_cleanupIfLNS0_8NormTypeE0EdLb0EdEEvPKT3_NS0_19TensorListAddressesEi
	.globl	_ZN2at6native14lpnorm_cleanupIfLNS0_8NormTypeE0EdLb0EdEEvPKT3_NS0_19TensorListAddressesEi
	.p2align	8
	.type	_ZN2at6native14lpnorm_cleanupIfLNS0_8NormTypeE0EdLb0EdEEvPKT3_NS0_19TensorListAddressesEi,@function
_ZN2at6native14lpnorm_cleanupIfLNS0_8NormTypeE0EdLb0EdEEvPKT3_NS0_19TensorListAddressesEi: ; @_ZN2at6native14lpnorm_cleanupIfLNS0_8NormTypeE0EdLb0EdEEvPKT3_NS0_19TensorListAddressesEi
; %bb.0:
	s_load_b32 s2, s[0:1], 0xc88
	s_bfe_u32 s3, ttmp6, 0x4000c
	s_and_b32 s4, ttmp6, 15
	s_add_co_i32 s3, s3, 1
	v_mov_b64_e32 v[2:3], 0
	s_mul_i32 s3, ttmp9, s3
	s_mov_b32 s5, 0
	s_add_co_i32 s4, s4, s3
	s_getreg_b32 s3, hwreg(HW_REG_IB_STS2, 6, 4)
	s_mov_b32 s9, exec_lo
	s_cmp_eq_u32 s3, 0
	s_cselect_b32 s8, ttmp9, s4
	s_wait_kmcnt 0x0
	v_cmpx_gt_u32_e64 s2, v0
	s_cbranch_execz .LBB160_4
; %bb.1:
	s_clause 0x1
	s_load_b64 s[6:7], s[0:1], 0x0
	s_load_b32 s4, s[0:1], 0xc9c
	v_dual_mov_b32 v1, 0 :: v_dual_lshlrev_b32 v2, 3, v0
	s_mul_i32 s10, s2, s8
	s_mov_b32 s11, s5
	s_ashr_i32 s3, s2, 31
	s_delay_alu instid0(VALU_DEP_1)
	v_mov_b32_e32 v3, v1
	s_lshl_b64 s[10:11], s[10:11], 3
	v_mov_b64_e32 v[6:7], v[0:1]
	s_wait_kmcnt 0x0
	s_add_nc_u64 s[6:7], s[6:7], s[10:11]
	s_and_b32 s4, s4, 0xffff
	v_add_nc_u64_e32 v[4:5], s[6:7], v[2:3]
	v_mov_b64_e32 v[2:3], 0
	s_lshl_b32 s6, s4, 3
	s_mov_b32 s7, s5
	s_mov_b32 s10, s5
.LBB160_2:                              ; =>This Inner Loop Header: Depth=1
	global_load_b64 v[8:9], v[4:5], off
	v_add_nc_u64_e32 v[6:7], s[4:5], v[6:7]
	s_wait_xcnt 0x0
	v_add_nc_u64_e32 v[4:5], s[6:7], v[4:5]
	s_delay_alu instid0(VALU_DEP_2)
	v_cmp_le_u64_e32 vcc_lo, s[2:3], v[6:7]
	s_or_b32 s10, vcc_lo, s10
	s_wait_loadcnt 0x0
	v_add_f64_e32 v[2:3], v[2:3], v[8:9]
	s_and_not1_b32 exec_lo, exec_lo, s10
	s_cbranch_execnz .LBB160_2
; %bb.3:
	s_or_b32 exec_lo, exec_lo, s10
.LBB160_4:
	s_delay_alu instid0(SALU_CYCLE_1) | instskip(SKIP_4) | instid1(VALU_DEP_2)
	s_or_b32 exec_lo, exec_lo, s9
	v_mbcnt_lo_u32_b32 v9, -1, 0
	v_and_b32_e32 v10, 31, v0
	s_mov_b32 s2, exec_lo
	s_barrier_signal -1
	v_lshl_or_b32 v1, v9, 2, 64
	v_cmp_gt_u32_e32 vcc_lo, 24, v9
	s_barrier_wait -1
	ds_bpermute_b32 v4, v1, v2
	ds_bpermute_b32 v5, v1, v3
	s_wait_dscnt 0x0
	v_add_f64_e32 v[2:3], v[2:3], v[4:5]
	v_cndmask_b32_e64 v4, 0, 8, vcc_lo
	v_cmp_gt_u32_e32 vcc_lo, 28, v9
	s_delay_alu instid0(VALU_DEP_2)
	v_add_lshl_u32 v6, v4, v9, 2
	ds_bpermute_b32 v4, v6, v2
	ds_bpermute_b32 v5, v6, v3
	s_wait_dscnt 0x0
	v_add_f64_e32 v[2:3], v[2:3], v[4:5]
	v_cndmask_b32_e64 v4, 0, 4, vcc_lo
	v_cmp_gt_u32_e32 vcc_lo, 30, v9
	s_delay_alu instid0(VALU_DEP_2)
	v_add_lshl_u32 v7, v4, v9, 2
	ds_bpermute_b32 v4, v7, v2
	ds_bpermute_b32 v5, v7, v3
	s_wait_dscnt 0x0
	v_add_f64_e32 v[2:3], v[2:3], v[4:5]
	v_cndmask_b32_e64 v4, 0, 2, vcc_lo
	v_cmp_ne_u32_e32 vcc_lo, 31, v9
	s_delay_alu instid0(VALU_DEP_2)
	v_add_lshl_u32 v8, v4, v9, 2
	ds_bpermute_b32 v4, v8, v2
	ds_bpermute_b32 v5, v8, v3
	s_wait_dscnt 0x0
	v_add_f64_e32 v[2:3], v[2:3], v[4:5]
	v_add_co_ci_u32_e64 v4, null, 0, v9, vcc_lo
	s_delay_alu instid0(VALU_DEP_1)
	v_lshlrev_b32_e32 v9, 2, v4
	ds_bpermute_b32 v4, v9, v2
	ds_bpermute_b32 v5, v9, v3
	v_cmpx_eq_u32_e32 0, v10
	s_cbranch_execz .LBB160_6
; %bb.5:
	s_wait_dscnt 0x0
	v_add_f64_e32 v[2:3], v[2:3], v[4:5]
	v_lshrrev_b32_e32 v4, 2, v0
	ds_store_b64 v4, v[2:3]
.LBB160_6:
	s_or_b32 exec_lo, exec_lo, s2
	s_wait_dscnt 0x0
	s_barrier_signal -1
	s_barrier_wait -1
	s_load_b32 s2, s[0:1], 0xc9c
	v_mov_b64_e32 v[2:3], 0
	s_wait_kmcnt 0x0
	s_bfe_u32 s2, s2, 0xb0005
	s_delay_alu instid0(SALU_CYCLE_1)
	v_cmp_gt_u32_e32 vcc_lo, s2, v0
	s_and_saveexec_b32 s2, vcc_lo
; %bb.7:
	v_lshlrev_b32_e32 v2, 3, v10
	ds_load_b64 v[2:3], v2
; %bb.8:
	s_or_b32 exec_lo, exec_lo, s2
	s_delay_alu instid0(SALU_CYCLE_1)
	s_mov_b32 s2, exec_lo
	v_cmpx_gt_u32_e32 32, v0
	s_cbranch_execz .LBB160_10
; %bb.9:
	s_wait_dscnt 0x0
	ds_bpermute_b32 v4, v1, v2
	ds_bpermute_b32 v5, v1, v3
	s_wait_dscnt 0x0
	v_add_f64_e32 v[2:3], v[2:3], v[4:5]
	ds_bpermute_b32 v4, v6, v2
	ds_bpermute_b32 v5, v6, v3
	s_wait_dscnt 0x0
	v_add_f64_e32 v[2:3], v[2:3], v[4:5]
	;; [unrolled: 4-line block ×5, first 2 shown]
.LBB160_10:
	s_or_b32 exec_lo, exec_lo, s2
	s_delay_alu instid0(SALU_CYCLE_1)
	s_mov_b32 s2, exec_lo
	v_cmpx_eq_u32_e32 0, v0
	s_cbranch_execz .LBB160_12
; %bb.11:
	s_load_b64 s[0:1], s[0:1], s8 offset:0x8 scale_offset
	v_mov_b32_e32 v0, 0
	s_wait_dscnt 0x0
	s_wait_kmcnt 0x0
	global_store_b64 v0, v[2:3], s[0:1]
.LBB160_12:
	s_endpgm
	.section	.rodata,"a",@progbits
	.p2align	6, 0x0
	.amdhsa_kernel _ZN2at6native14lpnorm_cleanupIfLNS0_8NormTypeE0EdLb0EdEEvPKT3_NS0_19TensorListAddressesEi
		.amdhsa_group_segment_fixed_size 4096
		.amdhsa_private_segment_fixed_size 0
		.amdhsa_kernarg_size 3472
		.amdhsa_user_sgpr_count 2
		.amdhsa_user_sgpr_dispatch_ptr 0
		.amdhsa_user_sgpr_queue_ptr 0
		.amdhsa_user_sgpr_kernarg_segment_ptr 1
		.amdhsa_user_sgpr_dispatch_id 0
		.amdhsa_user_sgpr_kernarg_preload_length 0
		.amdhsa_user_sgpr_kernarg_preload_offset 0
		.amdhsa_user_sgpr_private_segment_size 0
		.amdhsa_wavefront_size32 1
		.amdhsa_uses_dynamic_stack 0
		.amdhsa_enable_private_segment 0
		.amdhsa_system_sgpr_workgroup_id_x 1
		.amdhsa_system_sgpr_workgroup_id_y 0
		.amdhsa_system_sgpr_workgroup_id_z 0
		.amdhsa_system_sgpr_workgroup_info 0
		.amdhsa_system_vgpr_workitem_id 0
		.amdhsa_next_free_vgpr 11
		.amdhsa_next_free_sgpr 12
		.amdhsa_named_barrier_count 0
		.amdhsa_reserve_vcc 1
		.amdhsa_float_round_mode_32 0
		.amdhsa_float_round_mode_16_64 0
		.amdhsa_float_denorm_mode_32 3
		.amdhsa_float_denorm_mode_16_64 3
		.amdhsa_fp16_overflow 0
		.amdhsa_memory_ordered 1
		.amdhsa_forward_progress 1
		.amdhsa_inst_pref_size 6
		.amdhsa_round_robin_scheduling 0
		.amdhsa_exception_fp_ieee_invalid_op 0
		.amdhsa_exception_fp_denorm_src 0
		.amdhsa_exception_fp_ieee_div_zero 0
		.amdhsa_exception_fp_ieee_overflow 0
		.amdhsa_exception_fp_ieee_underflow 0
		.amdhsa_exception_fp_ieee_inexact 0
		.amdhsa_exception_int_div_zero 0
	.end_amdhsa_kernel
	.section	.text._ZN2at6native14lpnorm_cleanupIfLNS0_8NormTypeE0EdLb0EdEEvPKT3_NS0_19TensorListAddressesEi,"axG",@progbits,_ZN2at6native14lpnorm_cleanupIfLNS0_8NormTypeE0EdLb0EdEEvPKT3_NS0_19TensorListAddressesEi,comdat
.Lfunc_end160:
	.size	_ZN2at6native14lpnorm_cleanupIfLNS0_8NormTypeE0EdLb0EdEEvPKT3_NS0_19TensorListAddressesEi, .Lfunc_end160-_ZN2at6native14lpnorm_cleanupIfLNS0_8NormTypeE0EdLb0EdEEvPKT3_NS0_19TensorListAddressesEi
                                        ; -- End function
	.set _ZN2at6native14lpnorm_cleanupIfLNS0_8NormTypeE0EdLb0EdEEvPKT3_NS0_19TensorListAddressesEi.num_vgpr, 11
	.set _ZN2at6native14lpnorm_cleanupIfLNS0_8NormTypeE0EdLb0EdEEvPKT3_NS0_19TensorListAddressesEi.num_agpr, 0
	.set _ZN2at6native14lpnorm_cleanupIfLNS0_8NormTypeE0EdLb0EdEEvPKT3_NS0_19TensorListAddressesEi.numbered_sgpr, 12
	.set _ZN2at6native14lpnorm_cleanupIfLNS0_8NormTypeE0EdLb0EdEEvPKT3_NS0_19TensorListAddressesEi.num_named_barrier, 0
	.set _ZN2at6native14lpnorm_cleanupIfLNS0_8NormTypeE0EdLb0EdEEvPKT3_NS0_19TensorListAddressesEi.private_seg_size, 0
	.set _ZN2at6native14lpnorm_cleanupIfLNS0_8NormTypeE0EdLb0EdEEvPKT3_NS0_19TensorListAddressesEi.uses_vcc, 1
	.set _ZN2at6native14lpnorm_cleanupIfLNS0_8NormTypeE0EdLb0EdEEvPKT3_NS0_19TensorListAddressesEi.uses_flat_scratch, 0
	.set _ZN2at6native14lpnorm_cleanupIfLNS0_8NormTypeE0EdLb0EdEEvPKT3_NS0_19TensorListAddressesEi.has_dyn_sized_stack, 0
	.set _ZN2at6native14lpnorm_cleanupIfLNS0_8NormTypeE0EdLb0EdEEvPKT3_NS0_19TensorListAddressesEi.has_recursion, 0
	.set _ZN2at6native14lpnorm_cleanupIfLNS0_8NormTypeE0EdLb0EdEEvPKT3_NS0_19TensorListAddressesEi.has_indirect_call, 0
	.section	.AMDGPU.csdata,"",@progbits
; Kernel info:
; codeLenInByte = 756
; TotalNumSgprs: 14
; NumVgprs: 11
; ScratchSize: 0
; MemoryBound: 0
; FloatMode: 240
; IeeeMode: 1
; LDSByteSize: 4096 bytes/workgroup (compile time only)
; SGPRBlocks: 0
; VGPRBlocks: 0
; NumSGPRsForWavesPerEU: 14
; NumVGPRsForWavesPerEU: 11
; NamedBarCnt: 0
; Occupancy: 16
; WaveLimiterHint : 0
; COMPUTE_PGM_RSRC2:SCRATCH_EN: 0
; COMPUTE_PGM_RSRC2:USER_SGPR: 2
; COMPUTE_PGM_RSRC2:TRAP_HANDLER: 0
; COMPUTE_PGM_RSRC2:TGID_X_EN: 1
; COMPUTE_PGM_RSRC2:TGID_Y_EN: 0
; COMPUTE_PGM_RSRC2:TGID_Z_EN: 0
; COMPUTE_PGM_RSRC2:TIDIG_COMP_CNT: 0
	.section	.text._ZN2at6native14lpnorm_cleanupIfLNS0_8NormTypeE1EdLb0EdEEvPKT3_NS0_19TensorListAddressesEi,"axG",@progbits,_ZN2at6native14lpnorm_cleanupIfLNS0_8NormTypeE1EdLb0EdEEvPKT3_NS0_19TensorListAddressesEi,comdat
	.protected	_ZN2at6native14lpnorm_cleanupIfLNS0_8NormTypeE1EdLb0EdEEvPKT3_NS0_19TensorListAddressesEi ; -- Begin function _ZN2at6native14lpnorm_cleanupIfLNS0_8NormTypeE1EdLb0EdEEvPKT3_NS0_19TensorListAddressesEi
	.globl	_ZN2at6native14lpnorm_cleanupIfLNS0_8NormTypeE1EdLb0EdEEvPKT3_NS0_19TensorListAddressesEi
	.p2align	8
	.type	_ZN2at6native14lpnorm_cleanupIfLNS0_8NormTypeE1EdLb0EdEEvPKT3_NS0_19TensorListAddressesEi,@function
_ZN2at6native14lpnorm_cleanupIfLNS0_8NormTypeE1EdLb0EdEEvPKT3_NS0_19TensorListAddressesEi: ; @_ZN2at6native14lpnorm_cleanupIfLNS0_8NormTypeE1EdLb0EdEEvPKT3_NS0_19TensorListAddressesEi
; %bb.0:
	s_load_b32 s2, s[0:1], 0xc88
	s_bfe_u32 s3, ttmp6, 0x4000c
	s_and_b32 s4, ttmp6, 15
	s_add_co_i32 s3, s3, 1
	v_mov_b64_e32 v[2:3], 0
	s_mul_i32 s3, ttmp9, s3
	s_mov_b32 s5, 0
	s_add_co_i32 s4, s4, s3
	s_getreg_b32 s3, hwreg(HW_REG_IB_STS2, 6, 4)
	s_mov_b32 s9, exec_lo
	s_cmp_eq_u32 s3, 0
	s_cselect_b32 s8, ttmp9, s4
	s_wait_kmcnt 0x0
	v_cmpx_gt_u32_e64 s2, v0
	s_cbranch_execz .LBB161_4
; %bb.1:
	s_clause 0x1
	s_load_b64 s[6:7], s[0:1], 0x0
	s_load_b32 s4, s[0:1], 0xc9c
	v_dual_mov_b32 v1, 0 :: v_dual_lshlrev_b32 v2, 3, v0
	s_mul_i32 s10, s2, s8
	s_mov_b32 s11, s5
	s_ashr_i32 s3, s2, 31
	s_delay_alu instid0(VALU_DEP_1)
	v_mov_b32_e32 v3, v1
	s_lshl_b64 s[10:11], s[10:11], 3
	v_mov_b64_e32 v[6:7], v[0:1]
	s_wait_kmcnt 0x0
	s_add_nc_u64 s[6:7], s[6:7], s[10:11]
	s_and_b32 s4, s4, 0xffff
	v_add_nc_u64_e32 v[4:5], s[6:7], v[2:3]
	v_mov_b64_e32 v[2:3], 0
	s_lshl_b32 s6, s4, 3
	s_mov_b32 s7, s5
	s_mov_b32 s10, s5
.LBB161_2:                              ; =>This Inner Loop Header: Depth=1
	global_load_b64 v[8:9], v[4:5], off
	v_add_nc_u64_e32 v[6:7], s[4:5], v[6:7]
	s_wait_xcnt 0x0
	v_add_nc_u64_e32 v[4:5], s[6:7], v[4:5]
	s_delay_alu instid0(VALU_DEP_2)
	v_cmp_le_u64_e32 vcc_lo, s[2:3], v[6:7]
	s_or_b32 s10, vcc_lo, s10
	s_wait_loadcnt 0x0
	v_add_f64_e32 v[2:3], v[2:3], v[8:9]
	s_and_not1_b32 exec_lo, exec_lo, s10
	s_cbranch_execnz .LBB161_2
; %bb.3:
	s_or_b32 exec_lo, exec_lo, s10
.LBB161_4:
	s_delay_alu instid0(SALU_CYCLE_1) | instskip(SKIP_4) | instid1(VALU_DEP_2)
	s_or_b32 exec_lo, exec_lo, s9
	v_mbcnt_lo_u32_b32 v9, -1, 0
	v_and_b32_e32 v10, 31, v0
	s_mov_b32 s2, exec_lo
	s_barrier_signal -1
	v_lshl_or_b32 v1, v9, 2, 64
	v_cmp_gt_u32_e32 vcc_lo, 24, v9
	s_barrier_wait -1
	ds_bpermute_b32 v4, v1, v2
	ds_bpermute_b32 v5, v1, v3
	s_wait_dscnt 0x0
	v_add_f64_e32 v[2:3], v[2:3], v[4:5]
	v_cndmask_b32_e64 v4, 0, 8, vcc_lo
	v_cmp_gt_u32_e32 vcc_lo, 28, v9
	s_delay_alu instid0(VALU_DEP_2)
	v_add_lshl_u32 v6, v4, v9, 2
	ds_bpermute_b32 v4, v6, v2
	ds_bpermute_b32 v5, v6, v3
	s_wait_dscnt 0x0
	v_add_f64_e32 v[2:3], v[2:3], v[4:5]
	v_cndmask_b32_e64 v4, 0, 4, vcc_lo
	v_cmp_gt_u32_e32 vcc_lo, 30, v9
	s_delay_alu instid0(VALU_DEP_2)
	v_add_lshl_u32 v7, v4, v9, 2
	ds_bpermute_b32 v4, v7, v2
	ds_bpermute_b32 v5, v7, v3
	s_wait_dscnt 0x0
	v_add_f64_e32 v[2:3], v[2:3], v[4:5]
	v_cndmask_b32_e64 v4, 0, 2, vcc_lo
	v_cmp_ne_u32_e32 vcc_lo, 31, v9
	s_delay_alu instid0(VALU_DEP_2)
	v_add_lshl_u32 v8, v4, v9, 2
	ds_bpermute_b32 v4, v8, v2
	ds_bpermute_b32 v5, v8, v3
	s_wait_dscnt 0x0
	v_add_f64_e32 v[2:3], v[2:3], v[4:5]
	v_add_co_ci_u32_e64 v4, null, 0, v9, vcc_lo
	s_delay_alu instid0(VALU_DEP_1)
	v_lshlrev_b32_e32 v9, 2, v4
	ds_bpermute_b32 v4, v9, v2
	ds_bpermute_b32 v5, v9, v3
	v_cmpx_eq_u32_e32 0, v10
	s_cbranch_execz .LBB161_6
; %bb.5:
	s_wait_dscnt 0x0
	v_add_f64_e32 v[2:3], v[2:3], v[4:5]
	v_lshrrev_b32_e32 v4, 2, v0
	ds_store_b64 v4, v[2:3]
.LBB161_6:
	s_or_b32 exec_lo, exec_lo, s2
	s_wait_dscnt 0x0
	s_barrier_signal -1
	s_barrier_wait -1
	s_load_b32 s2, s[0:1], 0xc9c
	v_mov_b64_e32 v[2:3], 0
	s_wait_kmcnt 0x0
	s_bfe_u32 s2, s2, 0xb0005
	s_delay_alu instid0(SALU_CYCLE_1)
	v_cmp_gt_u32_e32 vcc_lo, s2, v0
	s_and_saveexec_b32 s2, vcc_lo
; %bb.7:
	v_lshlrev_b32_e32 v2, 3, v10
	ds_load_b64 v[2:3], v2
; %bb.8:
	s_or_b32 exec_lo, exec_lo, s2
	s_delay_alu instid0(SALU_CYCLE_1)
	s_mov_b32 s2, exec_lo
	v_cmpx_gt_u32_e32 32, v0
	s_cbranch_execz .LBB161_10
; %bb.9:
	s_wait_dscnt 0x0
	ds_bpermute_b32 v4, v1, v2
	ds_bpermute_b32 v5, v1, v3
	s_wait_dscnt 0x0
	v_add_f64_e32 v[2:3], v[2:3], v[4:5]
	ds_bpermute_b32 v4, v6, v2
	ds_bpermute_b32 v5, v6, v3
	s_wait_dscnt 0x0
	v_add_f64_e32 v[2:3], v[2:3], v[4:5]
	;; [unrolled: 4-line block ×5, first 2 shown]
.LBB161_10:
	s_or_b32 exec_lo, exec_lo, s2
	s_delay_alu instid0(SALU_CYCLE_1)
	s_mov_b32 s2, exec_lo
	v_cmpx_eq_u32_e32 0, v0
	s_cbranch_execz .LBB161_12
; %bb.11:
	s_load_b64 s[0:1], s[0:1], s8 offset:0x8 scale_offset
	v_mov_b32_e32 v0, 0
	s_wait_dscnt 0x0
	s_wait_kmcnt 0x0
	global_store_b64 v0, v[2:3], s[0:1]
.LBB161_12:
	s_endpgm
	.section	.rodata,"a",@progbits
	.p2align	6, 0x0
	.amdhsa_kernel _ZN2at6native14lpnorm_cleanupIfLNS0_8NormTypeE1EdLb0EdEEvPKT3_NS0_19TensorListAddressesEi
		.amdhsa_group_segment_fixed_size 4096
		.amdhsa_private_segment_fixed_size 0
		.amdhsa_kernarg_size 3472
		.amdhsa_user_sgpr_count 2
		.amdhsa_user_sgpr_dispatch_ptr 0
		.amdhsa_user_sgpr_queue_ptr 0
		.amdhsa_user_sgpr_kernarg_segment_ptr 1
		.amdhsa_user_sgpr_dispatch_id 0
		.amdhsa_user_sgpr_kernarg_preload_length 0
		.amdhsa_user_sgpr_kernarg_preload_offset 0
		.amdhsa_user_sgpr_private_segment_size 0
		.amdhsa_wavefront_size32 1
		.amdhsa_uses_dynamic_stack 0
		.amdhsa_enable_private_segment 0
		.amdhsa_system_sgpr_workgroup_id_x 1
		.amdhsa_system_sgpr_workgroup_id_y 0
		.amdhsa_system_sgpr_workgroup_id_z 0
		.amdhsa_system_sgpr_workgroup_info 0
		.amdhsa_system_vgpr_workitem_id 0
		.amdhsa_next_free_vgpr 11
		.amdhsa_next_free_sgpr 12
		.amdhsa_named_barrier_count 0
		.amdhsa_reserve_vcc 1
		.amdhsa_float_round_mode_32 0
		.amdhsa_float_round_mode_16_64 0
		.amdhsa_float_denorm_mode_32 3
		.amdhsa_float_denorm_mode_16_64 3
		.amdhsa_fp16_overflow 0
		.amdhsa_memory_ordered 1
		.amdhsa_forward_progress 1
		.amdhsa_inst_pref_size 6
		.amdhsa_round_robin_scheduling 0
		.amdhsa_exception_fp_ieee_invalid_op 0
		.amdhsa_exception_fp_denorm_src 0
		.amdhsa_exception_fp_ieee_div_zero 0
		.amdhsa_exception_fp_ieee_overflow 0
		.amdhsa_exception_fp_ieee_underflow 0
		.amdhsa_exception_fp_ieee_inexact 0
		.amdhsa_exception_int_div_zero 0
	.end_amdhsa_kernel
	.section	.text._ZN2at6native14lpnorm_cleanupIfLNS0_8NormTypeE1EdLb0EdEEvPKT3_NS0_19TensorListAddressesEi,"axG",@progbits,_ZN2at6native14lpnorm_cleanupIfLNS0_8NormTypeE1EdLb0EdEEvPKT3_NS0_19TensorListAddressesEi,comdat
.Lfunc_end161:
	.size	_ZN2at6native14lpnorm_cleanupIfLNS0_8NormTypeE1EdLb0EdEEvPKT3_NS0_19TensorListAddressesEi, .Lfunc_end161-_ZN2at6native14lpnorm_cleanupIfLNS0_8NormTypeE1EdLb0EdEEvPKT3_NS0_19TensorListAddressesEi
                                        ; -- End function
	.set _ZN2at6native14lpnorm_cleanupIfLNS0_8NormTypeE1EdLb0EdEEvPKT3_NS0_19TensorListAddressesEi.num_vgpr, 11
	.set _ZN2at6native14lpnorm_cleanupIfLNS0_8NormTypeE1EdLb0EdEEvPKT3_NS0_19TensorListAddressesEi.num_agpr, 0
	.set _ZN2at6native14lpnorm_cleanupIfLNS0_8NormTypeE1EdLb0EdEEvPKT3_NS0_19TensorListAddressesEi.numbered_sgpr, 12
	.set _ZN2at6native14lpnorm_cleanupIfLNS0_8NormTypeE1EdLb0EdEEvPKT3_NS0_19TensorListAddressesEi.num_named_barrier, 0
	.set _ZN2at6native14lpnorm_cleanupIfLNS0_8NormTypeE1EdLb0EdEEvPKT3_NS0_19TensorListAddressesEi.private_seg_size, 0
	.set _ZN2at6native14lpnorm_cleanupIfLNS0_8NormTypeE1EdLb0EdEEvPKT3_NS0_19TensorListAddressesEi.uses_vcc, 1
	.set _ZN2at6native14lpnorm_cleanupIfLNS0_8NormTypeE1EdLb0EdEEvPKT3_NS0_19TensorListAddressesEi.uses_flat_scratch, 0
	.set _ZN2at6native14lpnorm_cleanupIfLNS0_8NormTypeE1EdLb0EdEEvPKT3_NS0_19TensorListAddressesEi.has_dyn_sized_stack, 0
	.set _ZN2at6native14lpnorm_cleanupIfLNS0_8NormTypeE1EdLb0EdEEvPKT3_NS0_19TensorListAddressesEi.has_recursion, 0
	.set _ZN2at6native14lpnorm_cleanupIfLNS0_8NormTypeE1EdLb0EdEEvPKT3_NS0_19TensorListAddressesEi.has_indirect_call, 0
	.section	.AMDGPU.csdata,"",@progbits
; Kernel info:
; codeLenInByte = 756
; TotalNumSgprs: 14
; NumVgprs: 11
; ScratchSize: 0
; MemoryBound: 0
; FloatMode: 240
; IeeeMode: 1
; LDSByteSize: 4096 bytes/workgroup (compile time only)
; SGPRBlocks: 0
; VGPRBlocks: 0
; NumSGPRsForWavesPerEU: 14
; NumVGPRsForWavesPerEU: 11
; NamedBarCnt: 0
; Occupancy: 16
; WaveLimiterHint : 0
; COMPUTE_PGM_RSRC2:SCRATCH_EN: 0
; COMPUTE_PGM_RSRC2:USER_SGPR: 2
; COMPUTE_PGM_RSRC2:TRAP_HANDLER: 0
; COMPUTE_PGM_RSRC2:TGID_X_EN: 1
; COMPUTE_PGM_RSRC2:TGID_Y_EN: 0
; COMPUTE_PGM_RSRC2:TGID_Z_EN: 0
; COMPUTE_PGM_RSRC2:TIDIG_COMP_CNT: 0
	.section	.text._ZN2at6native14lpnorm_cleanupIfLNS0_8NormTypeE2EdLb0EdEEvPKT3_NS0_19TensorListAddressesEi,"axG",@progbits,_ZN2at6native14lpnorm_cleanupIfLNS0_8NormTypeE2EdLb0EdEEvPKT3_NS0_19TensorListAddressesEi,comdat
	.protected	_ZN2at6native14lpnorm_cleanupIfLNS0_8NormTypeE2EdLb0EdEEvPKT3_NS0_19TensorListAddressesEi ; -- Begin function _ZN2at6native14lpnorm_cleanupIfLNS0_8NormTypeE2EdLb0EdEEvPKT3_NS0_19TensorListAddressesEi
	.globl	_ZN2at6native14lpnorm_cleanupIfLNS0_8NormTypeE2EdLb0EdEEvPKT3_NS0_19TensorListAddressesEi
	.p2align	8
	.type	_ZN2at6native14lpnorm_cleanupIfLNS0_8NormTypeE2EdLb0EdEEvPKT3_NS0_19TensorListAddressesEi,@function
_ZN2at6native14lpnorm_cleanupIfLNS0_8NormTypeE2EdLb0EdEEvPKT3_NS0_19TensorListAddressesEi: ; @_ZN2at6native14lpnorm_cleanupIfLNS0_8NormTypeE2EdLb0EdEEvPKT3_NS0_19TensorListAddressesEi
; %bb.0:
	s_load_b32 s2, s[0:1], 0xc88
	s_bfe_u32 s3, ttmp6, 0x4000c
	s_and_b32 s4, ttmp6, 15
	s_add_co_i32 s3, s3, 1
	v_mov_b64_e32 v[2:3], 0
	s_mul_i32 s3, ttmp9, s3
	s_mov_b32 s5, 0
	s_add_co_i32 s4, s4, s3
	s_getreg_b32 s3, hwreg(HW_REG_IB_STS2, 6, 4)
	s_mov_b32 s9, exec_lo
	s_cmp_eq_u32 s3, 0
	s_cselect_b32 s8, ttmp9, s4
	s_wait_kmcnt 0x0
	v_cmpx_gt_u32_e64 s2, v0
	s_cbranch_execz .LBB162_4
; %bb.1:
	s_clause 0x1
	s_load_b64 s[6:7], s[0:1], 0x0
	s_load_b32 s4, s[0:1], 0xc9c
	v_dual_mov_b32 v1, 0 :: v_dual_lshlrev_b32 v2, 3, v0
	s_mul_i32 s10, s2, s8
	s_mov_b32 s11, s5
	s_ashr_i32 s3, s2, 31
	s_delay_alu instid0(VALU_DEP_1)
	v_mov_b32_e32 v3, v1
	s_lshl_b64 s[10:11], s[10:11], 3
	v_mov_b64_e32 v[6:7], v[0:1]
	s_wait_kmcnt 0x0
	s_add_nc_u64 s[6:7], s[6:7], s[10:11]
	s_and_b32 s4, s4, 0xffff
	v_add_nc_u64_e32 v[4:5], s[6:7], v[2:3]
	v_mov_b64_e32 v[2:3], 0
	s_lshl_b32 s6, s4, 3
	s_mov_b32 s7, s5
	s_mov_b32 s10, s5
.LBB162_2:                              ; =>This Inner Loop Header: Depth=1
	global_load_b64 v[8:9], v[4:5], off
	v_add_nc_u64_e32 v[6:7], s[4:5], v[6:7]
	s_wait_xcnt 0x0
	v_add_nc_u64_e32 v[4:5], s[6:7], v[4:5]
	s_delay_alu instid0(VALU_DEP_2)
	v_cmp_le_u64_e32 vcc_lo, s[2:3], v[6:7]
	s_or_b32 s10, vcc_lo, s10
	s_wait_loadcnt 0x0
	v_add_f64_e32 v[2:3], v[2:3], v[8:9]
	s_and_not1_b32 exec_lo, exec_lo, s10
	s_cbranch_execnz .LBB162_2
; %bb.3:
	s_or_b32 exec_lo, exec_lo, s10
.LBB162_4:
	s_delay_alu instid0(SALU_CYCLE_1) | instskip(SKIP_4) | instid1(VALU_DEP_2)
	s_or_b32 exec_lo, exec_lo, s9
	v_mbcnt_lo_u32_b32 v9, -1, 0
	v_and_b32_e32 v10, 31, v0
	s_mov_b32 s2, exec_lo
	s_barrier_signal -1
	v_lshl_or_b32 v1, v9, 2, 64
	v_cmp_gt_u32_e32 vcc_lo, 24, v9
	s_barrier_wait -1
	ds_bpermute_b32 v4, v1, v2
	ds_bpermute_b32 v5, v1, v3
	s_wait_dscnt 0x0
	v_add_f64_e32 v[2:3], v[2:3], v[4:5]
	v_cndmask_b32_e64 v4, 0, 8, vcc_lo
	v_cmp_gt_u32_e32 vcc_lo, 28, v9
	s_delay_alu instid0(VALU_DEP_2)
	v_add_lshl_u32 v6, v4, v9, 2
	ds_bpermute_b32 v4, v6, v2
	ds_bpermute_b32 v5, v6, v3
	s_wait_dscnt 0x0
	v_add_f64_e32 v[2:3], v[2:3], v[4:5]
	v_cndmask_b32_e64 v4, 0, 4, vcc_lo
	v_cmp_gt_u32_e32 vcc_lo, 30, v9
	s_delay_alu instid0(VALU_DEP_2)
	v_add_lshl_u32 v7, v4, v9, 2
	ds_bpermute_b32 v4, v7, v2
	ds_bpermute_b32 v5, v7, v3
	s_wait_dscnt 0x0
	v_add_f64_e32 v[2:3], v[2:3], v[4:5]
	v_cndmask_b32_e64 v4, 0, 2, vcc_lo
	v_cmp_ne_u32_e32 vcc_lo, 31, v9
	s_delay_alu instid0(VALU_DEP_2)
	v_add_lshl_u32 v8, v4, v9, 2
	ds_bpermute_b32 v4, v8, v2
	ds_bpermute_b32 v5, v8, v3
	s_wait_dscnt 0x0
	v_add_f64_e32 v[2:3], v[2:3], v[4:5]
	v_add_co_ci_u32_e64 v4, null, 0, v9, vcc_lo
	s_delay_alu instid0(VALU_DEP_1)
	v_lshlrev_b32_e32 v9, 2, v4
	ds_bpermute_b32 v4, v9, v2
	ds_bpermute_b32 v5, v9, v3
	v_cmpx_eq_u32_e32 0, v10
	s_cbranch_execz .LBB162_6
; %bb.5:
	s_wait_dscnt 0x0
	v_add_f64_e32 v[2:3], v[2:3], v[4:5]
	v_lshrrev_b32_e32 v4, 2, v0
	ds_store_b64 v4, v[2:3]
.LBB162_6:
	s_or_b32 exec_lo, exec_lo, s2
	s_wait_dscnt 0x0
	s_barrier_signal -1
	s_barrier_wait -1
	s_load_b32 s2, s[0:1], 0xc9c
	v_mov_b64_e32 v[2:3], 0
	s_wait_kmcnt 0x0
	s_bfe_u32 s2, s2, 0xb0005
	s_delay_alu instid0(SALU_CYCLE_1)
	v_cmp_gt_u32_e32 vcc_lo, s2, v0
	s_and_saveexec_b32 s2, vcc_lo
; %bb.7:
	v_lshlrev_b32_e32 v2, 3, v10
	ds_load_b64 v[2:3], v2
; %bb.8:
	s_or_b32 exec_lo, exec_lo, s2
	s_delay_alu instid0(SALU_CYCLE_1)
	s_mov_b32 s2, exec_lo
	v_cmpx_gt_u32_e32 32, v0
	s_cbranch_execz .LBB162_10
; %bb.9:
	s_wait_dscnt 0x0
	ds_bpermute_b32 v4, v1, v2
	ds_bpermute_b32 v5, v1, v3
	s_wait_dscnt 0x0
	v_add_f64_e32 v[2:3], v[2:3], v[4:5]
	ds_bpermute_b32 v4, v6, v2
	ds_bpermute_b32 v5, v6, v3
	s_wait_dscnt 0x0
	v_add_f64_e32 v[2:3], v[2:3], v[4:5]
	;; [unrolled: 4-line block ×5, first 2 shown]
.LBB162_10:
	s_or_b32 exec_lo, exec_lo, s2
	s_delay_alu instid0(SALU_CYCLE_1)
	s_mov_b32 s2, exec_lo
	v_cmpx_eq_u32_e32 0, v0
	s_cbranch_execz .LBB162_12
; %bb.11:
	s_load_b64 s[0:1], s[0:1], s8 offset:0x8 scale_offset
	v_mov_b32_e32 v0, 0
	s_wait_dscnt 0x0
	s_wait_kmcnt 0x0
	global_store_b64 v0, v[2:3], s[0:1]
.LBB162_12:
	s_endpgm
	.section	.rodata,"a",@progbits
	.p2align	6, 0x0
	.amdhsa_kernel _ZN2at6native14lpnorm_cleanupIfLNS0_8NormTypeE2EdLb0EdEEvPKT3_NS0_19TensorListAddressesEi
		.amdhsa_group_segment_fixed_size 4096
		.amdhsa_private_segment_fixed_size 0
		.amdhsa_kernarg_size 3472
		.amdhsa_user_sgpr_count 2
		.amdhsa_user_sgpr_dispatch_ptr 0
		.amdhsa_user_sgpr_queue_ptr 0
		.amdhsa_user_sgpr_kernarg_segment_ptr 1
		.amdhsa_user_sgpr_dispatch_id 0
		.amdhsa_user_sgpr_kernarg_preload_length 0
		.amdhsa_user_sgpr_kernarg_preload_offset 0
		.amdhsa_user_sgpr_private_segment_size 0
		.amdhsa_wavefront_size32 1
		.amdhsa_uses_dynamic_stack 0
		.amdhsa_enable_private_segment 0
		.amdhsa_system_sgpr_workgroup_id_x 1
		.amdhsa_system_sgpr_workgroup_id_y 0
		.amdhsa_system_sgpr_workgroup_id_z 0
		.amdhsa_system_sgpr_workgroup_info 0
		.amdhsa_system_vgpr_workitem_id 0
		.amdhsa_next_free_vgpr 11
		.amdhsa_next_free_sgpr 12
		.amdhsa_named_barrier_count 0
		.amdhsa_reserve_vcc 1
		.amdhsa_float_round_mode_32 0
		.amdhsa_float_round_mode_16_64 0
		.amdhsa_float_denorm_mode_32 3
		.amdhsa_float_denorm_mode_16_64 3
		.amdhsa_fp16_overflow 0
		.amdhsa_memory_ordered 1
		.amdhsa_forward_progress 1
		.amdhsa_inst_pref_size 6
		.amdhsa_round_robin_scheduling 0
		.amdhsa_exception_fp_ieee_invalid_op 0
		.amdhsa_exception_fp_denorm_src 0
		.amdhsa_exception_fp_ieee_div_zero 0
		.amdhsa_exception_fp_ieee_overflow 0
		.amdhsa_exception_fp_ieee_underflow 0
		.amdhsa_exception_fp_ieee_inexact 0
		.amdhsa_exception_int_div_zero 0
	.end_amdhsa_kernel
	.section	.text._ZN2at6native14lpnorm_cleanupIfLNS0_8NormTypeE2EdLb0EdEEvPKT3_NS0_19TensorListAddressesEi,"axG",@progbits,_ZN2at6native14lpnorm_cleanupIfLNS0_8NormTypeE2EdLb0EdEEvPKT3_NS0_19TensorListAddressesEi,comdat
.Lfunc_end162:
	.size	_ZN2at6native14lpnorm_cleanupIfLNS0_8NormTypeE2EdLb0EdEEvPKT3_NS0_19TensorListAddressesEi, .Lfunc_end162-_ZN2at6native14lpnorm_cleanupIfLNS0_8NormTypeE2EdLb0EdEEvPKT3_NS0_19TensorListAddressesEi
                                        ; -- End function
	.set _ZN2at6native14lpnorm_cleanupIfLNS0_8NormTypeE2EdLb0EdEEvPKT3_NS0_19TensorListAddressesEi.num_vgpr, 11
	.set _ZN2at6native14lpnorm_cleanupIfLNS0_8NormTypeE2EdLb0EdEEvPKT3_NS0_19TensorListAddressesEi.num_agpr, 0
	.set _ZN2at6native14lpnorm_cleanupIfLNS0_8NormTypeE2EdLb0EdEEvPKT3_NS0_19TensorListAddressesEi.numbered_sgpr, 12
	.set _ZN2at6native14lpnorm_cleanupIfLNS0_8NormTypeE2EdLb0EdEEvPKT3_NS0_19TensorListAddressesEi.num_named_barrier, 0
	.set _ZN2at6native14lpnorm_cleanupIfLNS0_8NormTypeE2EdLb0EdEEvPKT3_NS0_19TensorListAddressesEi.private_seg_size, 0
	.set _ZN2at6native14lpnorm_cleanupIfLNS0_8NormTypeE2EdLb0EdEEvPKT3_NS0_19TensorListAddressesEi.uses_vcc, 1
	.set _ZN2at6native14lpnorm_cleanupIfLNS0_8NormTypeE2EdLb0EdEEvPKT3_NS0_19TensorListAddressesEi.uses_flat_scratch, 0
	.set _ZN2at6native14lpnorm_cleanupIfLNS0_8NormTypeE2EdLb0EdEEvPKT3_NS0_19TensorListAddressesEi.has_dyn_sized_stack, 0
	.set _ZN2at6native14lpnorm_cleanupIfLNS0_8NormTypeE2EdLb0EdEEvPKT3_NS0_19TensorListAddressesEi.has_recursion, 0
	.set _ZN2at6native14lpnorm_cleanupIfLNS0_8NormTypeE2EdLb0EdEEvPKT3_NS0_19TensorListAddressesEi.has_indirect_call, 0
	.section	.AMDGPU.csdata,"",@progbits
; Kernel info:
; codeLenInByte = 756
; TotalNumSgprs: 14
; NumVgprs: 11
; ScratchSize: 0
; MemoryBound: 0
; FloatMode: 240
; IeeeMode: 1
; LDSByteSize: 4096 bytes/workgroup (compile time only)
; SGPRBlocks: 0
; VGPRBlocks: 0
; NumSGPRsForWavesPerEU: 14
; NumVGPRsForWavesPerEU: 11
; NamedBarCnt: 0
; Occupancy: 16
; WaveLimiterHint : 0
; COMPUTE_PGM_RSRC2:SCRATCH_EN: 0
; COMPUTE_PGM_RSRC2:USER_SGPR: 2
; COMPUTE_PGM_RSRC2:TRAP_HANDLER: 0
; COMPUTE_PGM_RSRC2:TGID_X_EN: 1
; COMPUTE_PGM_RSRC2:TGID_Y_EN: 0
; COMPUTE_PGM_RSRC2:TGID_Z_EN: 0
; COMPUTE_PGM_RSRC2:TIDIG_COMP_CNT: 0
	.section	.text._ZN2at6native14lpnorm_cleanupIfLNS0_8NormTypeE0EfLb0EfEEvPKT3_NS0_19TensorListAddressesEi,"axG",@progbits,_ZN2at6native14lpnorm_cleanupIfLNS0_8NormTypeE0EfLb0EfEEvPKT3_NS0_19TensorListAddressesEi,comdat
	.protected	_ZN2at6native14lpnorm_cleanupIfLNS0_8NormTypeE0EfLb0EfEEvPKT3_NS0_19TensorListAddressesEi ; -- Begin function _ZN2at6native14lpnorm_cleanupIfLNS0_8NormTypeE0EfLb0EfEEvPKT3_NS0_19TensorListAddressesEi
	.globl	_ZN2at6native14lpnorm_cleanupIfLNS0_8NormTypeE0EfLb0EfEEvPKT3_NS0_19TensorListAddressesEi
	.p2align	8
	.type	_ZN2at6native14lpnorm_cleanupIfLNS0_8NormTypeE0EfLb0EfEEvPKT3_NS0_19TensorListAddressesEi,@function
_ZN2at6native14lpnorm_cleanupIfLNS0_8NormTypeE0EfLb0EfEEvPKT3_NS0_19TensorListAddressesEi: ; @_ZN2at6native14lpnorm_cleanupIfLNS0_8NormTypeE0EfLb0EfEEvPKT3_NS0_19TensorListAddressesEi
; %bb.0:
	s_load_b32 s2, s[0:1], 0xc88
	s_bfe_u32 s3, ttmp6, 0x4000c
	s_and_b32 s4, ttmp6, 15
	s_add_co_i32 s3, s3, 1
	s_getreg_b32 s5, hwreg(HW_REG_IB_STS2, 6, 4)
	s_mul_i32 s3, ttmp9, s3
	v_mov_b32_e32 v1, 0
	s_add_co_i32 s4, s4, s3
	s_cmp_eq_u32 s5, 0
	s_mov_b32 s5, 0
	s_cselect_b32 s8, ttmp9, s4
	s_mov_b32 s9, exec_lo
	s_wait_kmcnt 0x0
	v_cmpx_gt_u32_e64 s2, v0
	s_cbranch_execz .LBB163_4
; %bb.1:
	s_clause 0x1
	s_load_b64 s[6:7], s[0:1], 0x0
	s_load_b32 s4, s[0:1], 0xc9c
	v_dual_mov_b32 v1, 0 :: v_dual_lshlrev_b32 v2, 2, v0
	s_mul_i32 s10, s2, s8
	s_mov_b32 s11, s5
	s_ashr_i32 s3, s2, 31
	s_delay_alu instid0(VALU_DEP_1)
	v_mov_b32_e32 v3, v1
	s_lshl_b64 s[10:11], s[10:11], 2
	v_mov_b64_e32 v[4:5], v[0:1]
	s_wait_kmcnt 0x0
	s_add_nc_u64 s[6:7], s[6:7], s[10:11]
	s_and_b32 s4, s4, 0xffff
	v_add_nc_u64_e32 v[2:3], s[6:7], v[2:3]
	s_lshl_b32 s6, s4, 2
	s_mov_b32 s7, s5
	s_mov_b32 s10, s5
.LBB163_2:                              ; =>This Inner Loop Header: Depth=1
	global_load_b32 v6, v[2:3], off
	v_add_nc_u64_e32 v[4:5], s[4:5], v[4:5]
	s_wait_xcnt 0x0
	v_add_nc_u64_e32 v[2:3], s[6:7], v[2:3]
	s_delay_alu instid0(VALU_DEP_2)
	v_cmp_le_u64_e32 vcc_lo, s[2:3], v[4:5]
	s_or_b32 s10, vcc_lo, s10
	s_wait_loadcnt 0x0
	v_add_f32_e32 v1, v1, v6
	s_and_not1_b32 exec_lo, exec_lo, s10
	s_cbranch_execnz .LBB163_2
; %bb.3:
	s_or_b32 exec_lo, exec_lo, s10
.LBB163_4:
	s_delay_alu instid0(SALU_CYCLE_1) | instskip(SKIP_4) | instid1(VALU_DEP_1)
	s_or_b32 exec_lo, exec_lo, s9
	v_mbcnt_lo_u32_b32 v5, -1, 0
	s_mov_b32 s2, exec_lo
	s_barrier_signal -1
	s_barrier_wait -1
	v_lshl_or_b32 v2, v5, 2, 64
	v_cmp_gt_u32_e32 vcc_lo, 24, v5
	ds_bpermute_b32 v4, v2, v1
	v_cndmask_b32_e64 v3, 0, 8, vcc_lo
	v_cmp_gt_u32_e32 vcc_lo, 28, v5
	s_delay_alu instid0(VALU_DEP_2)
	v_add_lshl_u32 v3, v3, v5, 2
	s_wait_dscnt 0x0
	v_add_f32_e32 v4, v1, v4
	v_cndmask_b32_e64 v1, 0, 4, vcc_lo
	v_cmp_gt_u32_e32 vcc_lo, 30, v5
	ds_bpermute_b32 v6, v3, v4
	v_add_lshl_u32 v1, v1, v5, 2
	s_wait_dscnt 0x0
	v_add_f32_e32 v6, v4, v6
	v_cndmask_b32_e64 v4, 0, 2, vcc_lo
	v_cmp_ne_u32_e32 vcc_lo, 31, v5
	s_delay_alu instid0(VALU_DEP_2) | instskip(SKIP_1) | instid1(VALU_DEP_1)
	v_add_lshl_u32 v4, v4, v5, 2
	v_add_co_ci_u32_e64 v5, null, 0, v5, vcc_lo
	v_lshlrev_b32_e32 v5, 2, v5
	ds_bpermute_b32 v7, v1, v6
	s_wait_dscnt 0x0
	v_add_f32_e32 v6, v6, v7
	ds_bpermute_b32 v7, v4, v6
	s_wait_dscnt 0x0
	v_dual_add_f32 v7, v6, v7 :: v_dual_bitop2_b32 v6, 31, v0 bitop3:0x40
	ds_bpermute_b32 v8, v5, v7
	v_cmpx_eq_u32_e32 0, v6
	s_cbranch_execz .LBB163_6
; %bb.5:
	s_wait_dscnt 0x0
	v_add_f32_e32 v7, v7, v8
	v_lshrrev_b32_e32 v8, 3, v0
	ds_store_b32 v8, v7
.LBB163_6:
	s_or_b32 exec_lo, exec_lo, s2
	s_wait_dscnt 0x0
	s_barrier_signal -1
	s_barrier_wait -1
	s_load_b32 s2, s[0:1], 0xc9c
	v_mov_b32_e32 v7, 0
	s_wait_kmcnt 0x0
	s_bfe_u32 s2, s2, 0xb0005
	s_delay_alu instid0(SALU_CYCLE_1)
	v_cmp_gt_u32_e32 vcc_lo, s2, v0
	s_and_saveexec_b32 s2, vcc_lo
; %bb.7:
	v_lshlrev_b32_e32 v6, 2, v6
	ds_load_b32 v7, v6
; %bb.8:
	s_or_b32 exec_lo, exec_lo, s2
	s_delay_alu instid0(SALU_CYCLE_1)
	s_mov_b32 s2, exec_lo
	v_cmpx_gt_u32_e32 32, v0
	s_cbranch_execz .LBB163_10
; %bb.9:
	s_wait_dscnt 0x0
	ds_bpermute_b32 v2, v2, v7
	s_wait_dscnt 0x0
	v_add_f32_e32 v2, v7, v2
	ds_bpermute_b32 v3, v3, v2
	s_wait_dscnt 0x0
	v_add_f32_e32 v2, v2, v3
	;; [unrolled: 3-line block ×5, first 2 shown]
.LBB163_10:
	s_or_b32 exec_lo, exec_lo, s2
	s_delay_alu instid0(SALU_CYCLE_1)
	s_mov_b32 s2, exec_lo
	v_cmpx_eq_u32_e32 0, v0
	s_cbranch_execz .LBB163_12
; %bb.11:
	s_load_b64 s[0:1], s[0:1], s8 offset:0x8 scale_offset
	v_mov_b32_e32 v0, 0
	s_wait_dscnt 0x0
	s_wait_kmcnt 0x0
	global_store_b32 v0, v7, s[0:1]
.LBB163_12:
	s_endpgm
	.section	.rodata,"a",@progbits
	.p2align	6, 0x0
	.amdhsa_kernel _ZN2at6native14lpnorm_cleanupIfLNS0_8NormTypeE0EfLb0EfEEvPKT3_NS0_19TensorListAddressesEi
		.amdhsa_group_segment_fixed_size 2048
		.amdhsa_private_segment_fixed_size 0
		.amdhsa_kernarg_size 3472
		.amdhsa_user_sgpr_count 2
		.amdhsa_user_sgpr_dispatch_ptr 0
		.amdhsa_user_sgpr_queue_ptr 0
		.amdhsa_user_sgpr_kernarg_segment_ptr 1
		.amdhsa_user_sgpr_dispatch_id 0
		.amdhsa_user_sgpr_kernarg_preload_length 0
		.amdhsa_user_sgpr_kernarg_preload_offset 0
		.amdhsa_user_sgpr_private_segment_size 0
		.amdhsa_wavefront_size32 1
		.amdhsa_uses_dynamic_stack 0
		.amdhsa_enable_private_segment 0
		.amdhsa_system_sgpr_workgroup_id_x 1
		.amdhsa_system_sgpr_workgroup_id_y 0
		.amdhsa_system_sgpr_workgroup_id_z 0
		.amdhsa_system_sgpr_workgroup_info 0
		.amdhsa_system_vgpr_workitem_id 0
		.amdhsa_next_free_vgpr 9
		.amdhsa_next_free_sgpr 12
		.amdhsa_named_barrier_count 0
		.amdhsa_reserve_vcc 1
		.amdhsa_float_round_mode_32 0
		.amdhsa_float_round_mode_16_64 0
		.amdhsa_float_denorm_mode_32 3
		.amdhsa_float_denorm_mode_16_64 3
		.amdhsa_fp16_overflow 0
		.amdhsa_memory_ordered 1
		.amdhsa_forward_progress 1
		.amdhsa_inst_pref_size 6
		.amdhsa_round_robin_scheduling 0
		.amdhsa_exception_fp_ieee_invalid_op 0
		.amdhsa_exception_fp_denorm_src 0
		.amdhsa_exception_fp_ieee_div_zero 0
		.amdhsa_exception_fp_ieee_overflow 0
		.amdhsa_exception_fp_ieee_underflow 0
		.amdhsa_exception_fp_ieee_inexact 0
		.amdhsa_exception_int_div_zero 0
	.end_amdhsa_kernel
	.section	.text._ZN2at6native14lpnorm_cleanupIfLNS0_8NormTypeE0EfLb0EfEEvPKT3_NS0_19TensorListAddressesEi,"axG",@progbits,_ZN2at6native14lpnorm_cleanupIfLNS0_8NormTypeE0EfLb0EfEEvPKT3_NS0_19TensorListAddressesEi,comdat
.Lfunc_end163:
	.size	_ZN2at6native14lpnorm_cleanupIfLNS0_8NormTypeE0EfLb0EfEEvPKT3_NS0_19TensorListAddressesEi, .Lfunc_end163-_ZN2at6native14lpnorm_cleanupIfLNS0_8NormTypeE0EfLb0EfEEvPKT3_NS0_19TensorListAddressesEi
                                        ; -- End function
	.set _ZN2at6native14lpnorm_cleanupIfLNS0_8NormTypeE0EfLb0EfEEvPKT3_NS0_19TensorListAddressesEi.num_vgpr, 9
	.set _ZN2at6native14lpnorm_cleanupIfLNS0_8NormTypeE0EfLb0EfEEvPKT3_NS0_19TensorListAddressesEi.num_agpr, 0
	.set _ZN2at6native14lpnorm_cleanupIfLNS0_8NormTypeE0EfLb0EfEEvPKT3_NS0_19TensorListAddressesEi.numbered_sgpr, 12
	.set _ZN2at6native14lpnorm_cleanupIfLNS0_8NormTypeE0EfLb0EfEEvPKT3_NS0_19TensorListAddressesEi.num_named_barrier, 0
	.set _ZN2at6native14lpnorm_cleanupIfLNS0_8NormTypeE0EfLb0EfEEvPKT3_NS0_19TensorListAddressesEi.private_seg_size, 0
	.set _ZN2at6native14lpnorm_cleanupIfLNS0_8NormTypeE0EfLb0EfEEvPKT3_NS0_19TensorListAddressesEi.uses_vcc, 1
	.set _ZN2at6native14lpnorm_cleanupIfLNS0_8NormTypeE0EfLb0EfEEvPKT3_NS0_19TensorListAddressesEi.uses_flat_scratch, 0
	.set _ZN2at6native14lpnorm_cleanupIfLNS0_8NormTypeE0EfLb0EfEEvPKT3_NS0_19TensorListAddressesEi.has_dyn_sized_stack, 0
	.set _ZN2at6native14lpnorm_cleanupIfLNS0_8NormTypeE0EfLb0EfEEvPKT3_NS0_19TensorListAddressesEi.has_recursion, 0
	.set _ZN2at6native14lpnorm_cleanupIfLNS0_8NormTypeE0EfLb0EfEEvPKT3_NS0_19TensorListAddressesEi.has_indirect_call, 0
	.section	.AMDGPU.csdata,"",@progbits
; Kernel info:
; codeLenInByte = 668
; TotalNumSgprs: 14
; NumVgprs: 9
; ScratchSize: 0
; MemoryBound: 0
; FloatMode: 240
; IeeeMode: 1
; LDSByteSize: 2048 bytes/workgroup (compile time only)
; SGPRBlocks: 0
; VGPRBlocks: 0
; NumSGPRsForWavesPerEU: 14
; NumVGPRsForWavesPerEU: 9
; NamedBarCnt: 0
; Occupancy: 16
; WaveLimiterHint : 0
; COMPUTE_PGM_RSRC2:SCRATCH_EN: 0
; COMPUTE_PGM_RSRC2:USER_SGPR: 2
; COMPUTE_PGM_RSRC2:TRAP_HANDLER: 0
; COMPUTE_PGM_RSRC2:TGID_X_EN: 1
; COMPUTE_PGM_RSRC2:TGID_Y_EN: 0
; COMPUTE_PGM_RSRC2:TGID_Z_EN: 0
; COMPUTE_PGM_RSRC2:TIDIG_COMP_CNT: 0
	.section	.text._ZN2at6native14lpnorm_cleanupIfLNS0_8NormTypeE1EfLb0EfEEvPKT3_NS0_19TensorListAddressesEi,"axG",@progbits,_ZN2at6native14lpnorm_cleanupIfLNS0_8NormTypeE1EfLb0EfEEvPKT3_NS0_19TensorListAddressesEi,comdat
	.protected	_ZN2at6native14lpnorm_cleanupIfLNS0_8NormTypeE1EfLb0EfEEvPKT3_NS0_19TensorListAddressesEi ; -- Begin function _ZN2at6native14lpnorm_cleanupIfLNS0_8NormTypeE1EfLb0EfEEvPKT3_NS0_19TensorListAddressesEi
	.globl	_ZN2at6native14lpnorm_cleanupIfLNS0_8NormTypeE1EfLb0EfEEvPKT3_NS0_19TensorListAddressesEi
	.p2align	8
	.type	_ZN2at6native14lpnorm_cleanupIfLNS0_8NormTypeE1EfLb0EfEEvPKT3_NS0_19TensorListAddressesEi,@function
_ZN2at6native14lpnorm_cleanupIfLNS0_8NormTypeE1EfLb0EfEEvPKT3_NS0_19TensorListAddressesEi: ; @_ZN2at6native14lpnorm_cleanupIfLNS0_8NormTypeE1EfLb0EfEEvPKT3_NS0_19TensorListAddressesEi
; %bb.0:
	s_load_b32 s2, s[0:1], 0xc88
	s_bfe_u32 s3, ttmp6, 0x4000c
	s_and_b32 s4, ttmp6, 15
	s_add_co_i32 s3, s3, 1
	s_getreg_b32 s5, hwreg(HW_REG_IB_STS2, 6, 4)
	s_mul_i32 s3, ttmp9, s3
	v_mov_b32_e32 v1, 0
	s_add_co_i32 s4, s4, s3
	s_cmp_eq_u32 s5, 0
	s_mov_b32 s5, 0
	s_cselect_b32 s8, ttmp9, s4
	s_mov_b32 s9, exec_lo
	s_wait_kmcnt 0x0
	v_cmpx_gt_u32_e64 s2, v0
	s_cbranch_execz .LBB164_4
; %bb.1:
	s_clause 0x1
	s_load_b64 s[6:7], s[0:1], 0x0
	s_load_b32 s4, s[0:1], 0xc9c
	v_dual_mov_b32 v1, 0 :: v_dual_lshlrev_b32 v2, 2, v0
	s_mul_i32 s10, s2, s8
	s_mov_b32 s11, s5
	s_ashr_i32 s3, s2, 31
	s_delay_alu instid0(VALU_DEP_1)
	v_mov_b32_e32 v3, v1
	s_lshl_b64 s[10:11], s[10:11], 2
	v_mov_b64_e32 v[4:5], v[0:1]
	s_wait_kmcnt 0x0
	s_add_nc_u64 s[6:7], s[6:7], s[10:11]
	s_and_b32 s4, s4, 0xffff
	v_add_nc_u64_e32 v[2:3], s[6:7], v[2:3]
	s_lshl_b32 s6, s4, 2
	s_mov_b32 s7, s5
	s_mov_b32 s10, s5
.LBB164_2:                              ; =>This Inner Loop Header: Depth=1
	global_load_b32 v6, v[2:3], off
	v_add_nc_u64_e32 v[4:5], s[4:5], v[4:5]
	s_wait_xcnt 0x0
	v_add_nc_u64_e32 v[2:3], s[6:7], v[2:3]
	s_delay_alu instid0(VALU_DEP_2)
	v_cmp_le_u64_e32 vcc_lo, s[2:3], v[4:5]
	s_or_b32 s10, vcc_lo, s10
	s_wait_loadcnt 0x0
	v_add_f32_e32 v1, v1, v6
	s_and_not1_b32 exec_lo, exec_lo, s10
	s_cbranch_execnz .LBB164_2
; %bb.3:
	s_or_b32 exec_lo, exec_lo, s10
.LBB164_4:
	s_delay_alu instid0(SALU_CYCLE_1) | instskip(SKIP_4) | instid1(VALU_DEP_1)
	s_or_b32 exec_lo, exec_lo, s9
	v_mbcnt_lo_u32_b32 v5, -1, 0
	s_mov_b32 s2, exec_lo
	s_barrier_signal -1
	s_barrier_wait -1
	v_lshl_or_b32 v2, v5, 2, 64
	v_cmp_gt_u32_e32 vcc_lo, 24, v5
	ds_bpermute_b32 v4, v2, v1
	v_cndmask_b32_e64 v3, 0, 8, vcc_lo
	v_cmp_gt_u32_e32 vcc_lo, 28, v5
	s_delay_alu instid0(VALU_DEP_2)
	v_add_lshl_u32 v3, v3, v5, 2
	s_wait_dscnt 0x0
	v_add_f32_e32 v4, v1, v4
	v_cndmask_b32_e64 v1, 0, 4, vcc_lo
	v_cmp_gt_u32_e32 vcc_lo, 30, v5
	ds_bpermute_b32 v6, v3, v4
	v_add_lshl_u32 v1, v1, v5, 2
	s_wait_dscnt 0x0
	v_add_f32_e32 v6, v4, v6
	v_cndmask_b32_e64 v4, 0, 2, vcc_lo
	v_cmp_ne_u32_e32 vcc_lo, 31, v5
	s_delay_alu instid0(VALU_DEP_2) | instskip(SKIP_1) | instid1(VALU_DEP_1)
	v_add_lshl_u32 v4, v4, v5, 2
	v_add_co_ci_u32_e64 v5, null, 0, v5, vcc_lo
	v_lshlrev_b32_e32 v5, 2, v5
	ds_bpermute_b32 v7, v1, v6
	s_wait_dscnt 0x0
	v_add_f32_e32 v6, v6, v7
	ds_bpermute_b32 v7, v4, v6
	s_wait_dscnt 0x0
	v_dual_add_f32 v7, v6, v7 :: v_dual_bitop2_b32 v6, 31, v0 bitop3:0x40
	ds_bpermute_b32 v8, v5, v7
	v_cmpx_eq_u32_e32 0, v6
	s_cbranch_execz .LBB164_6
; %bb.5:
	s_wait_dscnt 0x0
	v_add_f32_e32 v7, v7, v8
	v_lshrrev_b32_e32 v8, 3, v0
	ds_store_b32 v8, v7
.LBB164_6:
	s_or_b32 exec_lo, exec_lo, s2
	s_wait_dscnt 0x0
	s_barrier_signal -1
	s_barrier_wait -1
	s_load_b32 s2, s[0:1], 0xc9c
	v_mov_b32_e32 v7, 0
	s_wait_kmcnt 0x0
	s_bfe_u32 s2, s2, 0xb0005
	s_delay_alu instid0(SALU_CYCLE_1)
	v_cmp_gt_u32_e32 vcc_lo, s2, v0
	s_and_saveexec_b32 s2, vcc_lo
; %bb.7:
	v_lshlrev_b32_e32 v6, 2, v6
	ds_load_b32 v7, v6
; %bb.8:
	s_or_b32 exec_lo, exec_lo, s2
	s_delay_alu instid0(SALU_CYCLE_1)
	s_mov_b32 s2, exec_lo
	v_cmpx_gt_u32_e32 32, v0
	s_cbranch_execz .LBB164_10
; %bb.9:
	s_wait_dscnt 0x0
	ds_bpermute_b32 v2, v2, v7
	s_wait_dscnt 0x0
	v_add_f32_e32 v2, v7, v2
	ds_bpermute_b32 v3, v3, v2
	s_wait_dscnt 0x0
	v_add_f32_e32 v2, v2, v3
	;; [unrolled: 3-line block ×5, first 2 shown]
.LBB164_10:
	s_or_b32 exec_lo, exec_lo, s2
	s_delay_alu instid0(SALU_CYCLE_1)
	s_mov_b32 s2, exec_lo
	v_cmpx_eq_u32_e32 0, v0
	s_cbranch_execz .LBB164_12
; %bb.11:
	s_load_b64 s[0:1], s[0:1], s8 offset:0x8 scale_offset
	v_mov_b32_e32 v0, 0
	s_wait_dscnt 0x0
	s_wait_kmcnt 0x0
	global_store_b32 v0, v7, s[0:1]
.LBB164_12:
	s_endpgm
	.section	.rodata,"a",@progbits
	.p2align	6, 0x0
	.amdhsa_kernel _ZN2at6native14lpnorm_cleanupIfLNS0_8NormTypeE1EfLb0EfEEvPKT3_NS0_19TensorListAddressesEi
		.amdhsa_group_segment_fixed_size 2048
		.amdhsa_private_segment_fixed_size 0
		.amdhsa_kernarg_size 3472
		.amdhsa_user_sgpr_count 2
		.amdhsa_user_sgpr_dispatch_ptr 0
		.amdhsa_user_sgpr_queue_ptr 0
		.amdhsa_user_sgpr_kernarg_segment_ptr 1
		.amdhsa_user_sgpr_dispatch_id 0
		.amdhsa_user_sgpr_kernarg_preload_length 0
		.amdhsa_user_sgpr_kernarg_preload_offset 0
		.amdhsa_user_sgpr_private_segment_size 0
		.amdhsa_wavefront_size32 1
		.amdhsa_uses_dynamic_stack 0
		.amdhsa_enable_private_segment 0
		.amdhsa_system_sgpr_workgroup_id_x 1
		.amdhsa_system_sgpr_workgroup_id_y 0
		.amdhsa_system_sgpr_workgroup_id_z 0
		.amdhsa_system_sgpr_workgroup_info 0
		.amdhsa_system_vgpr_workitem_id 0
		.amdhsa_next_free_vgpr 9
		.amdhsa_next_free_sgpr 12
		.amdhsa_named_barrier_count 0
		.amdhsa_reserve_vcc 1
		.amdhsa_float_round_mode_32 0
		.amdhsa_float_round_mode_16_64 0
		.amdhsa_float_denorm_mode_32 3
		.amdhsa_float_denorm_mode_16_64 3
		.amdhsa_fp16_overflow 0
		.amdhsa_memory_ordered 1
		.amdhsa_forward_progress 1
		.amdhsa_inst_pref_size 6
		.amdhsa_round_robin_scheduling 0
		.amdhsa_exception_fp_ieee_invalid_op 0
		.amdhsa_exception_fp_denorm_src 0
		.amdhsa_exception_fp_ieee_div_zero 0
		.amdhsa_exception_fp_ieee_overflow 0
		.amdhsa_exception_fp_ieee_underflow 0
		.amdhsa_exception_fp_ieee_inexact 0
		.amdhsa_exception_int_div_zero 0
	.end_amdhsa_kernel
	.section	.text._ZN2at6native14lpnorm_cleanupIfLNS0_8NormTypeE1EfLb0EfEEvPKT3_NS0_19TensorListAddressesEi,"axG",@progbits,_ZN2at6native14lpnorm_cleanupIfLNS0_8NormTypeE1EfLb0EfEEvPKT3_NS0_19TensorListAddressesEi,comdat
.Lfunc_end164:
	.size	_ZN2at6native14lpnorm_cleanupIfLNS0_8NormTypeE1EfLb0EfEEvPKT3_NS0_19TensorListAddressesEi, .Lfunc_end164-_ZN2at6native14lpnorm_cleanupIfLNS0_8NormTypeE1EfLb0EfEEvPKT3_NS0_19TensorListAddressesEi
                                        ; -- End function
	.set _ZN2at6native14lpnorm_cleanupIfLNS0_8NormTypeE1EfLb0EfEEvPKT3_NS0_19TensorListAddressesEi.num_vgpr, 9
	.set _ZN2at6native14lpnorm_cleanupIfLNS0_8NormTypeE1EfLb0EfEEvPKT3_NS0_19TensorListAddressesEi.num_agpr, 0
	.set _ZN2at6native14lpnorm_cleanupIfLNS0_8NormTypeE1EfLb0EfEEvPKT3_NS0_19TensorListAddressesEi.numbered_sgpr, 12
	.set _ZN2at6native14lpnorm_cleanupIfLNS0_8NormTypeE1EfLb0EfEEvPKT3_NS0_19TensorListAddressesEi.num_named_barrier, 0
	.set _ZN2at6native14lpnorm_cleanupIfLNS0_8NormTypeE1EfLb0EfEEvPKT3_NS0_19TensorListAddressesEi.private_seg_size, 0
	.set _ZN2at6native14lpnorm_cleanupIfLNS0_8NormTypeE1EfLb0EfEEvPKT3_NS0_19TensorListAddressesEi.uses_vcc, 1
	.set _ZN2at6native14lpnorm_cleanupIfLNS0_8NormTypeE1EfLb0EfEEvPKT3_NS0_19TensorListAddressesEi.uses_flat_scratch, 0
	.set _ZN2at6native14lpnorm_cleanupIfLNS0_8NormTypeE1EfLb0EfEEvPKT3_NS0_19TensorListAddressesEi.has_dyn_sized_stack, 0
	.set _ZN2at6native14lpnorm_cleanupIfLNS0_8NormTypeE1EfLb0EfEEvPKT3_NS0_19TensorListAddressesEi.has_recursion, 0
	.set _ZN2at6native14lpnorm_cleanupIfLNS0_8NormTypeE1EfLb0EfEEvPKT3_NS0_19TensorListAddressesEi.has_indirect_call, 0
	.section	.AMDGPU.csdata,"",@progbits
; Kernel info:
; codeLenInByte = 668
; TotalNumSgprs: 14
; NumVgprs: 9
; ScratchSize: 0
; MemoryBound: 0
; FloatMode: 240
; IeeeMode: 1
; LDSByteSize: 2048 bytes/workgroup (compile time only)
; SGPRBlocks: 0
; VGPRBlocks: 0
; NumSGPRsForWavesPerEU: 14
; NumVGPRsForWavesPerEU: 9
; NamedBarCnt: 0
; Occupancy: 16
; WaveLimiterHint : 0
; COMPUTE_PGM_RSRC2:SCRATCH_EN: 0
; COMPUTE_PGM_RSRC2:USER_SGPR: 2
; COMPUTE_PGM_RSRC2:TRAP_HANDLER: 0
; COMPUTE_PGM_RSRC2:TGID_X_EN: 1
; COMPUTE_PGM_RSRC2:TGID_Y_EN: 0
; COMPUTE_PGM_RSRC2:TGID_Z_EN: 0
; COMPUTE_PGM_RSRC2:TIDIG_COMP_CNT: 0
	.section	.text._ZN2at6native14lpnorm_cleanupIfLNS0_8NormTypeE2EfLb0EfEEvPKT3_NS0_19TensorListAddressesEi,"axG",@progbits,_ZN2at6native14lpnorm_cleanupIfLNS0_8NormTypeE2EfLb0EfEEvPKT3_NS0_19TensorListAddressesEi,comdat
	.protected	_ZN2at6native14lpnorm_cleanupIfLNS0_8NormTypeE2EfLb0EfEEvPKT3_NS0_19TensorListAddressesEi ; -- Begin function _ZN2at6native14lpnorm_cleanupIfLNS0_8NormTypeE2EfLb0EfEEvPKT3_NS0_19TensorListAddressesEi
	.globl	_ZN2at6native14lpnorm_cleanupIfLNS0_8NormTypeE2EfLb0EfEEvPKT3_NS0_19TensorListAddressesEi
	.p2align	8
	.type	_ZN2at6native14lpnorm_cleanupIfLNS0_8NormTypeE2EfLb0EfEEvPKT3_NS0_19TensorListAddressesEi,@function
_ZN2at6native14lpnorm_cleanupIfLNS0_8NormTypeE2EfLb0EfEEvPKT3_NS0_19TensorListAddressesEi: ; @_ZN2at6native14lpnorm_cleanupIfLNS0_8NormTypeE2EfLb0EfEEvPKT3_NS0_19TensorListAddressesEi
; %bb.0:
	s_load_b32 s2, s[0:1], 0xc88
	s_bfe_u32 s3, ttmp6, 0x4000c
	s_and_b32 s4, ttmp6, 15
	s_add_co_i32 s3, s3, 1
	s_getreg_b32 s5, hwreg(HW_REG_IB_STS2, 6, 4)
	s_mul_i32 s3, ttmp9, s3
	v_mov_b32_e32 v1, 0
	s_add_co_i32 s4, s4, s3
	s_cmp_eq_u32 s5, 0
	s_mov_b32 s5, 0
	s_cselect_b32 s8, ttmp9, s4
	s_mov_b32 s9, exec_lo
	s_wait_kmcnt 0x0
	v_cmpx_gt_u32_e64 s2, v0
	s_cbranch_execz .LBB165_4
; %bb.1:
	s_clause 0x1
	s_load_b64 s[6:7], s[0:1], 0x0
	s_load_b32 s4, s[0:1], 0xc9c
	v_dual_mov_b32 v1, 0 :: v_dual_lshlrev_b32 v2, 2, v0
	s_mul_i32 s10, s2, s8
	s_mov_b32 s11, s5
	s_ashr_i32 s3, s2, 31
	s_delay_alu instid0(VALU_DEP_1)
	v_mov_b32_e32 v3, v1
	s_lshl_b64 s[10:11], s[10:11], 2
	v_mov_b64_e32 v[4:5], v[0:1]
	s_wait_kmcnt 0x0
	s_add_nc_u64 s[6:7], s[6:7], s[10:11]
	s_and_b32 s4, s4, 0xffff
	v_add_nc_u64_e32 v[2:3], s[6:7], v[2:3]
	s_lshl_b32 s6, s4, 2
	s_mov_b32 s7, s5
	s_mov_b32 s10, s5
.LBB165_2:                              ; =>This Inner Loop Header: Depth=1
	global_load_b32 v6, v[2:3], off
	v_add_nc_u64_e32 v[4:5], s[4:5], v[4:5]
	s_wait_xcnt 0x0
	v_add_nc_u64_e32 v[2:3], s[6:7], v[2:3]
	s_delay_alu instid0(VALU_DEP_2)
	v_cmp_le_u64_e32 vcc_lo, s[2:3], v[4:5]
	s_or_b32 s10, vcc_lo, s10
	s_wait_loadcnt 0x0
	v_add_f32_e32 v1, v1, v6
	s_and_not1_b32 exec_lo, exec_lo, s10
	s_cbranch_execnz .LBB165_2
; %bb.3:
	s_or_b32 exec_lo, exec_lo, s10
.LBB165_4:
	s_delay_alu instid0(SALU_CYCLE_1) | instskip(SKIP_4) | instid1(VALU_DEP_1)
	s_or_b32 exec_lo, exec_lo, s9
	v_mbcnt_lo_u32_b32 v5, -1, 0
	s_mov_b32 s2, exec_lo
	s_barrier_signal -1
	s_barrier_wait -1
	v_lshl_or_b32 v2, v5, 2, 64
	v_cmp_gt_u32_e32 vcc_lo, 24, v5
	ds_bpermute_b32 v4, v2, v1
	v_cndmask_b32_e64 v3, 0, 8, vcc_lo
	v_cmp_gt_u32_e32 vcc_lo, 28, v5
	s_delay_alu instid0(VALU_DEP_2)
	v_add_lshl_u32 v3, v3, v5, 2
	s_wait_dscnt 0x0
	v_add_f32_e32 v4, v1, v4
	v_cndmask_b32_e64 v1, 0, 4, vcc_lo
	v_cmp_gt_u32_e32 vcc_lo, 30, v5
	ds_bpermute_b32 v6, v3, v4
	v_add_lshl_u32 v1, v1, v5, 2
	s_wait_dscnt 0x0
	v_add_f32_e32 v6, v4, v6
	v_cndmask_b32_e64 v4, 0, 2, vcc_lo
	v_cmp_ne_u32_e32 vcc_lo, 31, v5
	s_delay_alu instid0(VALU_DEP_2) | instskip(SKIP_1) | instid1(VALU_DEP_1)
	v_add_lshl_u32 v4, v4, v5, 2
	v_add_co_ci_u32_e64 v5, null, 0, v5, vcc_lo
	v_lshlrev_b32_e32 v5, 2, v5
	ds_bpermute_b32 v7, v1, v6
	s_wait_dscnt 0x0
	v_add_f32_e32 v6, v6, v7
	ds_bpermute_b32 v7, v4, v6
	s_wait_dscnt 0x0
	v_dual_add_f32 v7, v6, v7 :: v_dual_bitop2_b32 v6, 31, v0 bitop3:0x40
	ds_bpermute_b32 v8, v5, v7
	v_cmpx_eq_u32_e32 0, v6
	s_cbranch_execz .LBB165_6
; %bb.5:
	s_wait_dscnt 0x0
	v_add_f32_e32 v7, v7, v8
	v_lshrrev_b32_e32 v8, 3, v0
	ds_store_b32 v8, v7
.LBB165_6:
	s_or_b32 exec_lo, exec_lo, s2
	s_wait_dscnt 0x0
	s_barrier_signal -1
	s_barrier_wait -1
	s_load_b32 s2, s[0:1], 0xc9c
	v_mov_b32_e32 v7, 0
	s_wait_kmcnt 0x0
	s_bfe_u32 s2, s2, 0xb0005
	s_delay_alu instid0(SALU_CYCLE_1)
	v_cmp_gt_u32_e32 vcc_lo, s2, v0
	s_and_saveexec_b32 s2, vcc_lo
; %bb.7:
	v_lshlrev_b32_e32 v6, 2, v6
	ds_load_b32 v7, v6
; %bb.8:
	s_or_b32 exec_lo, exec_lo, s2
	s_delay_alu instid0(SALU_CYCLE_1)
	s_mov_b32 s2, exec_lo
	v_cmpx_gt_u32_e32 32, v0
	s_cbranch_execz .LBB165_10
; %bb.9:
	s_wait_dscnt 0x0
	ds_bpermute_b32 v2, v2, v7
	s_wait_dscnt 0x0
	v_add_f32_e32 v2, v7, v2
	ds_bpermute_b32 v3, v3, v2
	s_wait_dscnt 0x0
	v_add_f32_e32 v2, v2, v3
	;; [unrolled: 3-line block ×5, first 2 shown]
.LBB165_10:
	s_or_b32 exec_lo, exec_lo, s2
	s_delay_alu instid0(SALU_CYCLE_1)
	s_mov_b32 s2, exec_lo
	v_cmpx_eq_u32_e32 0, v0
	s_cbranch_execz .LBB165_12
; %bb.11:
	s_load_b64 s[0:1], s[0:1], s8 offset:0x8 scale_offset
	v_mov_b32_e32 v0, 0
	s_wait_dscnt 0x0
	s_wait_kmcnt 0x0
	global_store_b32 v0, v7, s[0:1]
.LBB165_12:
	s_endpgm
	.section	.rodata,"a",@progbits
	.p2align	6, 0x0
	.amdhsa_kernel _ZN2at6native14lpnorm_cleanupIfLNS0_8NormTypeE2EfLb0EfEEvPKT3_NS0_19TensorListAddressesEi
		.amdhsa_group_segment_fixed_size 2048
		.amdhsa_private_segment_fixed_size 0
		.amdhsa_kernarg_size 3472
		.amdhsa_user_sgpr_count 2
		.amdhsa_user_sgpr_dispatch_ptr 0
		.amdhsa_user_sgpr_queue_ptr 0
		.amdhsa_user_sgpr_kernarg_segment_ptr 1
		.amdhsa_user_sgpr_dispatch_id 0
		.amdhsa_user_sgpr_kernarg_preload_length 0
		.amdhsa_user_sgpr_kernarg_preload_offset 0
		.amdhsa_user_sgpr_private_segment_size 0
		.amdhsa_wavefront_size32 1
		.amdhsa_uses_dynamic_stack 0
		.amdhsa_enable_private_segment 0
		.amdhsa_system_sgpr_workgroup_id_x 1
		.amdhsa_system_sgpr_workgroup_id_y 0
		.amdhsa_system_sgpr_workgroup_id_z 0
		.amdhsa_system_sgpr_workgroup_info 0
		.amdhsa_system_vgpr_workitem_id 0
		.amdhsa_next_free_vgpr 9
		.amdhsa_next_free_sgpr 12
		.amdhsa_named_barrier_count 0
		.amdhsa_reserve_vcc 1
		.amdhsa_float_round_mode_32 0
		.amdhsa_float_round_mode_16_64 0
		.amdhsa_float_denorm_mode_32 3
		.amdhsa_float_denorm_mode_16_64 3
		.amdhsa_fp16_overflow 0
		.amdhsa_memory_ordered 1
		.amdhsa_forward_progress 1
		.amdhsa_inst_pref_size 6
		.amdhsa_round_robin_scheduling 0
		.amdhsa_exception_fp_ieee_invalid_op 0
		.amdhsa_exception_fp_denorm_src 0
		.amdhsa_exception_fp_ieee_div_zero 0
		.amdhsa_exception_fp_ieee_overflow 0
		.amdhsa_exception_fp_ieee_underflow 0
		.amdhsa_exception_fp_ieee_inexact 0
		.amdhsa_exception_int_div_zero 0
	.end_amdhsa_kernel
	.section	.text._ZN2at6native14lpnorm_cleanupIfLNS0_8NormTypeE2EfLb0EfEEvPKT3_NS0_19TensorListAddressesEi,"axG",@progbits,_ZN2at6native14lpnorm_cleanupIfLNS0_8NormTypeE2EfLb0EfEEvPKT3_NS0_19TensorListAddressesEi,comdat
.Lfunc_end165:
	.size	_ZN2at6native14lpnorm_cleanupIfLNS0_8NormTypeE2EfLb0EfEEvPKT3_NS0_19TensorListAddressesEi, .Lfunc_end165-_ZN2at6native14lpnorm_cleanupIfLNS0_8NormTypeE2EfLb0EfEEvPKT3_NS0_19TensorListAddressesEi
                                        ; -- End function
	.set _ZN2at6native14lpnorm_cleanupIfLNS0_8NormTypeE2EfLb0EfEEvPKT3_NS0_19TensorListAddressesEi.num_vgpr, 9
	.set _ZN2at6native14lpnorm_cleanupIfLNS0_8NormTypeE2EfLb0EfEEvPKT3_NS0_19TensorListAddressesEi.num_agpr, 0
	.set _ZN2at6native14lpnorm_cleanupIfLNS0_8NormTypeE2EfLb0EfEEvPKT3_NS0_19TensorListAddressesEi.numbered_sgpr, 12
	.set _ZN2at6native14lpnorm_cleanupIfLNS0_8NormTypeE2EfLb0EfEEvPKT3_NS0_19TensorListAddressesEi.num_named_barrier, 0
	.set _ZN2at6native14lpnorm_cleanupIfLNS0_8NormTypeE2EfLb0EfEEvPKT3_NS0_19TensorListAddressesEi.private_seg_size, 0
	.set _ZN2at6native14lpnorm_cleanupIfLNS0_8NormTypeE2EfLb0EfEEvPKT3_NS0_19TensorListAddressesEi.uses_vcc, 1
	.set _ZN2at6native14lpnorm_cleanupIfLNS0_8NormTypeE2EfLb0EfEEvPKT3_NS0_19TensorListAddressesEi.uses_flat_scratch, 0
	.set _ZN2at6native14lpnorm_cleanupIfLNS0_8NormTypeE2EfLb0EfEEvPKT3_NS0_19TensorListAddressesEi.has_dyn_sized_stack, 0
	.set _ZN2at6native14lpnorm_cleanupIfLNS0_8NormTypeE2EfLb0EfEEvPKT3_NS0_19TensorListAddressesEi.has_recursion, 0
	.set _ZN2at6native14lpnorm_cleanupIfLNS0_8NormTypeE2EfLb0EfEEvPKT3_NS0_19TensorListAddressesEi.has_indirect_call, 0
	.section	.AMDGPU.csdata,"",@progbits
; Kernel info:
; codeLenInByte = 668
; TotalNumSgprs: 14
; NumVgprs: 9
; ScratchSize: 0
; MemoryBound: 0
; FloatMode: 240
; IeeeMode: 1
; LDSByteSize: 2048 bytes/workgroup (compile time only)
; SGPRBlocks: 0
; VGPRBlocks: 0
; NumSGPRsForWavesPerEU: 14
; NumVGPRsForWavesPerEU: 9
; NamedBarCnt: 0
; Occupancy: 16
; WaveLimiterHint : 0
; COMPUTE_PGM_RSRC2:SCRATCH_EN: 0
; COMPUTE_PGM_RSRC2:USER_SGPR: 2
; COMPUTE_PGM_RSRC2:TRAP_HANDLER: 0
; COMPUTE_PGM_RSRC2:TGID_X_EN: 1
; COMPUTE_PGM_RSRC2:TGID_Y_EN: 0
; COMPUTE_PGM_RSRC2:TGID_Z_EN: 0
; COMPUTE_PGM_RSRC2:TIDIG_COMP_CNT: 0
	.section	.text._ZN2at6native14lpnorm_cleanupIfLNS0_8NormTypeE0EN3c104HalfELb0EfEEvPKT3_NS0_19TensorListAddressesEi,"axG",@progbits,_ZN2at6native14lpnorm_cleanupIfLNS0_8NormTypeE0EN3c104HalfELb0EfEEvPKT3_NS0_19TensorListAddressesEi,comdat
	.protected	_ZN2at6native14lpnorm_cleanupIfLNS0_8NormTypeE0EN3c104HalfELb0EfEEvPKT3_NS0_19TensorListAddressesEi ; -- Begin function _ZN2at6native14lpnorm_cleanupIfLNS0_8NormTypeE0EN3c104HalfELb0EfEEvPKT3_NS0_19TensorListAddressesEi
	.globl	_ZN2at6native14lpnorm_cleanupIfLNS0_8NormTypeE0EN3c104HalfELb0EfEEvPKT3_NS0_19TensorListAddressesEi
	.p2align	8
	.type	_ZN2at6native14lpnorm_cleanupIfLNS0_8NormTypeE0EN3c104HalfELb0EfEEvPKT3_NS0_19TensorListAddressesEi,@function
_ZN2at6native14lpnorm_cleanupIfLNS0_8NormTypeE0EN3c104HalfELb0EfEEvPKT3_NS0_19TensorListAddressesEi: ; @_ZN2at6native14lpnorm_cleanupIfLNS0_8NormTypeE0EN3c104HalfELb0EfEEvPKT3_NS0_19TensorListAddressesEi
; %bb.0:
	s_load_b32 s2, s[0:1], 0xc88
	s_bfe_u32 s3, ttmp6, 0x4000c
	s_and_b32 s4, ttmp6, 15
	s_add_co_i32 s3, s3, 1
	s_getreg_b32 s5, hwreg(HW_REG_IB_STS2, 6, 4)
	s_mul_i32 s3, ttmp9, s3
	v_mov_b32_e32 v1, 0
	s_add_co_i32 s4, s4, s3
	s_cmp_eq_u32 s5, 0
	s_mov_b32 s5, 0
	s_cselect_b32 s8, ttmp9, s4
	s_mov_b32 s9, exec_lo
	s_wait_kmcnt 0x0
	v_cmpx_gt_u32_e64 s2, v0
	s_cbranch_execz .LBB166_4
; %bb.1:
	s_clause 0x1
	s_load_b64 s[6:7], s[0:1], 0x0
	s_load_b32 s4, s[0:1], 0xc9c
	v_dual_mov_b32 v1, 0 :: v_dual_lshlrev_b32 v2, 2, v0
	s_mul_i32 s10, s2, s8
	s_mov_b32 s11, s5
	s_ashr_i32 s3, s2, 31
	s_delay_alu instid0(VALU_DEP_1)
	v_mov_b32_e32 v3, v1
	s_lshl_b64 s[10:11], s[10:11], 2
	v_mov_b64_e32 v[4:5], v[0:1]
	s_wait_kmcnt 0x0
	s_add_nc_u64 s[6:7], s[6:7], s[10:11]
	s_and_b32 s4, s4, 0xffff
	v_add_nc_u64_e32 v[2:3], s[6:7], v[2:3]
	s_lshl_b32 s6, s4, 2
	s_mov_b32 s7, s5
	s_mov_b32 s10, s5
.LBB166_2:                              ; =>This Inner Loop Header: Depth=1
	global_load_b32 v6, v[2:3], off
	v_add_nc_u64_e32 v[4:5], s[4:5], v[4:5]
	s_wait_xcnt 0x0
	v_add_nc_u64_e32 v[2:3], s[6:7], v[2:3]
	s_delay_alu instid0(VALU_DEP_2)
	v_cmp_le_u64_e32 vcc_lo, s[2:3], v[4:5]
	s_or_b32 s10, vcc_lo, s10
	s_wait_loadcnt 0x0
	v_add_f32_e32 v1, v1, v6
	s_and_not1_b32 exec_lo, exec_lo, s10
	s_cbranch_execnz .LBB166_2
; %bb.3:
	s_or_b32 exec_lo, exec_lo, s10
.LBB166_4:
	s_delay_alu instid0(SALU_CYCLE_1) | instskip(SKIP_4) | instid1(VALU_DEP_1)
	s_or_b32 exec_lo, exec_lo, s9
	v_mbcnt_lo_u32_b32 v5, -1, 0
	s_mov_b32 s2, exec_lo
	s_barrier_signal -1
	s_barrier_wait -1
	v_lshl_or_b32 v2, v5, 2, 64
	v_cmp_gt_u32_e32 vcc_lo, 24, v5
	ds_bpermute_b32 v4, v2, v1
	v_cndmask_b32_e64 v3, 0, 8, vcc_lo
	v_cmp_gt_u32_e32 vcc_lo, 28, v5
	s_delay_alu instid0(VALU_DEP_2)
	v_add_lshl_u32 v3, v3, v5, 2
	s_wait_dscnt 0x0
	v_add_f32_e32 v4, v1, v4
	v_cndmask_b32_e64 v1, 0, 4, vcc_lo
	v_cmp_gt_u32_e32 vcc_lo, 30, v5
	ds_bpermute_b32 v6, v3, v4
	v_add_lshl_u32 v1, v1, v5, 2
	s_wait_dscnt 0x0
	v_add_f32_e32 v6, v4, v6
	v_cndmask_b32_e64 v4, 0, 2, vcc_lo
	v_cmp_ne_u32_e32 vcc_lo, 31, v5
	s_delay_alu instid0(VALU_DEP_2) | instskip(SKIP_1) | instid1(VALU_DEP_1)
	v_add_lshl_u32 v4, v4, v5, 2
	v_add_co_ci_u32_e64 v5, null, 0, v5, vcc_lo
	v_lshlrev_b32_e32 v5, 2, v5
	ds_bpermute_b32 v7, v1, v6
	s_wait_dscnt 0x0
	v_add_f32_e32 v6, v6, v7
	ds_bpermute_b32 v7, v4, v6
	s_wait_dscnt 0x0
	v_dual_add_f32 v7, v6, v7 :: v_dual_bitop2_b32 v6, 31, v0 bitop3:0x40
	ds_bpermute_b32 v8, v5, v7
	v_cmpx_eq_u32_e32 0, v6
	s_cbranch_execz .LBB166_6
; %bb.5:
	s_wait_dscnt 0x0
	v_add_f32_e32 v7, v7, v8
	v_lshrrev_b32_e32 v8, 3, v0
	ds_store_b32 v8, v7
.LBB166_6:
	s_or_b32 exec_lo, exec_lo, s2
	s_wait_dscnt 0x0
	s_barrier_signal -1
	s_barrier_wait -1
	s_load_b32 s2, s[0:1], 0xc9c
	v_mov_b32_e32 v7, 0
	s_wait_kmcnt 0x0
	s_bfe_u32 s2, s2, 0xb0005
	s_delay_alu instid0(SALU_CYCLE_1)
	v_cmp_gt_u32_e32 vcc_lo, s2, v0
	s_and_saveexec_b32 s2, vcc_lo
; %bb.7:
	v_lshlrev_b32_e32 v6, 2, v6
	ds_load_b32 v7, v6
; %bb.8:
	s_or_b32 exec_lo, exec_lo, s2
	s_delay_alu instid0(SALU_CYCLE_1)
	s_mov_b32 s2, exec_lo
	v_cmpx_gt_u32_e32 32, v0
	s_cbranch_execz .LBB166_10
; %bb.9:
	s_wait_dscnt 0x0
	ds_bpermute_b32 v2, v2, v7
	s_wait_dscnt 0x0
	v_add_f32_e32 v2, v7, v2
	ds_bpermute_b32 v3, v3, v2
	s_wait_dscnt 0x0
	v_add_f32_e32 v2, v2, v3
	;; [unrolled: 3-line block ×5, first 2 shown]
.LBB166_10:
	s_or_b32 exec_lo, exec_lo, s2
	s_delay_alu instid0(SALU_CYCLE_1)
	s_mov_b32 s2, exec_lo
	v_cmpx_eq_u32_e32 0, v0
	s_cbranch_execz .LBB166_12
; %bb.11:
	s_load_b64 s[0:1], s[0:1], s8 offset:0x8 scale_offset
	s_wait_dscnt 0x0
	v_cvt_f16_f32_e32 v0, v7
	v_mov_b32_e32 v1, 0
	s_wait_kmcnt 0x0
	global_store_b16 v1, v0, s[0:1]
.LBB166_12:
	s_endpgm
	.section	.rodata,"a",@progbits
	.p2align	6, 0x0
	.amdhsa_kernel _ZN2at6native14lpnorm_cleanupIfLNS0_8NormTypeE0EN3c104HalfELb0EfEEvPKT3_NS0_19TensorListAddressesEi
		.amdhsa_group_segment_fixed_size 2048
		.amdhsa_private_segment_fixed_size 0
		.amdhsa_kernarg_size 3472
		.amdhsa_user_sgpr_count 2
		.amdhsa_user_sgpr_dispatch_ptr 0
		.amdhsa_user_sgpr_queue_ptr 0
		.amdhsa_user_sgpr_kernarg_segment_ptr 1
		.amdhsa_user_sgpr_dispatch_id 0
		.amdhsa_user_sgpr_kernarg_preload_length 0
		.amdhsa_user_sgpr_kernarg_preload_offset 0
		.amdhsa_user_sgpr_private_segment_size 0
		.amdhsa_wavefront_size32 1
		.amdhsa_uses_dynamic_stack 0
		.amdhsa_enable_private_segment 0
		.amdhsa_system_sgpr_workgroup_id_x 1
		.amdhsa_system_sgpr_workgroup_id_y 0
		.amdhsa_system_sgpr_workgroup_id_z 0
		.amdhsa_system_sgpr_workgroup_info 0
		.amdhsa_system_vgpr_workitem_id 0
		.amdhsa_next_free_vgpr 9
		.amdhsa_next_free_sgpr 12
		.amdhsa_named_barrier_count 0
		.amdhsa_reserve_vcc 1
		.amdhsa_float_round_mode_32 0
		.amdhsa_float_round_mode_16_64 0
		.amdhsa_float_denorm_mode_32 3
		.amdhsa_float_denorm_mode_16_64 3
		.amdhsa_fp16_overflow 0
		.amdhsa_memory_ordered 1
		.amdhsa_forward_progress 1
		.amdhsa_inst_pref_size 6
		.amdhsa_round_robin_scheduling 0
		.amdhsa_exception_fp_ieee_invalid_op 0
		.amdhsa_exception_fp_denorm_src 0
		.amdhsa_exception_fp_ieee_div_zero 0
		.amdhsa_exception_fp_ieee_overflow 0
		.amdhsa_exception_fp_ieee_underflow 0
		.amdhsa_exception_fp_ieee_inexact 0
		.amdhsa_exception_int_div_zero 0
	.end_amdhsa_kernel
	.section	.text._ZN2at6native14lpnorm_cleanupIfLNS0_8NormTypeE0EN3c104HalfELb0EfEEvPKT3_NS0_19TensorListAddressesEi,"axG",@progbits,_ZN2at6native14lpnorm_cleanupIfLNS0_8NormTypeE0EN3c104HalfELb0EfEEvPKT3_NS0_19TensorListAddressesEi,comdat
.Lfunc_end166:
	.size	_ZN2at6native14lpnorm_cleanupIfLNS0_8NormTypeE0EN3c104HalfELb0EfEEvPKT3_NS0_19TensorListAddressesEi, .Lfunc_end166-_ZN2at6native14lpnorm_cleanupIfLNS0_8NormTypeE0EN3c104HalfELb0EfEEvPKT3_NS0_19TensorListAddressesEi
                                        ; -- End function
	.set _ZN2at6native14lpnorm_cleanupIfLNS0_8NormTypeE0EN3c104HalfELb0EfEEvPKT3_NS0_19TensorListAddressesEi.num_vgpr, 9
	.set _ZN2at6native14lpnorm_cleanupIfLNS0_8NormTypeE0EN3c104HalfELb0EfEEvPKT3_NS0_19TensorListAddressesEi.num_agpr, 0
	.set _ZN2at6native14lpnorm_cleanupIfLNS0_8NormTypeE0EN3c104HalfELb0EfEEvPKT3_NS0_19TensorListAddressesEi.numbered_sgpr, 12
	.set _ZN2at6native14lpnorm_cleanupIfLNS0_8NormTypeE0EN3c104HalfELb0EfEEvPKT3_NS0_19TensorListAddressesEi.num_named_barrier, 0
	.set _ZN2at6native14lpnorm_cleanupIfLNS0_8NormTypeE0EN3c104HalfELb0EfEEvPKT3_NS0_19TensorListAddressesEi.private_seg_size, 0
	.set _ZN2at6native14lpnorm_cleanupIfLNS0_8NormTypeE0EN3c104HalfELb0EfEEvPKT3_NS0_19TensorListAddressesEi.uses_vcc, 1
	.set _ZN2at6native14lpnorm_cleanupIfLNS0_8NormTypeE0EN3c104HalfELb0EfEEvPKT3_NS0_19TensorListAddressesEi.uses_flat_scratch, 0
	.set _ZN2at6native14lpnorm_cleanupIfLNS0_8NormTypeE0EN3c104HalfELb0EfEEvPKT3_NS0_19TensorListAddressesEi.has_dyn_sized_stack, 0
	.set _ZN2at6native14lpnorm_cleanupIfLNS0_8NormTypeE0EN3c104HalfELb0EfEEvPKT3_NS0_19TensorListAddressesEi.has_recursion, 0
	.set _ZN2at6native14lpnorm_cleanupIfLNS0_8NormTypeE0EN3c104HalfELb0EfEEvPKT3_NS0_19TensorListAddressesEi.has_indirect_call, 0
	.section	.AMDGPU.csdata,"",@progbits
; Kernel info:
; codeLenInByte = 672
; TotalNumSgprs: 14
; NumVgprs: 9
; ScratchSize: 0
; MemoryBound: 0
; FloatMode: 240
; IeeeMode: 1
; LDSByteSize: 2048 bytes/workgroup (compile time only)
; SGPRBlocks: 0
; VGPRBlocks: 0
; NumSGPRsForWavesPerEU: 14
; NumVGPRsForWavesPerEU: 9
; NamedBarCnt: 0
; Occupancy: 16
; WaveLimiterHint : 0
; COMPUTE_PGM_RSRC2:SCRATCH_EN: 0
; COMPUTE_PGM_RSRC2:USER_SGPR: 2
; COMPUTE_PGM_RSRC2:TRAP_HANDLER: 0
; COMPUTE_PGM_RSRC2:TGID_X_EN: 1
; COMPUTE_PGM_RSRC2:TGID_Y_EN: 0
; COMPUTE_PGM_RSRC2:TGID_Z_EN: 0
; COMPUTE_PGM_RSRC2:TIDIG_COMP_CNT: 0
	.section	.text._ZN2at6native14lpnorm_cleanupIfLNS0_8NormTypeE1EN3c104HalfELb0EfEEvPKT3_NS0_19TensorListAddressesEi,"axG",@progbits,_ZN2at6native14lpnorm_cleanupIfLNS0_8NormTypeE1EN3c104HalfELb0EfEEvPKT3_NS0_19TensorListAddressesEi,comdat
	.protected	_ZN2at6native14lpnorm_cleanupIfLNS0_8NormTypeE1EN3c104HalfELb0EfEEvPKT3_NS0_19TensorListAddressesEi ; -- Begin function _ZN2at6native14lpnorm_cleanupIfLNS0_8NormTypeE1EN3c104HalfELb0EfEEvPKT3_NS0_19TensorListAddressesEi
	.globl	_ZN2at6native14lpnorm_cleanupIfLNS0_8NormTypeE1EN3c104HalfELb0EfEEvPKT3_NS0_19TensorListAddressesEi
	.p2align	8
	.type	_ZN2at6native14lpnorm_cleanupIfLNS0_8NormTypeE1EN3c104HalfELb0EfEEvPKT3_NS0_19TensorListAddressesEi,@function
_ZN2at6native14lpnorm_cleanupIfLNS0_8NormTypeE1EN3c104HalfELb0EfEEvPKT3_NS0_19TensorListAddressesEi: ; @_ZN2at6native14lpnorm_cleanupIfLNS0_8NormTypeE1EN3c104HalfELb0EfEEvPKT3_NS0_19TensorListAddressesEi
; %bb.0:
	s_load_b32 s2, s[0:1], 0xc88
	s_bfe_u32 s3, ttmp6, 0x4000c
	s_and_b32 s4, ttmp6, 15
	s_add_co_i32 s3, s3, 1
	s_getreg_b32 s5, hwreg(HW_REG_IB_STS2, 6, 4)
	s_mul_i32 s3, ttmp9, s3
	v_mov_b32_e32 v1, 0
	s_add_co_i32 s4, s4, s3
	s_cmp_eq_u32 s5, 0
	s_mov_b32 s5, 0
	s_cselect_b32 s8, ttmp9, s4
	s_mov_b32 s9, exec_lo
	s_wait_kmcnt 0x0
	v_cmpx_gt_u32_e64 s2, v0
	s_cbranch_execz .LBB167_4
; %bb.1:
	s_clause 0x1
	s_load_b64 s[6:7], s[0:1], 0x0
	s_load_b32 s4, s[0:1], 0xc9c
	v_dual_mov_b32 v1, 0 :: v_dual_lshlrev_b32 v2, 2, v0
	s_mul_i32 s10, s2, s8
	s_mov_b32 s11, s5
	s_ashr_i32 s3, s2, 31
	s_delay_alu instid0(VALU_DEP_1)
	v_mov_b32_e32 v3, v1
	s_lshl_b64 s[10:11], s[10:11], 2
	v_mov_b64_e32 v[4:5], v[0:1]
	s_wait_kmcnt 0x0
	s_add_nc_u64 s[6:7], s[6:7], s[10:11]
	s_and_b32 s4, s4, 0xffff
	v_add_nc_u64_e32 v[2:3], s[6:7], v[2:3]
	s_lshl_b32 s6, s4, 2
	s_mov_b32 s7, s5
	s_mov_b32 s10, s5
.LBB167_2:                              ; =>This Inner Loop Header: Depth=1
	global_load_b32 v6, v[2:3], off
	v_add_nc_u64_e32 v[4:5], s[4:5], v[4:5]
	s_wait_xcnt 0x0
	v_add_nc_u64_e32 v[2:3], s[6:7], v[2:3]
	s_delay_alu instid0(VALU_DEP_2)
	v_cmp_le_u64_e32 vcc_lo, s[2:3], v[4:5]
	s_or_b32 s10, vcc_lo, s10
	s_wait_loadcnt 0x0
	v_add_f32_e32 v1, v1, v6
	s_and_not1_b32 exec_lo, exec_lo, s10
	s_cbranch_execnz .LBB167_2
; %bb.3:
	s_or_b32 exec_lo, exec_lo, s10
.LBB167_4:
	s_delay_alu instid0(SALU_CYCLE_1) | instskip(SKIP_4) | instid1(VALU_DEP_1)
	s_or_b32 exec_lo, exec_lo, s9
	v_mbcnt_lo_u32_b32 v5, -1, 0
	s_mov_b32 s2, exec_lo
	s_barrier_signal -1
	s_barrier_wait -1
	v_lshl_or_b32 v2, v5, 2, 64
	v_cmp_gt_u32_e32 vcc_lo, 24, v5
	ds_bpermute_b32 v4, v2, v1
	v_cndmask_b32_e64 v3, 0, 8, vcc_lo
	v_cmp_gt_u32_e32 vcc_lo, 28, v5
	s_delay_alu instid0(VALU_DEP_2)
	v_add_lshl_u32 v3, v3, v5, 2
	s_wait_dscnt 0x0
	v_add_f32_e32 v4, v1, v4
	v_cndmask_b32_e64 v1, 0, 4, vcc_lo
	v_cmp_gt_u32_e32 vcc_lo, 30, v5
	ds_bpermute_b32 v6, v3, v4
	v_add_lshl_u32 v1, v1, v5, 2
	s_wait_dscnt 0x0
	v_add_f32_e32 v6, v4, v6
	v_cndmask_b32_e64 v4, 0, 2, vcc_lo
	v_cmp_ne_u32_e32 vcc_lo, 31, v5
	s_delay_alu instid0(VALU_DEP_2) | instskip(SKIP_1) | instid1(VALU_DEP_1)
	v_add_lshl_u32 v4, v4, v5, 2
	v_add_co_ci_u32_e64 v5, null, 0, v5, vcc_lo
	v_lshlrev_b32_e32 v5, 2, v5
	ds_bpermute_b32 v7, v1, v6
	s_wait_dscnt 0x0
	v_add_f32_e32 v6, v6, v7
	ds_bpermute_b32 v7, v4, v6
	s_wait_dscnt 0x0
	v_dual_add_f32 v7, v6, v7 :: v_dual_bitop2_b32 v6, 31, v0 bitop3:0x40
	ds_bpermute_b32 v8, v5, v7
	v_cmpx_eq_u32_e32 0, v6
	s_cbranch_execz .LBB167_6
; %bb.5:
	s_wait_dscnt 0x0
	v_add_f32_e32 v7, v7, v8
	v_lshrrev_b32_e32 v8, 3, v0
	ds_store_b32 v8, v7
.LBB167_6:
	s_or_b32 exec_lo, exec_lo, s2
	s_wait_dscnt 0x0
	s_barrier_signal -1
	s_barrier_wait -1
	s_load_b32 s2, s[0:1], 0xc9c
	v_mov_b32_e32 v7, 0
	s_wait_kmcnt 0x0
	s_bfe_u32 s2, s2, 0xb0005
	s_delay_alu instid0(SALU_CYCLE_1)
	v_cmp_gt_u32_e32 vcc_lo, s2, v0
	s_and_saveexec_b32 s2, vcc_lo
; %bb.7:
	v_lshlrev_b32_e32 v6, 2, v6
	ds_load_b32 v7, v6
; %bb.8:
	s_or_b32 exec_lo, exec_lo, s2
	s_delay_alu instid0(SALU_CYCLE_1)
	s_mov_b32 s2, exec_lo
	v_cmpx_gt_u32_e32 32, v0
	s_cbranch_execz .LBB167_10
; %bb.9:
	s_wait_dscnt 0x0
	ds_bpermute_b32 v2, v2, v7
	s_wait_dscnt 0x0
	v_add_f32_e32 v2, v7, v2
	ds_bpermute_b32 v3, v3, v2
	s_wait_dscnt 0x0
	v_add_f32_e32 v2, v2, v3
	;; [unrolled: 3-line block ×5, first 2 shown]
.LBB167_10:
	s_or_b32 exec_lo, exec_lo, s2
	s_delay_alu instid0(SALU_CYCLE_1)
	s_mov_b32 s2, exec_lo
	v_cmpx_eq_u32_e32 0, v0
	s_cbranch_execz .LBB167_12
; %bb.11:
	s_load_b64 s[0:1], s[0:1], s8 offset:0x8 scale_offset
	s_wait_dscnt 0x0
	v_cvt_f16_f32_e32 v0, v7
	v_mov_b32_e32 v1, 0
	s_wait_kmcnt 0x0
	global_store_b16 v1, v0, s[0:1]
.LBB167_12:
	s_endpgm
	.section	.rodata,"a",@progbits
	.p2align	6, 0x0
	.amdhsa_kernel _ZN2at6native14lpnorm_cleanupIfLNS0_8NormTypeE1EN3c104HalfELb0EfEEvPKT3_NS0_19TensorListAddressesEi
		.amdhsa_group_segment_fixed_size 2048
		.amdhsa_private_segment_fixed_size 0
		.amdhsa_kernarg_size 3472
		.amdhsa_user_sgpr_count 2
		.amdhsa_user_sgpr_dispatch_ptr 0
		.amdhsa_user_sgpr_queue_ptr 0
		.amdhsa_user_sgpr_kernarg_segment_ptr 1
		.amdhsa_user_sgpr_dispatch_id 0
		.amdhsa_user_sgpr_kernarg_preload_length 0
		.amdhsa_user_sgpr_kernarg_preload_offset 0
		.amdhsa_user_sgpr_private_segment_size 0
		.amdhsa_wavefront_size32 1
		.amdhsa_uses_dynamic_stack 0
		.amdhsa_enable_private_segment 0
		.amdhsa_system_sgpr_workgroup_id_x 1
		.amdhsa_system_sgpr_workgroup_id_y 0
		.amdhsa_system_sgpr_workgroup_id_z 0
		.amdhsa_system_sgpr_workgroup_info 0
		.amdhsa_system_vgpr_workitem_id 0
		.amdhsa_next_free_vgpr 9
		.amdhsa_next_free_sgpr 12
		.amdhsa_named_barrier_count 0
		.amdhsa_reserve_vcc 1
		.amdhsa_float_round_mode_32 0
		.amdhsa_float_round_mode_16_64 0
		.amdhsa_float_denorm_mode_32 3
		.amdhsa_float_denorm_mode_16_64 3
		.amdhsa_fp16_overflow 0
		.amdhsa_memory_ordered 1
		.amdhsa_forward_progress 1
		.amdhsa_inst_pref_size 6
		.amdhsa_round_robin_scheduling 0
		.amdhsa_exception_fp_ieee_invalid_op 0
		.amdhsa_exception_fp_denorm_src 0
		.amdhsa_exception_fp_ieee_div_zero 0
		.amdhsa_exception_fp_ieee_overflow 0
		.amdhsa_exception_fp_ieee_underflow 0
		.amdhsa_exception_fp_ieee_inexact 0
		.amdhsa_exception_int_div_zero 0
	.end_amdhsa_kernel
	.section	.text._ZN2at6native14lpnorm_cleanupIfLNS0_8NormTypeE1EN3c104HalfELb0EfEEvPKT3_NS0_19TensorListAddressesEi,"axG",@progbits,_ZN2at6native14lpnorm_cleanupIfLNS0_8NormTypeE1EN3c104HalfELb0EfEEvPKT3_NS0_19TensorListAddressesEi,comdat
.Lfunc_end167:
	.size	_ZN2at6native14lpnorm_cleanupIfLNS0_8NormTypeE1EN3c104HalfELb0EfEEvPKT3_NS0_19TensorListAddressesEi, .Lfunc_end167-_ZN2at6native14lpnorm_cleanupIfLNS0_8NormTypeE1EN3c104HalfELb0EfEEvPKT3_NS0_19TensorListAddressesEi
                                        ; -- End function
	.set _ZN2at6native14lpnorm_cleanupIfLNS0_8NormTypeE1EN3c104HalfELb0EfEEvPKT3_NS0_19TensorListAddressesEi.num_vgpr, 9
	.set _ZN2at6native14lpnorm_cleanupIfLNS0_8NormTypeE1EN3c104HalfELb0EfEEvPKT3_NS0_19TensorListAddressesEi.num_agpr, 0
	.set _ZN2at6native14lpnorm_cleanupIfLNS0_8NormTypeE1EN3c104HalfELb0EfEEvPKT3_NS0_19TensorListAddressesEi.numbered_sgpr, 12
	.set _ZN2at6native14lpnorm_cleanupIfLNS0_8NormTypeE1EN3c104HalfELb0EfEEvPKT3_NS0_19TensorListAddressesEi.num_named_barrier, 0
	.set _ZN2at6native14lpnorm_cleanupIfLNS0_8NormTypeE1EN3c104HalfELb0EfEEvPKT3_NS0_19TensorListAddressesEi.private_seg_size, 0
	.set _ZN2at6native14lpnorm_cleanupIfLNS0_8NormTypeE1EN3c104HalfELb0EfEEvPKT3_NS0_19TensorListAddressesEi.uses_vcc, 1
	.set _ZN2at6native14lpnorm_cleanupIfLNS0_8NormTypeE1EN3c104HalfELb0EfEEvPKT3_NS0_19TensorListAddressesEi.uses_flat_scratch, 0
	.set _ZN2at6native14lpnorm_cleanupIfLNS0_8NormTypeE1EN3c104HalfELb0EfEEvPKT3_NS0_19TensorListAddressesEi.has_dyn_sized_stack, 0
	.set _ZN2at6native14lpnorm_cleanupIfLNS0_8NormTypeE1EN3c104HalfELb0EfEEvPKT3_NS0_19TensorListAddressesEi.has_recursion, 0
	.set _ZN2at6native14lpnorm_cleanupIfLNS0_8NormTypeE1EN3c104HalfELb0EfEEvPKT3_NS0_19TensorListAddressesEi.has_indirect_call, 0
	.section	.AMDGPU.csdata,"",@progbits
; Kernel info:
; codeLenInByte = 672
; TotalNumSgprs: 14
; NumVgprs: 9
; ScratchSize: 0
; MemoryBound: 0
; FloatMode: 240
; IeeeMode: 1
; LDSByteSize: 2048 bytes/workgroup (compile time only)
; SGPRBlocks: 0
; VGPRBlocks: 0
; NumSGPRsForWavesPerEU: 14
; NumVGPRsForWavesPerEU: 9
; NamedBarCnt: 0
; Occupancy: 16
; WaveLimiterHint : 0
; COMPUTE_PGM_RSRC2:SCRATCH_EN: 0
; COMPUTE_PGM_RSRC2:USER_SGPR: 2
; COMPUTE_PGM_RSRC2:TRAP_HANDLER: 0
; COMPUTE_PGM_RSRC2:TGID_X_EN: 1
; COMPUTE_PGM_RSRC2:TGID_Y_EN: 0
; COMPUTE_PGM_RSRC2:TGID_Z_EN: 0
; COMPUTE_PGM_RSRC2:TIDIG_COMP_CNT: 0
	.section	.text._ZN2at6native14lpnorm_cleanupIfLNS0_8NormTypeE2EN3c104HalfELb0EfEEvPKT3_NS0_19TensorListAddressesEi,"axG",@progbits,_ZN2at6native14lpnorm_cleanupIfLNS0_8NormTypeE2EN3c104HalfELb0EfEEvPKT3_NS0_19TensorListAddressesEi,comdat
	.protected	_ZN2at6native14lpnorm_cleanupIfLNS0_8NormTypeE2EN3c104HalfELb0EfEEvPKT3_NS0_19TensorListAddressesEi ; -- Begin function _ZN2at6native14lpnorm_cleanupIfLNS0_8NormTypeE2EN3c104HalfELb0EfEEvPKT3_NS0_19TensorListAddressesEi
	.globl	_ZN2at6native14lpnorm_cleanupIfLNS0_8NormTypeE2EN3c104HalfELb0EfEEvPKT3_NS0_19TensorListAddressesEi
	.p2align	8
	.type	_ZN2at6native14lpnorm_cleanupIfLNS0_8NormTypeE2EN3c104HalfELb0EfEEvPKT3_NS0_19TensorListAddressesEi,@function
_ZN2at6native14lpnorm_cleanupIfLNS0_8NormTypeE2EN3c104HalfELb0EfEEvPKT3_NS0_19TensorListAddressesEi: ; @_ZN2at6native14lpnorm_cleanupIfLNS0_8NormTypeE2EN3c104HalfELb0EfEEvPKT3_NS0_19TensorListAddressesEi
; %bb.0:
	s_load_b32 s2, s[0:1], 0xc88
	s_bfe_u32 s3, ttmp6, 0x4000c
	s_and_b32 s4, ttmp6, 15
	s_add_co_i32 s3, s3, 1
	s_getreg_b32 s5, hwreg(HW_REG_IB_STS2, 6, 4)
	s_mul_i32 s3, ttmp9, s3
	v_mov_b32_e32 v1, 0
	s_add_co_i32 s4, s4, s3
	s_cmp_eq_u32 s5, 0
	s_mov_b32 s5, 0
	s_cselect_b32 s8, ttmp9, s4
	s_mov_b32 s9, exec_lo
	s_wait_kmcnt 0x0
	v_cmpx_gt_u32_e64 s2, v0
	s_cbranch_execz .LBB168_4
; %bb.1:
	s_clause 0x1
	s_load_b64 s[6:7], s[0:1], 0x0
	s_load_b32 s4, s[0:1], 0xc9c
	v_dual_mov_b32 v1, 0 :: v_dual_lshlrev_b32 v2, 2, v0
	s_mul_i32 s10, s2, s8
	s_mov_b32 s11, s5
	s_ashr_i32 s3, s2, 31
	s_delay_alu instid0(VALU_DEP_1)
	v_mov_b32_e32 v3, v1
	s_lshl_b64 s[10:11], s[10:11], 2
	v_mov_b64_e32 v[4:5], v[0:1]
	s_wait_kmcnt 0x0
	s_add_nc_u64 s[6:7], s[6:7], s[10:11]
	s_and_b32 s4, s4, 0xffff
	v_add_nc_u64_e32 v[2:3], s[6:7], v[2:3]
	s_lshl_b32 s6, s4, 2
	s_mov_b32 s7, s5
	s_mov_b32 s10, s5
.LBB168_2:                              ; =>This Inner Loop Header: Depth=1
	global_load_b32 v6, v[2:3], off
	v_add_nc_u64_e32 v[4:5], s[4:5], v[4:5]
	s_wait_xcnt 0x0
	v_add_nc_u64_e32 v[2:3], s[6:7], v[2:3]
	s_delay_alu instid0(VALU_DEP_2)
	v_cmp_le_u64_e32 vcc_lo, s[2:3], v[4:5]
	s_or_b32 s10, vcc_lo, s10
	s_wait_loadcnt 0x0
	v_add_f32_e32 v1, v1, v6
	s_and_not1_b32 exec_lo, exec_lo, s10
	s_cbranch_execnz .LBB168_2
; %bb.3:
	s_or_b32 exec_lo, exec_lo, s10
.LBB168_4:
	s_delay_alu instid0(SALU_CYCLE_1) | instskip(SKIP_4) | instid1(VALU_DEP_1)
	s_or_b32 exec_lo, exec_lo, s9
	v_mbcnt_lo_u32_b32 v5, -1, 0
	s_mov_b32 s2, exec_lo
	s_barrier_signal -1
	s_barrier_wait -1
	v_lshl_or_b32 v2, v5, 2, 64
	v_cmp_gt_u32_e32 vcc_lo, 24, v5
	ds_bpermute_b32 v4, v2, v1
	v_cndmask_b32_e64 v3, 0, 8, vcc_lo
	v_cmp_gt_u32_e32 vcc_lo, 28, v5
	s_delay_alu instid0(VALU_DEP_2)
	v_add_lshl_u32 v3, v3, v5, 2
	s_wait_dscnt 0x0
	v_add_f32_e32 v4, v1, v4
	v_cndmask_b32_e64 v1, 0, 4, vcc_lo
	v_cmp_gt_u32_e32 vcc_lo, 30, v5
	ds_bpermute_b32 v6, v3, v4
	v_add_lshl_u32 v1, v1, v5, 2
	s_wait_dscnt 0x0
	v_add_f32_e32 v6, v4, v6
	v_cndmask_b32_e64 v4, 0, 2, vcc_lo
	v_cmp_ne_u32_e32 vcc_lo, 31, v5
	s_delay_alu instid0(VALU_DEP_2) | instskip(SKIP_1) | instid1(VALU_DEP_1)
	v_add_lshl_u32 v4, v4, v5, 2
	v_add_co_ci_u32_e64 v5, null, 0, v5, vcc_lo
	v_lshlrev_b32_e32 v5, 2, v5
	ds_bpermute_b32 v7, v1, v6
	s_wait_dscnt 0x0
	v_add_f32_e32 v6, v6, v7
	ds_bpermute_b32 v7, v4, v6
	s_wait_dscnt 0x0
	v_dual_add_f32 v7, v6, v7 :: v_dual_bitop2_b32 v6, 31, v0 bitop3:0x40
	ds_bpermute_b32 v8, v5, v7
	v_cmpx_eq_u32_e32 0, v6
	s_cbranch_execz .LBB168_6
; %bb.5:
	s_wait_dscnt 0x0
	v_add_f32_e32 v7, v7, v8
	v_lshrrev_b32_e32 v8, 3, v0
	ds_store_b32 v8, v7
.LBB168_6:
	s_or_b32 exec_lo, exec_lo, s2
	s_wait_dscnt 0x0
	s_barrier_signal -1
	s_barrier_wait -1
	s_load_b32 s2, s[0:1], 0xc9c
	v_mov_b32_e32 v7, 0
	s_wait_kmcnt 0x0
	s_bfe_u32 s2, s2, 0xb0005
	s_delay_alu instid0(SALU_CYCLE_1)
	v_cmp_gt_u32_e32 vcc_lo, s2, v0
	s_and_saveexec_b32 s2, vcc_lo
; %bb.7:
	v_lshlrev_b32_e32 v6, 2, v6
	ds_load_b32 v7, v6
; %bb.8:
	s_or_b32 exec_lo, exec_lo, s2
	s_delay_alu instid0(SALU_CYCLE_1)
	s_mov_b32 s2, exec_lo
	v_cmpx_gt_u32_e32 32, v0
	s_cbranch_execz .LBB168_10
; %bb.9:
	s_wait_dscnt 0x0
	ds_bpermute_b32 v2, v2, v7
	s_wait_dscnt 0x0
	v_add_f32_e32 v2, v7, v2
	ds_bpermute_b32 v3, v3, v2
	s_wait_dscnt 0x0
	v_add_f32_e32 v2, v2, v3
	;; [unrolled: 3-line block ×5, first 2 shown]
.LBB168_10:
	s_or_b32 exec_lo, exec_lo, s2
	s_delay_alu instid0(SALU_CYCLE_1)
	s_mov_b32 s2, exec_lo
	v_cmpx_eq_u32_e32 0, v0
	s_cbranch_execz .LBB168_12
; %bb.11:
	s_load_b64 s[0:1], s[0:1], s8 offset:0x8 scale_offset
	s_wait_dscnt 0x0
	v_cvt_f16_f32_e32 v0, v7
	v_mov_b32_e32 v1, 0
	s_wait_kmcnt 0x0
	global_store_b16 v1, v0, s[0:1]
.LBB168_12:
	s_endpgm
	.section	.rodata,"a",@progbits
	.p2align	6, 0x0
	.amdhsa_kernel _ZN2at6native14lpnorm_cleanupIfLNS0_8NormTypeE2EN3c104HalfELb0EfEEvPKT3_NS0_19TensorListAddressesEi
		.amdhsa_group_segment_fixed_size 2048
		.amdhsa_private_segment_fixed_size 0
		.amdhsa_kernarg_size 3472
		.amdhsa_user_sgpr_count 2
		.amdhsa_user_sgpr_dispatch_ptr 0
		.amdhsa_user_sgpr_queue_ptr 0
		.amdhsa_user_sgpr_kernarg_segment_ptr 1
		.amdhsa_user_sgpr_dispatch_id 0
		.amdhsa_user_sgpr_kernarg_preload_length 0
		.amdhsa_user_sgpr_kernarg_preload_offset 0
		.amdhsa_user_sgpr_private_segment_size 0
		.amdhsa_wavefront_size32 1
		.amdhsa_uses_dynamic_stack 0
		.amdhsa_enable_private_segment 0
		.amdhsa_system_sgpr_workgroup_id_x 1
		.amdhsa_system_sgpr_workgroup_id_y 0
		.amdhsa_system_sgpr_workgroup_id_z 0
		.amdhsa_system_sgpr_workgroup_info 0
		.amdhsa_system_vgpr_workitem_id 0
		.amdhsa_next_free_vgpr 9
		.amdhsa_next_free_sgpr 12
		.amdhsa_named_barrier_count 0
		.amdhsa_reserve_vcc 1
		.amdhsa_float_round_mode_32 0
		.amdhsa_float_round_mode_16_64 0
		.amdhsa_float_denorm_mode_32 3
		.amdhsa_float_denorm_mode_16_64 3
		.amdhsa_fp16_overflow 0
		.amdhsa_memory_ordered 1
		.amdhsa_forward_progress 1
		.amdhsa_inst_pref_size 6
		.amdhsa_round_robin_scheduling 0
		.amdhsa_exception_fp_ieee_invalid_op 0
		.amdhsa_exception_fp_denorm_src 0
		.amdhsa_exception_fp_ieee_div_zero 0
		.amdhsa_exception_fp_ieee_overflow 0
		.amdhsa_exception_fp_ieee_underflow 0
		.amdhsa_exception_fp_ieee_inexact 0
		.amdhsa_exception_int_div_zero 0
	.end_amdhsa_kernel
	.section	.text._ZN2at6native14lpnorm_cleanupIfLNS0_8NormTypeE2EN3c104HalfELb0EfEEvPKT3_NS0_19TensorListAddressesEi,"axG",@progbits,_ZN2at6native14lpnorm_cleanupIfLNS0_8NormTypeE2EN3c104HalfELb0EfEEvPKT3_NS0_19TensorListAddressesEi,comdat
.Lfunc_end168:
	.size	_ZN2at6native14lpnorm_cleanupIfLNS0_8NormTypeE2EN3c104HalfELb0EfEEvPKT3_NS0_19TensorListAddressesEi, .Lfunc_end168-_ZN2at6native14lpnorm_cleanupIfLNS0_8NormTypeE2EN3c104HalfELb0EfEEvPKT3_NS0_19TensorListAddressesEi
                                        ; -- End function
	.set _ZN2at6native14lpnorm_cleanupIfLNS0_8NormTypeE2EN3c104HalfELb0EfEEvPKT3_NS0_19TensorListAddressesEi.num_vgpr, 9
	.set _ZN2at6native14lpnorm_cleanupIfLNS0_8NormTypeE2EN3c104HalfELb0EfEEvPKT3_NS0_19TensorListAddressesEi.num_agpr, 0
	.set _ZN2at6native14lpnorm_cleanupIfLNS0_8NormTypeE2EN3c104HalfELb0EfEEvPKT3_NS0_19TensorListAddressesEi.numbered_sgpr, 12
	.set _ZN2at6native14lpnorm_cleanupIfLNS0_8NormTypeE2EN3c104HalfELb0EfEEvPKT3_NS0_19TensorListAddressesEi.num_named_barrier, 0
	.set _ZN2at6native14lpnorm_cleanupIfLNS0_8NormTypeE2EN3c104HalfELb0EfEEvPKT3_NS0_19TensorListAddressesEi.private_seg_size, 0
	.set _ZN2at6native14lpnorm_cleanupIfLNS0_8NormTypeE2EN3c104HalfELb0EfEEvPKT3_NS0_19TensorListAddressesEi.uses_vcc, 1
	.set _ZN2at6native14lpnorm_cleanupIfLNS0_8NormTypeE2EN3c104HalfELb0EfEEvPKT3_NS0_19TensorListAddressesEi.uses_flat_scratch, 0
	.set _ZN2at6native14lpnorm_cleanupIfLNS0_8NormTypeE2EN3c104HalfELb0EfEEvPKT3_NS0_19TensorListAddressesEi.has_dyn_sized_stack, 0
	.set _ZN2at6native14lpnorm_cleanupIfLNS0_8NormTypeE2EN3c104HalfELb0EfEEvPKT3_NS0_19TensorListAddressesEi.has_recursion, 0
	.set _ZN2at6native14lpnorm_cleanupIfLNS0_8NormTypeE2EN3c104HalfELb0EfEEvPKT3_NS0_19TensorListAddressesEi.has_indirect_call, 0
	.section	.AMDGPU.csdata,"",@progbits
; Kernel info:
; codeLenInByte = 672
; TotalNumSgprs: 14
; NumVgprs: 9
; ScratchSize: 0
; MemoryBound: 0
; FloatMode: 240
; IeeeMode: 1
; LDSByteSize: 2048 bytes/workgroup (compile time only)
; SGPRBlocks: 0
; VGPRBlocks: 0
; NumSGPRsForWavesPerEU: 14
; NumVGPRsForWavesPerEU: 9
; NamedBarCnt: 0
; Occupancy: 16
; WaveLimiterHint : 0
; COMPUTE_PGM_RSRC2:SCRATCH_EN: 0
; COMPUTE_PGM_RSRC2:USER_SGPR: 2
; COMPUTE_PGM_RSRC2:TRAP_HANDLER: 0
; COMPUTE_PGM_RSRC2:TGID_X_EN: 1
; COMPUTE_PGM_RSRC2:TGID_Y_EN: 0
; COMPUTE_PGM_RSRC2:TGID_Z_EN: 0
; COMPUTE_PGM_RSRC2:TIDIG_COMP_CNT: 0
	.section	.text._ZN2at6native14lpnorm_cleanupIfLNS0_8NormTypeE0EN3c108BFloat16ELb0EfEEvPKT3_NS0_19TensorListAddressesEi,"axG",@progbits,_ZN2at6native14lpnorm_cleanupIfLNS0_8NormTypeE0EN3c108BFloat16ELb0EfEEvPKT3_NS0_19TensorListAddressesEi,comdat
	.protected	_ZN2at6native14lpnorm_cleanupIfLNS0_8NormTypeE0EN3c108BFloat16ELb0EfEEvPKT3_NS0_19TensorListAddressesEi ; -- Begin function _ZN2at6native14lpnorm_cleanupIfLNS0_8NormTypeE0EN3c108BFloat16ELb0EfEEvPKT3_NS0_19TensorListAddressesEi
	.globl	_ZN2at6native14lpnorm_cleanupIfLNS0_8NormTypeE0EN3c108BFloat16ELb0EfEEvPKT3_NS0_19TensorListAddressesEi
	.p2align	8
	.type	_ZN2at6native14lpnorm_cleanupIfLNS0_8NormTypeE0EN3c108BFloat16ELb0EfEEvPKT3_NS0_19TensorListAddressesEi,@function
_ZN2at6native14lpnorm_cleanupIfLNS0_8NormTypeE0EN3c108BFloat16ELb0EfEEvPKT3_NS0_19TensorListAddressesEi: ; @_ZN2at6native14lpnorm_cleanupIfLNS0_8NormTypeE0EN3c108BFloat16ELb0EfEEvPKT3_NS0_19TensorListAddressesEi
; %bb.0:
	s_load_b32 s2, s[0:1], 0xc88
	s_bfe_u32 s3, ttmp6, 0x4000c
	s_and_b32 s4, ttmp6, 15
	s_add_co_i32 s3, s3, 1
	s_getreg_b32 s5, hwreg(HW_REG_IB_STS2, 6, 4)
	s_mul_i32 s3, ttmp9, s3
	v_mov_b32_e32 v1, 0
	s_add_co_i32 s4, s4, s3
	s_cmp_eq_u32 s5, 0
	s_mov_b32 s5, 0
	s_cselect_b32 s8, ttmp9, s4
	s_mov_b32 s9, exec_lo
	s_wait_kmcnt 0x0
	v_cmpx_gt_u32_e64 s2, v0
	s_cbranch_execz .LBB169_4
; %bb.1:
	s_clause 0x1
	s_load_b64 s[6:7], s[0:1], 0x0
	s_load_b32 s4, s[0:1], 0xc9c
	v_dual_mov_b32 v1, 0 :: v_dual_lshlrev_b32 v2, 2, v0
	s_mul_i32 s10, s2, s8
	s_mov_b32 s11, s5
	s_ashr_i32 s3, s2, 31
	s_delay_alu instid0(VALU_DEP_1)
	v_mov_b32_e32 v3, v1
	s_lshl_b64 s[10:11], s[10:11], 2
	v_mov_b64_e32 v[4:5], v[0:1]
	s_wait_kmcnt 0x0
	s_add_nc_u64 s[6:7], s[6:7], s[10:11]
	s_and_b32 s4, s4, 0xffff
	v_add_nc_u64_e32 v[2:3], s[6:7], v[2:3]
	s_lshl_b32 s6, s4, 2
	s_mov_b32 s7, s5
	s_mov_b32 s10, s5
.LBB169_2:                              ; =>This Inner Loop Header: Depth=1
	global_load_b32 v6, v[2:3], off
	v_add_nc_u64_e32 v[4:5], s[4:5], v[4:5]
	s_wait_xcnt 0x0
	v_add_nc_u64_e32 v[2:3], s[6:7], v[2:3]
	s_delay_alu instid0(VALU_DEP_2)
	v_cmp_le_u64_e32 vcc_lo, s[2:3], v[4:5]
	s_or_b32 s10, vcc_lo, s10
	s_wait_loadcnt 0x0
	v_add_f32_e32 v1, v1, v6
	s_and_not1_b32 exec_lo, exec_lo, s10
	s_cbranch_execnz .LBB169_2
; %bb.3:
	s_or_b32 exec_lo, exec_lo, s10
.LBB169_4:
	s_delay_alu instid0(SALU_CYCLE_1) | instskip(SKIP_4) | instid1(VALU_DEP_1)
	s_or_b32 exec_lo, exec_lo, s9
	v_mbcnt_lo_u32_b32 v5, -1, 0
	s_mov_b32 s2, exec_lo
	s_barrier_signal -1
	s_barrier_wait -1
	v_lshl_or_b32 v2, v5, 2, 64
	v_cmp_gt_u32_e32 vcc_lo, 24, v5
	ds_bpermute_b32 v4, v2, v1
	v_cndmask_b32_e64 v3, 0, 8, vcc_lo
	v_cmp_gt_u32_e32 vcc_lo, 28, v5
	s_delay_alu instid0(VALU_DEP_2)
	v_add_lshl_u32 v3, v3, v5, 2
	s_wait_dscnt 0x0
	v_add_f32_e32 v4, v1, v4
	v_cndmask_b32_e64 v1, 0, 4, vcc_lo
	v_cmp_gt_u32_e32 vcc_lo, 30, v5
	ds_bpermute_b32 v6, v3, v4
	v_add_lshl_u32 v1, v1, v5, 2
	s_wait_dscnt 0x0
	v_add_f32_e32 v6, v4, v6
	v_cndmask_b32_e64 v4, 0, 2, vcc_lo
	v_cmp_ne_u32_e32 vcc_lo, 31, v5
	s_delay_alu instid0(VALU_DEP_2) | instskip(SKIP_1) | instid1(VALU_DEP_1)
	v_add_lshl_u32 v4, v4, v5, 2
	v_add_co_ci_u32_e64 v5, null, 0, v5, vcc_lo
	v_lshlrev_b32_e32 v5, 2, v5
	ds_bpermute_b32 v7, v1, v6
	s_wait_dscnt 0x0
	v_add_f32_e32 v6, v6, v7
	ds_bpermute_b32 v7, v4, v6
	s_wait_dscnt 0x0
	v_dual_add_f32 v6, v6, v7 :: v_dual_bitop2_b32 v7, 31, v0 bitop3:0x40
	ds_bpermute_b32 v8, v5, v6
	v_cmpx_eq_u32_e32 0, v7
	s_cbranch_execz .LBB169_6
; %bb.5:
	s_wait_dscnt 0x0
	v_add_f32_e32 v6, v6, v8
	v_lshrrev_b32_e32 v8, 3, v0
	ds_store_b32 v8, v6
.LBB169_6:
	s_or_b32 exec_lo, exec_lo, s2
	s_wait_dscnt 0x0
	s_barrier_signal -1
	s_barrier_wait -1
	s_load_b32 s2, s[0:1], 0xc9c
	v_mov_b32_e32 v6, 0
	s_wait_kmcnt 0x0
	s_bfe_u32 s2, s2, 0xb0005
	s_delay_alu instid0(SALU_CYCLE_1)
	v_cmp_gt_u32_e32 vcc_lo, s2, v0
	s_and_saveexec_b32 s2, vcc_lo
; %bb.7:
	v_lshlrev_b32_e32 v6, 2, v7
	ds_load_b32 v6, v6
; %bb.8:
	s_or_b32 exec_lo, exec_lo, s2
	s_delay_alu instid0(SALU_CYCLE_1)
	s_mov_b32 s2, exec_lo
	v_cmpx_gt_u32_e32 32, v0
	s_cbranch_execz .LBB169_10
; %bb.9:
	s_wait_dscnt 0x0
	ds_bpermute_b32 v2, v2, v6
	s_wait_dscnt 0x0
	v_add_f32_e32 v2, v6, v2
	ds_bpermute_b32 v3, v3, v2
	s_wait_dscnt 0x0
	v_add_f32_e32 v2, v2, v3
	;; [unrolled: 3-line block ×5, first 2 shown]
.LBB169_10:
	s_or_b32 exec_lo, exec_lo, s2
	s_delay_alu instid0(SALU_CYCLE_1)
	s_mov_b32 s2, exec_lo
	v_cmpx_eq_u32_e32 0, v0
	s_cbranch_execz .LBB169_12
; %bb.11:
	s_wait_dscnt 0x0
	v_bfe_u32 v0, v6, 16, 1
	s_load_b64 s[0:1], s[0:1], s8 offset:0x8 scale_offset
	v_cmp_o_f32_e32 vcc_lo, v6, v6
	v_mov_b32_e32 v1, 0
	s_delay_alu instid0(VALU_DEP_3) | instskip(NEXT) | instid1(VALU_DEP_1)
	v_add3_u32 v0, v6, v0, 0x7fff
	v_lshrrev_b32_e32 v0, 16, v0
	s_delay_alu instid0(VALU_DEP_1)
	v_cndmask_b32_e32 v0, 0x7fc0, v0, vcc_lo
	s_wait_kmcnt 0x0
	global_store_b16 v1, v0, s[0:1]
.LBB169_12:
	s_endpgm
	.section	.rodata,"a",@progbits
	.p2align	6, 0x0
	.amdhsa_kernel _ZN2at6native14lpnorm_cleanupIfLNS0_8NormTypeE0EN3c108BFloat16ELb0EfEEvPKT3_NS0_19TensorListAddressesEi
		.amdhsa_group_segment_fixed_size 2048
		.amdhsa_private_segment_fixed_size 0
		.amdhsa_kernarg_size 3472
		.amdhsa_user_sgpr_count 2
		.amdhsa_user_sgpr_dispatch_ptr 0
		.amdhsa_user_sgpr_queue_ptr 0
		.amdhsa_user_sgpr_kernarg_segment_ptr 1
		.amdhsa_user_sgpr_dispatch_id 0
		.amdhsa_user_sgpr_kernarg_preload_length 0
		.amdhsa_user_sgpr_kernarg_preload_offset 0
		.amdhsa_user_sgpr_private_segment_size 0
		.amdhsa_wavefront_size32 1
		.amdhsa_uses_dynamic_stack 0
		.amdhsa_enable_private_segment 0
		.amdhsa_system_sgpr_workgroup_id_x 1
		.amdhsa_system_sgpr_workgroup_id_y 0
		.amdhsa_system_sgpr_workgroup_id_z 0
		.amdhsa_system_sgpr_workgroup_info 0
		.amdhsa_system_vgpr_workitem_id 0
		.amdhsa_next_free_vgpr 9
		.amdhsa_next_free_sgpr 12
		.amdhsa_named_barrier_count 0
		.amdhsa_reserve_vcc 1
		.amdhsa_float_round_mode_32 0
		.amdhsa_float_round_mode_16_64 0
		.amdhsa_float_denorm_mode_32 3
		.amdhsa_float_denorm_mode_16_64 3
		.amdhsa_fp16_overflow 0
		.amdhsa_memory_ordered 1
		.amdhsa_forward_progress 1
		.amdhsa_inst_pref_size 6
		.amdhsa_round_robin_scheduling 0
		.amdhsa_exception_fp_ieee_invalid_op 0
		.amdhsa_exception_fp_denorm_src 0
		.amdhsa_exception_fp_ieee_div_zero 0
		.amdhsa_exception_fp_ieee_overflow 0
		.amdhsa_exception_fp_ieee_underflow 0
		.amdhsa_exception_fp_ieee_inexact 0
		.amdhsa_exception_int_div_zero 0
	.end_amdhsa_kernel
	.section	.text._ZN2at6native14lpnorm_cleanupIfLNS0_8NormTypeE0EN3c108BFloat16ELb0EfEEvPKT3_NS0_19TensorListAddressesEi,"axG",@progbits,_ZN2at6native14lpnorm_cleanupIfLNS0_8NormTypeE0EN3c108BFloat16ELb0EfEEvPKT3_NS0_19TensorListAddressesEi,comdat
.Lfunc_end169:
	.size	_ZN2at6native14lpnorm_cleanupIfLNS0_8NormTypeE0EN3c108BFloat16ELb0EfEEvPKT3_NS0_19TensorListAddressesEi, .Lfunc_end169-_ZN2at6native14lpnorm_cleanupIfLNS0_8NormTypeE0EN3c108BFloat16ELb0EfEEvPKT3_NS0_19TensorListAddressesEi
                                        ; -- End function
	.set _ZN2at6native14lpnorm_cleanupIfLNS0_8NormTypeE0EN3c108BFloat16ELb0EfEEvPKT3_NS0_19TensorListAddressesEi.num_vgpr, 9
	.set _ZN2at6native14lpnorm_cleanupIfLNS0_8NormTypeE0EN3c108BFloat16ELb0EfEEvPKT3_NS0_19TensorListAddressesEi.num_agpr, 0
	.set _ZN2at6native14lpnorm_cleanupIfLNS0_8NormTypeE0EN3c108BFloat16ELb0EfEEvPKT3_NS0_19TensorListAddressesEi.numbered_sgpr, 12
	.set _ZN2at6native14lpnorm_cleanupIfLNS0_8NormTypeE0EN3c108BFloat16ELb0EfEEvPKT3_NS0_19TensorListAddressesEi.num_named_barrier, 0
	.set _ZN2at6native14lpnorm_cleanupIfLNS0_8NormTypeE0EN3c108BFloat16ELb0EfEEvPKT3_NS0_19TensorListAddressesEi.private_seg_size, 0
	.set _ZN2at6native14lpnorm_cleanupIfLNS0_8NormTypeE0EN3c108BFloat16ELb0EfEEvPKT3_NS0_19TensorListAddressesEi.uses_vcc, 1
	.set _ZN2at6native14lpnorm_cleanupIfLNS0_8NormTypeE0EN3c108BFloat16ELb0EfEEvPKT3_NS0_19TensorListAddressesEi.uses_flat_scratch, 0
	.set _ZN2at6native14lpnorm_cleanupIfLNS0_8NormTypeE0EN3c108BFloat16ELb0EfEEvPKT3_NS0_19TensorListAddressesEi.has_dyn_sized_stack, 0
	.set _ZN2at6native14lpnorm_cleanupIfLNS0_8NormTypeE0EN3c108BFloat16ELb0EfEEvPKT3_NS0_19TensorListAddressesEi.has_recursion, 0
	.set _ZN2at6native14lpnorm_cleanupIfLNS0_8NormTypeE0EN3c108BFloat16ELb0EfEEvPKT3_NS0_19TensorListAddressesEi.has_indirect_call, 0
	.section	.AMDGPU.csdata,"",@progbits
; Kernel info:
; codeLenInByte = 712
; TotalNumSgprs: 14
; NumVgprs: 9
; ScratchSize: 0
; MemoryBound: 0
; FloatMode: 240
; IeeeMode: 1
; LDSByteSize: 2048 bytes/workgroup (compile time only)
; SGPRBlocks: 0
; VGPRBlocks: 0
; NumSGPRsForWavesPerEU: 14
; NumVGPRsForWavesPerEU: 9
; NamedBarCnt: 0
; Occupancy: 16
; WaveLimiterHint : 0
; COMPUTE_PGM_RSRC2:SCRATCH_EN: 0
; COMPUTE_PGM_RSRC2:USER_SGPR: 2
; COMPUTE_PGM_RSRC2:TRAP_HANDLER: 0
; COMPUTE_PGM_RSRC2:TGID_X_EN: 1
; COMPUTE_PGM_RSRC2:TGID_Y_EN: 0
; COMPUTE_PGM_RSRC2:TGID_Z_EN: 0
; COMPUTE_PGM_RSRC2:TIDIG_COMP_CNT: 0
	.section	.text._ZN2at6native14lpnorm_cleanupIfLNS0_8NormTypeE1EN3c108BFloat16ELb0EfEEvPKT3_NS0_19TensorListAddressesEi,"axG",@progbits,_ZN2at6native14lpnorm_cleanupIfLNS0_8NormTypeE1EN3c108BFloat16ELb0EfEEvPKT3_NS0_19TensorListAddressesEi,comdat
	.protected	_ZN2at6native14lpnorm_cleanupIfLNS0_8NormTypeE1EN3c108BFloat16ELb0EfEEvPKT3_NS0_19TensorListAddressesEi ; -- Begin function _ZN2at6native14lpnorm_cleanupIfLNS0_8NormTypeE1EN3c108BFloat16ELb0EfEEvPKT3_NS0_19TensorListAddressesEi
	.globl	_ZN2at6native14lpnorm_cleanupIfLNS0_8NormTypeE1EN3c108BFloat16ELb0EfEEvPKT3_NS0_19TensorListAddressesEi
	.p2align	8
	.type	_ZN2at6native14lpnorm_cleanupIfLNS0_8NormTypeE1EN3c108BFloat16ELb0EfEEvPKT3_NS0_19TensorListAddressesEi,@function
_ZN2at6native14lpnorm_cleanupIfLNS0_8NormTypeE1EN3c108BFloat16ELb0EfEEvPKT3_NS0_19TensorListAddressesEi: ; @_ZN2at6native14lpnorm_cleanupIfLNS0_8NormTypeE1EN3c108BFloat16ELb0EfEEvPKT3_NS0_19TensorListAddressesEi
; %bb.0:
	s_load_b32 s2, s[0:1], 0xc88
	s_bfe_u32 s3, ttmp6, 0x4000c
	s_and_b32 s4, ttmp6, 15
	s_add_co_i32 s3, s3, 1
	s_getreg_b32 s5, hwreg(HW_REG_IB_STS2, 6, 4)
	s_mul_i32 s3, ttmp9, s3
	v_mov_b32_e32 v1, 0
	s_add_co_i32 s4, s4, s3
	s_cmp_eq_u32 s5, 0
	s_mov_b32 s5, 0
	s_cselect_b32 s8, ttmp9, s4
	s_mov_b32 s9, exec_lo
	s_wait_kmcnt 0x0
	v_cmpx_gt_u32_e64 s2, v0
	s_cbranch_execz .LBB170_4
; %bb.1:
	s_clause 0x1
	s_load_b64 s[6:7], s[0:1], 0x0
	s_load_b32 s4, s[0:1], 0xc9c
	v_dual_mov_b32 v1, 0 :: v_dual_lshlrev_b32 v2, 2, v0
	s_mul_i32 s10, s2, s8
	s_mov_b32 s11, s5
	s_ashr_i32 s3, s2, 31
	s_delay_alu instid0(VALU_DEP_1)
	v_mov_b32_e32 v3, v1
	s_lshl_b64 s[10:11], s[10:11], 2
	v_mov_b64_e32 v[4:5], v[0:1]
	s_wait_kmcnt 0x0
	s_add_nc_u64 s[6:7], s[6:7], s[10:11]
	s_and_b32 s4, s4, 0xffff
	v_add_nc_u64_e32 v[2:3], s[6:7], v[2:3]
	s_lshl_b32 s6, s4, 2
	s_mov_b32 s7, s5
	s_mov_b32 s10, s5
.LBB170_2:                              ; =>This Inner Loop Header: Depth=1
	global_load_b32 v6, v[2:3], off
	v_add_nc_u64_e32 v[4:5], s[4:5], v[4:5]
	s_wait_xcnt 0x0
	v_add_nc_u64_e32 v[2:3], s[6:7], v[2:3]
	s_delay_alu instid0(VALU_DEP_2)
	v_cmp_le_u64_e32 vcc_lo, s[2:3], v[4:5]
	s_or_b32 s10, vcc_lo, s10
	s_wait_loadcnt 0x0
	v_add_f32_e32 v1, v1, v6
	s_and_not1_b32 exec_lo, exec_lo, s10
	s_cbranch_execnz .LBB170_2
; %bb.3:
	s_or_b32 exec_lo, exec_lo, s10
.LBB170_4:
	s_delay_alu instid0(SALU_CYCLE_1) | instskip(SKIP_4) | instid1(VALU_DEP_1)
	s_or_b32 exec_lo, exec_lo, s9
	v_mbcnt_lo_u32_b32 v5, -1, 0
	s_mov_b32 s2, exec_lo
	s_barrier_signal -1
	s_barrier_wait -1
	v_lshl_or_b32 v2, v5, 2, 64
	v_cmp_gt_u32_e32 vcc_lo, 24, v5
	ds_bpermute_b32 v4, v2, v1
	v_cndmask_b32_e64 v3, 0, 8, vcc_lo
	v_cmp_gt_u32_e32 vcc_lo, 28, v5
	s_delay_alu instid0(VALU_DEP_2)
	v_add_lshl_u32 v3, v3, v5, 2
	s_wait_dscnt 0x0
	v_add_f32_e32 v4, v1, v4
	v_cndmask_b32_e64 v1, 0, 4, vcc_lo
	v_cmp_gt_u32_e32 vcc_lo, 30, v5
	ds_bpermute_b32 v6, v3, v4
	v_add_lshl_u32 v1, v1, v5, 2
	s_wait_dscnt 0x0
	v_add_f32_e32 v6, v4, v6
	v_cndmask_b32_e64 v4, 0, 2, vcc_lo
	v_cmp_ne_u32_e32 vcc_lo, 31, v5
	s_delay_alu instid0(VALU_DEP_2) | instskip(SKIP_1) | instid1(VALU_DEP_1)
	v_add_lshl_u32 v4, v4, v5, 2
	v_add_co_ci_u32_e64 v5, null, 0, v5, vcc_lo
	v_lshlrev_b32_e32 v5, 2, v5
	ds_bpermute_b32 v7, v1, v6
	s_wait_dscnt 0x0
	v_add_f32_e32 v6, v6, v7
	ds_bpermute_b32 v7, v4, v6
	s_wait_dscnt 0x0
	v_dual_add_f32 v6, v6, v7 :: v_dual_bitop2_b32 v7, 31, v0 bitop3:0x40
	ds_bpermute_b32 v8, v5, v6
	v_cmpx_eq_u32_e32 0, v7
	s_cbranch_execz .LBB170_6
; %bb.5:
	s_wait_dscnt 0x0
	v_add_f32_e32 v6, v6, v8
	v_lshrrev_b32_e32 v8, 3, v0
	ds_store_b32 v8, v6
.LBB170_6:
	s_or_b32 exec_lo, exec_lo, s2
	s_wait_dscnt 0x0
	s_barrier_signal -1
	s_barrier_wait -1
	s_load_b32 s2, s[0:1], 0xc9c
	v_mov_b32_e32 v6, 0
	s_wait_kmcnt 0x0
	s_bfe_u32 s2, s2, 0xb0005
	s_delay_alu instid0(SALU_CYCLE_1)
	v_cmp_gt_u32_e32 vcc_lo, s2, v0
	s_and_saveexec_b32 s2, vcc_lo
; %bb.7:
	v_lshlrev_b32_e32 v6, 2, v7
	ds_load_b32 v6, v6
; %bb.8:
	s_or_b32 exec_lo, exec_lo, s2
	s_delay_alu instid0(SALU_CYCLE_1)
	s_mov_b32 s2, exec_lo
	v_cmpx_gt_u32_e32 32, v0
	s_cbranch_execz .LBB170_10
; %bb.9:
	s_wait_dscnt 0x0
	ds_bpermute_b32 v2, v2, v6
	s_wait_dscnt 0x0
	v_add_f32_e32 v2, v6, v2
	ds_bpermute_b32 v3, v3, v2
	s_wait_dscnt 0x0
	v_add_f32_e32 v2, v2, v3
	;; [unrolled: 3-line block ×5, first 2 shown]
.LBB170_10:
	s_or_b32 exec_lo, exec_lo, s2
	s_delay_alu instid0(SALU_CYCLE_1)
	s_mov_b32 s2, exec_lo
	v_cmpx_eq_u32_e32 0, v0
	s_cbranch_execz .LBB170_12
; %bb.11:
	s_wait_dscnt 0x0
	v_bfe_u32 v0, v6, 16, 1
	s_load_b64 s[0:1], s[0:1], s8 offset:0x8 scale_offset
	v_cmp_o_f32_e32 vcc_lo, v6, v6
	v_mov_b32_e32 v1, 0
	s_delay_alu instid0(VALU_DEP_3) | instskip(NEXT) | instid1(VALU_DEP_1)
	v_add3_u32 v0, v6, v0, 0x7fff
	v_lshrrev_b32_e32 v0, 16, v0
	s_delay_alu instid0(VALU_DEP_1)
	v_cndmask_b32_e32 v0, 0x7fc0, v0, vcc_lo
	s_wait_kmcnt 0x0
	global_store_b16 v1, v0, s[0:1]
.LBB170_12:
	s_endpgm
	.section	.rodata,"a",@progbits
	.p2align	6, 0x0
	.amdhsa_kernel _ZN2at6native14lpnorm_cleanupIfLNS0_8NormTypeE1EN3c108BFloat16ELb0EfEEvPKT3_NS0_19TensorListAddressesEi
		.amdhsa_group_segment_fixed_size 2048
		.amdhsa_private_segment_fixed_size 0
		.amdhsa_kernarg_size 3472
		.amdhsa_user_sgpr_count 2
		.amdhsa_user_sgpr_dispatch_ptr 0
		.amdhsa_user_sgpr_queue_ptr 0
		.amdhsa_user_sgpr_kernarg_segment_ptr 1
		.amdhsa_user_sgpr_dispatch_id 0
		.amdhsa_user_sgpr_kernarg_preload_length 0
		.amdhsa_user_sgpr_kernarg_preload_offset 0
		.amdhsa_user_sgpr_private_segment_size 0
		.amdhsa_wavefront_size32 1
		.amdhsa_uses_dynamic_stack 0
		.amdhsa_enable_private_segment 0
		.amdhsa_system_sgpr_workgroup_id_x 1
		.amdhsa_system_sgpr_workgroup_id_y 0
		.amdhsa_system_sgpr_workgroup_id_z 0
		.amdhsa_system_sgpr_workgroup_info 0
		.amdhsa_system_vgpr_workitem_id 0
		.amdhsa_next_free_vgpr 9
		.amdhsa_next_free_sgpr 12
		.amdhsa_named_barrier_count 0
		.amdhsa_reserve_vcc 1
		.amdhsa_float_round_mode_32 0
		.amdhsa_float_round_mode_16_64 0
		.amdhsa_float_denorm_mode_32 3
		.amdhsa_float_denorm_mode_16_64 3
		.amdhsa_fp16_overflow 0
		.amdhsa_memory_ordered 1
		.amdhsa_forward_progress 1
		.amdhsa_inst_pref_size 6
		.amdhsa_round_robin_scheduling 0
		.amdhsa_exception_fp_ieee_invalid_op 0
		.amdhsa_exception_fp_denorm_src 0
		.amdhsa_exception_fp_ieee_div_zero 0
		.amdhsa_exception_fp_ieee_overflow 0
		.amdhsa_exception_fp_ieee_underflow 0
		.amdhsa_exception_fp_ieee_inexact 0
		.amdhsa_exception_int_div_zero 0
	.end_amdhsa_kernel
	.section	.text._ZN2at6native14lpnorm_cleanupIfLNS0_8NormTypeE1EN3c108BFloat16ELb0EfEEvPKT3_NS0_19TensorListAddressesEi,"axG",@progbits,_ZN2at6native14lpnorm_cleanupIfLNS0_8NormTypeE1EN3c108BFloat16ELb0EfEEvPKT3_NS0_19TensorListAddressesEi,comdat
.Lfunc_end170:
	.size	_ZN2at6native14lpnorm_cleanupIfLNS0_8NormTypeE1EN3c108BFloat16ELb0EfEEvPKT3_NS0_19TensorListAddressesEi, .Lfunc_end170-_ZN2at6native14lpnorm_cleanupIfLNS0_8NormTypeE1EN3c108BFloat16ELb0EfEEvPKT3_NS0_19TensorListAddressesEi
                                        ; -- End function
	.set _ZN2at6native14lpnorm_cleanupIfLNS0_8NormTypeE1EN3c108BFloat16ELb0EfEEvPKT3_NS0_19TensorListAddressesEi.num_vgpr, 9
	.set _ZN2at6native14lpnorm_cleanupIfLNS0_8NormTypeE1EN3c108BFloat16ELb0EfEEvPKT3_NS0_19TensorListAddressesEi.num_agpr, 0
	.set _ZN2at6native14lpnorm_cleanupIfLNS0_8NormTypeE1EN3c108BFloat16ELb0EfEEvPKT3_NS0_19TensorListAddressesEi.numbered_sgpr, 12
	.set _ZN2at6native14lpnorm_cleanupIfLNS0_8NormTypeE1EN3c108BFloat16ELb0EfEEvPKT3_NS0_19TensorListAddressesEi.num_named_barrier, 0
	.set _ZN2at6native14lpnorm_cleanupIfLNS0_8NormTypeE1EN3c108BFloat16ELb0EfEEvPKT3_NS0_19TensorListAddressesEi.private_seg_size, 0
	.set _ZN2at6native14lpnorm_cleanupIfLNS0_8NormTypeE1EN3c108BFloat16ELb0EfEEvPKT3_NS0_19TensorListAddressesEi.uses_vcc, 1
	.set _ZN2at6native14lpnorm_cleanupIfLNS0_8NormTypeE1EN3c108BFloat16ELb0EfEEvPKT3_NS0_19TensorListAddressesEi.uses_flat_scratch, 0
	.set _ZN2at6native14lpnorm_cleanupIfLNS0_8NormTypeE1EN3c108BFloat16ELb0EfEEvPKT3_NS0_19TensorListAddressesEi.has_dyn_sized_stack, 0
	.set _ZN2at6native14lpnorm_cleanupIfLNS0_8NormTypeE1EN3c108BFloat16ELb0EfEEvPKT3_NS0_19TensorListAddressesEi.has_recursion, 0
	.set _ZN2at6native14lpnorm_cleanupIfLNS0_8NormTypeE1EN3c108BFloat16ELb0EfEEvPKT3_NS0_19TensorListAddressesEi.has_indirect_call, 0
	.section	.AMDGPU.csdata,"",@progbits
; Kernel info:
; codeLenInByte = 712
; TotalNumSgprs: 14
; NumVgprs: 9
; ScratchSize: 0
; MemoryBound: 0
; FloatMode: 240
; IeeeMode: 1
; LDSByteSize: 2048 bytes/workgroup (compile time only)
; SGPRBlocks: 0
; VGPRBlocks: 0
; NumSGPRsForWavesPerEU: 14
; NumVGPRsForWavesPerEU: 9
; NamedBarCnt: 0
; Occupancy: 16
; WaveLimiterHint : 0
; COMPUTE_PGM_RSRC2:SCRATCH_EN: 0
; COMPUTE_PGM_RSRC2:USER_SGPR: 2
; COMPUTE_PGM_RSRC2:TRAP_HANDLER: 0
; COMPUTE_PGM_RSRC2:TGID_X_EN: 1
; COMPUTE_PGM_RSRC2:TGID_Y_EN: 0
; COMPUTE_PGM_RSRC2:TGID_Z_EN: 0
; COMPUTE_PGM_RSRC2:TIDIG_COMP_CNT: 0
	.section	.text._ZN2at6native14lpnorm_cleanupIfLNS0_8NormTypeE2EN3c108BFloat16ELb0EfEEvPKT3_NS0_19TensorListAddressesEi,"axG",@progbits,_ZN2at6native14lpnorm_cleanupIfLNS0_8NormTypeE2EN3c108BFloat16ELb0EfEEvPKT3_NS0_19TensorListAddressesEi,comdat
	.protected	_ZN2at6native14lpnorm_cleanupIfLNS0_8NormTypeE2EN3c108BFloat16ELb0EfEEvPKT3_NS0_19TensorListAddressesEi ; -- Begin function _ZN2at6native14lpnorm_cleanupIfLNS0_8NormTypeE2EN3c108BFloat16ELb0EfEEvPKT3_NS0_19TensorListAddressesEi
	.globl	_ZN2at6native14lpnorm_cleanupIfLNS0_8NormTypeE2EN3c108BFloat16ELb0EfEEvPKT3_NS0_19TensorListAddressesEi
	.p2align	8
	.type	_ZN2at6native14lpnorm_cleanupIfLNS0_8NormTypeE2EN3c108BFloat16ELb0EfEEvPKT3_NS0_19TensorListAddressesEi,@function
_ZN2at6native14lpnorm_cleanupIfLNS0_8NormTypeE2EN3c108BFloat16ELb0EfEEvPKT3_NS0_19TensorListAddressesEi: ; @_ZN2at6native14lpnorm_cleanupIfLNS0_8NormTypeE2EN3c108BFloat16ELb0EfEEvPKT3_NS0_19TensorListAddressesEi
; %bb.0:
	s_load_b32 s2, s[0:1], 0xc88
	s_bfe_u32 s3, ttmp6, 0x4000c
	s_and_b32 s4, ttmp6, 15
	s_add_co_i32 s3, s3, 1
	s_getreg_b32 s5, hwreg(HW_REG_IB_STS2, 6, 4)
	s_mul_i32 s3, ttmp9, s3
	v_mov_b32_e32 v1, 0
	s_add_co_i32 s4, s4, s3
	s_cmp_eq_u32 s5, 0
	s_mov_b32 s5, 0
	s_cselect_b32 s8, ttmp9, s4
	s_mov_b32 s9, exec_lo
	s_wait_kmcnt 0x0
	v_cmpx_gt_u32_e64 s2, v0
	s_cbranch_execz .LBB171_4
; %bb.1:
	s_clause 0x1
	s_load_b64 s[6:7], s[0:1], 0x0
	s_load_b32 s4, s[0:1], 0xc9c
	v_dual_mov_b32 v1, 0 :: v_dual_lshlrev_b32 v2, 2, v0
	s_mul_i32 s10, s2, s8
	s_mov_b32 s11, s5
	s_ashr_i32 s3, s2, 31
	s_delay_alu instid0(VALU_DEP_1)
	v_mov_b32_e32 v3, v1
	s_lshl_b64 s[10:11], s[10:11], 2
	v_mov_b64_e32 v[4:5], v[0:1]
	s_wait_kmcnt 0x0
	s_add_nc_u64 s[6:7], s[6:7], s[10:11]
	s_and_b32 s4, s4, 0xffff
	v_add_nc_u64_e32 v[2:3], s[6:7], v[2:3]
	s_lshl_b32 s6, s4, 2
	s_mov_b32 s7, s5
	s_mov_b32 s10, s5
.LBB171_2:                              ; =>This Inner Loop Header: Depth=1
	global_load_b32 v6, v[2:3], off
	v_add_nc_u64_e32 v[4:5], s[4:5], v[4:5]
	s_wait_xcnt 0x0
	v_add_nc_u64_e32 v[2:3], s[6:7], v[2:3]
	s_delay_alu instid0(VALU_DEP_2)
	v_cmp_le_u64_e32 vcc_lo, s[2:3], v[4:5]
	s_or_b32 s10, vcc_lo, s10
	s_wait_loadcnt 0x0
	v_add_f32_e32 v1, v1, v6
	s_and_not1_b32 exec_lo, exec_lo, s10
	s_cbranch_execnz .LBB171_2
; %bb.3:
	s_or_b32 exec_lo, exec_lo, s10
.LBB171_4:
	s_delay_alu instid0(SALU_CYCLE_1) | instskip(SKIP_4) | instid1(VALU_DEP_1)
	s_or_b32 exec_lo, exec_lo, s9
	v_mbcnt_lo_u32_b32 v5, -1, 0
	s_mov_b32 s2, exec_lo
	s_barrier_signal -1
	s_barrier_wait -1
	v_lshl_or_b32 v2, v5, 2, 64
	v_cmp_gt_u32_e32 vcc_lo, 24, v5
	ds_bpermute_b32 v4, v2, v1
	v_cndmask_b32_e64 v3, 0, 8, vcc_lo
	v_cmp_gt_u32_e32 vcc_lo, 28, v5
	s_delay_alu instid0(VALU_DEP_2)
	v_add_lshl_u32 v3, v3, v5, 2
	s_wait_dscnt 0x0
	v_add_f32_e32 v4, v1, v4
	v_cndmask_b32_e64 v1, 0, 4, vcc_lo
	v_cmp_gt_u32_e32 vcc_lo, 30, v5
	ds_bpermute_b32 v6, v3, v4
	v_add_lshl_u32 v1, v1, v5, 2
	s_wait_dscnt 0x0
	v_add_f32_e32 v6, v4, v6
	v_cndmask_b32_e64 v4, 0, 2, vcc_lo
	v_cmp_ne_u32_e32 vcc_lo, 31, v5
	s_delay_alu instid0(VALU_DEP_2) | instskip(SKIP_1) | instid1(VALU_DEP_1)
	v_add_lshl_u32 v4, v4, v5, 2
	v_add_co_ci_u32_e64 v5, null, 0, v5, vcc_lo
	v_lshlrev_b32_e32 v5, 2, v5
	ds_bpermute_b32 v7, v1, v6
	s_wait_dscnt 0x0
	v_add_f32_e32 v6, v6, v7
	ds_bpermute_b32 v7, v4, v6
	s_wait_dscnt 0x0
	v_dual_add_f32 v6, v6, v7 :: v_dual_bitop2_b32 v7, 31, v0 bitop3:0x40
	ds_bpermute_b32 v8, v5, v6
	v_cmpx_eq_u32_e32 0, v7
	s_cbranch_execz .LBB171_6
; %bb.5:
	s_wait_dscnt 0x0
	v_add_f32_e32 v6, v6, v8
	v_lshrrev_b32_e32 v8, 3, v0
	ds_store_b32 v8, v6
.LBB171_6:
	s_or_b32 exec_lo, exec_lo, s2
	s_wait_dscnt 0x0
	s_barrier_signal -1
	s_barrier_wait -1
	s_load_b32 s2, s[0:1], 0xc9c
	v_mov_b32_e32 v6, 0
	s_wait_kmcnt 0x0
	s_bfe_u32 s2, s2, 0xb0005
	s_delay_alu instid0(SALU_CYCLE_1)
	v_cmp_gt_u32_e32 vcc_lo, s2, v0
	s_and_saveexec_b32 s2, vcc_lo
; %bb.7:
	v_lshlrev_b32_e32 v6, 2, v7
	ds_load_b32 v6, v6
; %bb.8:
	s_or_b32 exec_lo, exec_lo, s2
	s_delay_alu instid0(SALU_CYCLE_1)
	s_mov_b32 s2, exec_lo
	v_cmpx_gt_u32_e32 32, v0
	s_cbranch_execz .LBB171_10
; %bb.9:
	s_wait_dscnt 0x0
	ds_bpermute_b32 v2, v2, v6
	s_wait_dscnt 0x0
	v_add_f32_e32 v2, v6, v2
	ds_bpermute_b32 v3, v3, v2
	s_wait_dscnt 0x0
	v_add_f32_e32 v2, v2, v3
	;; [unrolled: 3-line block ×5, first 2 shown]
.LBB171_10:
	s_or_b32 exec_lo, exec_lo, s2
	s_delay_alu instid0(SALU_CYCLE_1)
	s_mov_b32 s2, exec_lo
	v_cmpx_eq_u32_e32 0, v0
	s_cbranch_execz .LBB171_12
; %bb.11:
	s_wait_dscnt 0x0
	v_bfe_u32 v0, v6, 16, 1
	s_load_b64 s[0:1], s[0:1], s8 offset:0x8 scale_offset
	v_cmp_o_f32_e32 vcc_lo, v6, v6
	v_mov_b32_e32 v1, 0
	s_delay_alu instid0(VALU_DEP_3) | instskip(NEXT) | instid1(VALU_DEP_1)
	v_add3_u32 v0, v6, v0, 0x7fff
	v_lshrrev_b32_e32 v0, 16, v0
	s_delay_alu instid0(VALU_DEP_1)
	v_cndmask_b32_e32 v0, 0x7fc0, v0, vcc_lo
	s_wait_kmcnt 0x0
	global_store_b16 v1, v0, s[0:1]
.LBB171_12:
	s_endpgm
	.section	.rodata,"a",@progbits
	.p2align	6, 0x0
	.amdhsa_kernel _ZN2at6native14lpnorm_cleanupIfLNS0_8NormTypeE2EN3c108BFloat16ELb0EfEEvPKT3_NS0_19TensorListAddressesEi
		.amdhsa_group_segment_fixed_size 2048
		.amdhsa_private_segment_fixed_size 0
		.amdhsa_kernarg_size 3472
		.amdhsa_user_sgpr_count 2
		.amdhsa_user_sgpr_dispatch_ptr 0
		.amdhsa_user_sgpr_queue_ptr 0
		.amdhsa_user_sgpr_kernarg_segment_ptr 1
		.amdhsa_user_sgpr_dispatch_id 0
		.amdhsa_user_sgpr_kernarg_preload_length 0
		.amdhsa_user_sgpr_kernarg_preload_offset 0
		.amdhsa_user_sgpr_private_segment_size 0
		.amdhsa_wavefront_size32 1
		.amdhsa_uses_dynamic_stack 0
		.amdhsa_enable_private_segment 0
		.amdhsa_system_sgpr_workgroup_id_x 1
		.amdhsa_system_sgpr_workgroup_id_y 0
		.amdhsa_system_sgpr_workgroup_id_z 0
		.amdhsa_system_sgpr_workgroup_info 0
		.amdhsa_system_vgpr_workitem_id 0
		.amdhsa_next_free_vgpr 9
		.amdhsa_next_free_sgpr 12
		.amdhsa_named_barrier_count 0
		.amdhsa_reserve_vcc 1
		.amdhsa_float_round_mode_32 0
		.amdhsa_float_round_mode_16_64 0
		.amdhsa_float_denorm_mode_32 3
		.amdhsa_float_denorm_mode_16_64 3
		.amdhsa_fp16_overflow 0
		.amdhsa_memory_ordered 1
		.amdhsa_forward_progress 1
		.amdhsa_inst_pref_size 6
		.amdhsa_round_robin_scheduling 0
		.amdhsa_exception_fp_ieee_invalid_op 0
		.amdhsa_exception_fp_denorm_src 0
		.amdhsa_exception_fp_ieee_div_zero 0
		.amdhsa_exception_fp_ieee_overflow 0
		.amdhsa_exception_fp_ieee_underflow 0
		.amdhsa_exception_fp_ieee_inexact 0
		.amdhsa_exception_int_div_zero 0
	.end_amdhsa_kernel
	.section	.text._ZN2at6native14lpnorm_cleanupIfLNS0_8NormTypeE2EN3c108BFloat16ELb0EfEEvPKT3_NS0_19TensorListAddressesEi,"axG",@progbits,_ZN2at6native14lpnorm_cleanupIfLNS0_8NormTypeE2EN3c108BFloat16ELb0EfEEvPKT3_NS0_19TensorListAddressesEi,comdat
.Lfunc_end171:
	.size	_ZN2at6native14lpnorm_cleanupIfLNS0_8NormTypeE2EN3c108BFloat16ELb0EfEEvPKT3_NS0_19TensorListAddressesEi, .Lfunc_end171-_ZN2at6native14lpnorm_cleanupIfLNS0_8NormTypeE2EN3c108BFloat16ELb0EfEEvPKT3_NS0_19TensorListAddressesEi
                                        ; -- End function
	.set _ZN2at6native14lpnorm_cleanupIfLNS0_8NormTypeE2EN3c108BFloat16ELb0EfEEvPKT3_NS0_19TensorListAddressesEi.num_vgpr, 9
	.set _ZN2at6native14lpnorm_cleanupIfLNS0_8NormTypeE2EN3c108BFloat16ELb0EfEEvPKT3_NS0_19TensorListAddressesEi.num_agpr, 0
	.set _ZN2at6native14lpnorm_cleanupIfLNS0_8NormTypeE2EN3c108BFloat16ELb0EfEEvPKT3_NS0_19TensorListAddressesEi.numbered_sgpr, 12
	.set _ZN2at6native14lpnorm_cleanupIfLNS0_8NormTypeE2EN3c108BFloat16ELb0EfEEvPKT3_NS0_19TensorListAddressesEi.num_named_barrier, 0
	.set _ZN2at6native14lpnorm_cleanupIfLNS0_8NormTypeE2EN3c108BFloat16ELb0EfEEvPKT3_NS0_19TensorListAddressesEi.private_seg_size, 0
	.set _ZN2at6native14lpnorm_cleanupIfLNS0_8NormTypeE2EN3c108BFloat16ELb0EfEEvPKT3_NS0_19TensorListAddressesEi.uses_vcc, 1
	.set _ZN2at6native14lpnorm_cleanupIfLNS0_8NormTypeE2EN3c108BFloat16ELb0EfEEvPKT3_NS0_19TensorListAddressesEi.uses_flat_scratch, 0
	.set _ZN2at6native14lpnorm_cleanupIfLNS0_8NormTypeE2EN3c108BFloat16ELb0EfEEvPKT3_NS0_19TensorListAddressesEi.has_dyn_sized_stack, 0
	.set _ZN2at6native14lpnorm_cleanupIfLNS0_8NormTypeE2EN3c108BFloat16ELb0EfEEvPKT3_NS0_19TensorListAddressesEi.has_recursion, 0
	.set _ZN2at6native14lpnorm_cleanupIfLNS0_8NormTypeE2EN3c108BFloat16ELb0EfEEvPKT3_NS0_19TensorListAddressesEi.has_indirect_call, 0
	.section	.AMDGPU.csdata,"",@progbits
; Kernel info:
; codeLenInByte = 712
; TotalNumSgprs: 14
; NumVgprs: 9
; ScratchSize: 0
; MemoryBound: 0
; FloatMode: 240
; IeeeMode: 1
; LDSByteSize: 2048 bytes/workgroup (compile time only)
; SGPRBlocks: 0
; VGPRBlocks: 0
; NumSGPRsForWavesPerEU: 14
; NumVGPRsForWavesPerEU: 9
; NamedBarCnt: 0
; Occupancy: 16
; WaveLimiterHint : 0
; COMPUTE_PGM_RSRC2:SCRATCH_EN: 0
; COMPUTE_PGM_RSRC2:USER_SGPR: 2
; COMPUTE_PGM_RSRC2:TRAP_HANDLER: 0
; COMPUTE_PGM_RSRC2:TGID_X_EN: 1
; COMPUTE_PGM_RSRC2:TGID_Y_EN: 0
; COMPUTE_PGM_RSRC2:TGID_Z_EN: 0
; COMPUTE_PGM_RSRC2:TIDIG_COMP_CNT: 0
	.section	.text._ZN2at6native14lpnorm_cleanupIN3c104HalfELNS0_8NormTypeE0EdLb0EdEEvPKT3_NS0_19TensorListAddressesEi,"axG",@progbits,_ZN2at6native14lpnorm_cleanupIN3c104HalfELNS0_8NormTypeE0EdLb0EdEEvPKT3_NS0_19TensorListAddressesEi,comdat
	.protected	_ZN2at6native14lpnorm_cleanupIN3c104HalfELNS0_8NormTypeE0EdLb0EdEEvPKT3_NS0_19TensorListAddressesEi ; -- Begin function _ZN2at6native14lpnorm_cleanupIN3c104HalfELNS0_8NormTypeE0EdLb0EdEEvPKT3_NS0_19TensorListAddressesEi
	.globl	_ZN2at6native14lpnorm_cleanupIN3c104HalfELNS0_8NormTypeE0EdLb0EdEEvPKT3_NS0_19TensorListAddressesEi
	.p2align	8
	.type	_ZN2at6native14lpnorm_cleanupIN3c104HalfELNS0_8NormTypeE0EdLb0EdEEvPKT3_NS0_19TensorListAddressesEi,@function
_ZN2at6native14lpnorm_cleanupIN3c104HalfELNS0_8NormTypeE0EdLb0EdEEvPKT3_NS0_19TensorListAddressesEi: ; @_ZN2at6native14lpnorm_cleanupIN3c104HalfELNS0_8NormTypeE0EdLb0EdEEvPKT3_NS0_19TensorListAddressesEi
; %bb.0:
	s_load_b32 s2, s[0:1], 0xc88
	s_bfe_u32 s3, ttmp6, 0x4000c
	s_and_b32 s4, ttmp6, 15
	s_add_co_i32 s3, s3, 1
	v_mov_b64_e32 v[2:3], 0
	s_mul_i32 s3, ttmp9, s3
	s_mov_b32 s5, 0
	s_add_co_i32 s4, s4, s3
	s_getreg_b32 s3, hwreg(HW_REG_IB_STS2, 6, 4)
	s_mov_b32 s9, exec_lo
	s_cmp_eq_u32 s3, 0
	s_cselect_b32 s8, ttmp9, s4
	s_wait_kmcnt 0x0
	v_cmpx_gt_u32_e64 s2, v0
	s_cbranch_execz .LBB172_4
; %bb.1:
	s_clause 0x1
	s_load_b64 s[6:7], s[0:1], 0x0
	s_load_b32 s4, s[0:1], 0xc9c
	v_dual_mov_b32 v1, 0 :: v_dual_lshlrev_b32 v2, 3, v0
	s_mul_i32 s10, s2, s8
	s_mov_b32 s11, s5
	s_ashr_i32 s3, s2, 31
	s_delay_alu instid0(VALU_DEP_1)
	v_mov_b32_e32 v3, v1
	s_lshl_b64 s[10:11], s[10:11], 3
	v_mov_b64_e32 v[6:7], v[0:1]
	s_wait_kmcnt 0x0
	s_add_nc_u64 s[6:7], s[6:7], s[10:11]
	s_and_b32 s4, s4, 0xffff
	v_add_nc_u64_e32 v[4:5], s[6:7], v[2:3]
	v_mov_b64_e32 v[2:3], 0
	s_lshl_b32 s6, s4, 3
	s_mov_b32 s7, s5
	s_mov_b32 s10, s5
.LBB172_2:                              ; =>This Inner Loop Header: Depth=1
	global_load_b64 v[8:9], v[4:5], off
	v_add_nc_u64_e32 v[6:7], s[4:5], v[6:7]
	s_wait_xcnt 0x0
	v_add_nc_u64_e32 v[4:5], s[6:7], v[4:5]
	s_delay_alu instid0(VALU_DEP_2)
	v_cmp_le_u64_e32 vcc_lo, s[2:3], v[6:7]
	s_or_b32 s10, vcc_lo, s10
	s_wait_loadcnt 0x0
	v_add_f64_e32 v[2:3], v[2:3], v[8:9]
	s_and_not1_b32 exec_lo, exec_lo, s10
	s_cbranch_execnz .LBB172_2
; %bb.3:
	s_or_b32 exec_lo, exec_lo, s10
.LBB172_4:
	s_delay_alu instid0(SALU_CYCLE_1) | instskip(SKIP_4) | instid1(VALU_DEP_2)
	s_or_b32 exec_lo, exec_lo, s9
	v_mbcnt_lo_u32_b32 v9, -1, 0
	v_and_b32_e32 v10, 31, v0
	s_mov_b32 s2, exec_lo
	s_barrier_signal -1
	v_lshl_or_b32 v1, v9, 2, 64
	v_cmp_gt_u32_e32 vcc_lo, 24, v9
	s_barrier_wait -1
	ds_bpermute_b32 v4, v1, v2
	ds_bpermute_b32 v5, v1, v3
	s_wait_dscnt 0x0
	v_add_f64_e32 v[2:3], v[2:3], v[4:5]
	v_cndmask_b32_e64 v4, 0, 8, vcc_lo
	v_cmp_gt_u32_e32 vcc_lo, 28, v9
	s_delay_alu instid0(VALU_DEP_2)
	v_add_lshl_u32 v6, v4, v9, 2
	ds_bpermute_b32 v4, v6, v2
	ds_bpermute_b32 v5, v6, v3
	s_wait_dscnt 0x0
	v_add_f64_e32 v[2:3], v[2:3], v[4:5]
	v_cndmask_b32_e64 v4, 0, 4, vcc_lo
	v_cmp_gt_u32_e32 vcc_lo, 30, v9
	s_delay_alu instid0(VALU_DEP_2)
	v_add_lshl_u32 v7, v4, v9, 2
	ds_bpermute_b32 v4, v7, v2
	ds_bpermute_b32 v5, v7, v3
	s_wait_dscnt 0x0
	v_add_f64_e32 v[2:3], v[2:3], v[4:5]
	v_cndmask_b32_e64 v4, 0, 2, vcc_lo
	v_cmp_ne_u32_e32 vcc_lo, 31, v9
	s_delay_alu instid0(VALU_DEP_2)
	v_add_lshl_u32 v8, v4, v9, 2
	ds_bpermute_b32 v4, v8, v2
	ds_bpermute_b32 v5, v8, v3
	s_wait_dscnt 0x0
	v_add_f64_e32 v[2:3], v[2:3], v[4:5]
	v_add_co_ci_u32_e64 v4, null, 0, v9, vcc_lo
	s_delay_alu instid0(VALU_DEP_1)
	v_lshlrev_b32_e32 v9, 2, v4
	ds_bpermute_b32 v4, v9, v2
	ds_bpermute_b32 v5, v9, v3
	v_cmpx_eq_u32_e32 0, v10
	s_cbranch_execz .LBB172_6
; %bb.5:
	s_wait_dscnt 0x0
	v_add_f64_e32 v[2:3], v[2:3], v[4:5]
	v_lshrrev_b32_e32 v4, 2, v0
	ds_store_b64 v4, v[2:3]
.LBB172_6:
	s_or_b32 exec_lo, exec_lo, s2
	s_wait_dscnt 0x0
	s_barrier_signal -1
	s_barrier_wait -1
	s_load_b32 s2, s[0:1], 0xc9c
	v_mov_b64_e32 v[2:3], 0
	s_wait_kmcnt 0x0
	s_bfe_u32 s2, s2, 0xb0005
	s_delay_alu instid0(SALU_CYCLE_1)
	v_cmp_gt_u32_e32 vcc_lo, s2, v0
	s_and_saveexec_b32 s2, vcc_lo
; %bb.7:
	v_lshlrev_b32_e32 v2, 3, v10
	ds_load_b64 v[2:3], v2
; %bb.8:
	s_or_b32 exec_lo, exec_lo, s2
	s_delay_alu instid0(SALU_CYCLE_1)
	s_mov_b32 s2, exec_lo
	v_cmpx_gt_u32_e32 32, v0
	s_cbranch_execz .LBB172_10
; %bb.9:
	s_wait_dscnt 0x0
	ds_bpermute_b32 v4, v1, v2
	ds_bpermute_b32 v5, v1, v3
	s_wait_dscnt 0x0
	v_add_f64_e32 v[2:3], v[2:3], v[4:5]
	ds_bpermute_b32 v4, v6, v2
	ds_bpermute_b32 v5, v6, v3
	s_wait_dscnt 0x0
	v_add_f64_e32 v[2:3], v[2:3], v[4:5]
	;; [unrolled: 4-line block ×5, first 2 shown]
.LBB172_10:
	s_or_b32 exec_lo, exec_lo, s2
	s_delay_alu instid0(SALU_CYCLE_1)
	s_mov_b32 s2, exec_lo
	v_cmpx_eq_u32_e32 0, v0
	s_cbranch_execz .LBB172_12
; %bb.11:
	s_load_b64 s[0:1], s[0:1], s8 offset:0x8 scale_offset
	v_mov_b32_e32 v0, 0
	s_wait_dscnt 0x0
	s_wait_kmcnt 0x0
	global_store_b64 v0, v[2:3], s[0:1]
.LBB172_12:
	s_endpgm
	.section	.rodata,"a",@progbits
	.p2align	6, 0x0
	.amdhsa_kernel _ZN2at6native14lpnorm_cleanupIN3c104HalfELNS0_8NormTypeE0EdLb0EdEEvPKT3_NS0_19TensorListAddressesEi
		.amdhsa_group_segment_fixed_size 4096
		.amdhsa_private_segment_fixed_size 0
		.amdhsa_kernarg_size 3472
		.amdhsa_user_sgpr_count 2
		.amdhsa_user_sgpr_dispatch_ptr 0
		.amdhsa_user_sgpr_queue_ptr 0
		.amdhsa_user_sgpr_kernarg_segment_ptr 1
		.amdhsa_user_sgpr_dispatch_id 0
		.amdhsa_user_sgpr_kernarg_preload_length 0
		.amdhsa_user_sgpr_kernarg_preload_offset 0
		.amdhsa_user_sgpr_private_segment_size 0
		.amdhsa_wavefront_size32 1
		.amdhsa_uses_dynamic_stack 0
		.amdhsa_enable_private_segment 0
		.amdhsa_system_sgpr_workgroup_id_x 1
		.amdhsa_system_sgpr_workgroup_id_y 0
		.amdhsa_system_sgpr_workgroup_id_z 0
		.amdhsa_system_sgpr_workgroup_info 0
		.amdhsa_system_vgpr_workitem_id 0
		.amdhsa_next_free_vgpr 11
		.amdhsa_next_free_sgpr 12
		.amdhsa_named_barrier_count 0
		.amdhsa_reserve_vcc 1
		.amdhsa_float_round_mode_32 0
		.amdhsa_float_round_mode_16_64 0
		.amdhsa_float_denorm_mode_32 3
		.amdhsa_float_denorm_mode_16_64 3
		.amdhsa_fp16_overflow 0
		.amdhsa_memory_ordered 1
		.amdhsa_forward_progress 1
		.amdhsa_inst_pref_size 6
		.amdhsa_round_robin_scheduling 0
		.amdhsa_exception_fp_ieee_invalid_op 0
		.amdhsa_exception_fp_denorm_src 0
		.amdhsa_exception_fp_ieee_div_zero 0
		.amdhsa_exception_fp_ieee_overflow 0
		.amdhsa_exception_fp_ieee_underflow 0
		.amdhsa_exception_fp_ieee_inexact 0
		.amdhsa_exception_int_div_zero 0
	.end_amdhsa_kernel
	.section	.text._ZN2at6native14lpnorm_cleanupIN3c104HalfELNS0_8NormTypeE0EdLb0EdEEvPKT3_NS0_19TensorListAddressesEi,"axG",@progbits,_ZN2at6native14lpnorm_cleanupIN3c104HalfELNS0_8NormTypeE0EdLb0EdEEvPKT3_NS0_19TensorListAddressesEi,comdat
.Lfunc_end172:
	.size	_ZN2at6native14lpnorm_cleanupIN3c104HalfELNS0_8NormTypeE0EdLb0EdEEvPKT3_NS0_19TensorListAddressesEi, .Lfunc_end172-_ZN2at6native14lpnorm_cleanupIN3c104HalfELNS0_8NormTypeE0EdLb0EdEEvPKT3_NS0_19TensorListAddressesEi
                                        ; -- End function
	.set _ZN2at6native14lpnorm_cleanupIN3c104HalfELNS0_8NormTypeE0EdLb0EdEEvPKT3_NS0_19TensorListAddressesEi.num_vgpr, 11
	.set _ZN2at6native14lpnorm_cleanupIN3c104HalfELNS0_8NormTypeE0EdLb0EdEEvPKT3_NS0_19TensorListAddressesEi.num_agpr, 0
	.set _ZN2at6native14lpnorm_cleanupIN3c104HalfELNS0_8NormTypeE0EdLb0EdEEvPKT3_NS0_19TensorListAddressesEi.numbered_sgpr, 12
	.set _ZN2at6native14lpnorm_cleanupIN3c104HalfELNS0_8NormTypeE0EdLb0EdEEvPKT3_NS0_19TensorListAddressesEi.num_named_barrier, 0
	.set _ZN2at6native14lpnorm_cleanupIN3c104HalfELNS0_8NormTypeE0EdLb0EdEEvPKT3_NS0_19TensorListAddressesEi.private_seg_size, 0
	.set _ZN2at6native14lpnorm_cleanupIN3c104HalfELNS0_8NormTypeE0EdLb0EdEEvPKT3_NS0_19TensorListAddressesEi.uses_vcc, 1
	.set _ZN2at6native14lpnorm_cleanupIN3c104HalfELNS0_8NormTypeE0EdLb0EdEEvPKT3_NS0_19TensorListAddressesEi.uses_flat_scratch, 0
	.set _ZN2at6native14lpnorm_cleanupIN3c104HalfELNS0_8NormTypeE0EdLb0EdEEvPKT3_NS0_19TensorListAddressesEi.has_dyn_sized_stack, 0
	.set _ZN2at6native14lpnorm_cleanupIN3c104HalfELNS0_8NormTypeE0EdLb0EdEEvPKT3_NS0_19TensorListAddressesEi.has_recursion, 0
	.set _ZN2at6native14lpnorm_cleanupIN3c104HalfELNS0_8NormTypeE0EdLb0EdEEvPKT3_NS0_19TensorListAddressesEi.has_indirect_call, 0
	.section	.AMDGPU.csdata,"",@progbits
; Kernel info:
; codeLenInByte = 756
; TotalNumSgprs: 14
; NumVgprs: 11
; ScratchSize: 0
; MemoryBound: 0
; FloatMode: 240
; IeeeMode: 1
; LDSByteSize: 4096 bytes/workgroup (compile time only)
; SGPRBlocks: 0
; VGPRBlocks: 0
; NumSGPRsForWavesPerEU: 14
; NumVGPRsForWavesPerEU: 11
; NamedBarCnt: 0
; Occupancy: 16
; WaveLimiterHint : 0
; COMPUTE_PGM_RSRC2:SCRATCH_EN: 0
; COMPUTE_PGM_RSRC2:USER_SGPR: 2
; COMPUTE_PGM_RSRC2:TRAP_HANDLER: 0
; COMPUTE_PGM_RSRC2:TGID_X_EN: 1
; COMPUTE_PGM_RSRC2:TGID_Y_EN: 0
; COMPUTE_PGM_RSRC2:TGID_Z_EN: 0
; COMPUTE_PGM_RSRC2:TIDIG_COMP_CNT: 0
	.section	.text._ZN2at6native14lpnorm_cleanupIN3c104HalfELNS0_8NormTypeE1EdLb0EdEEvPKT3_NS0_19TensorListAddressesEi,"axG",@progbits,_ZN2at6native14lpnorm_cleanupIN3c104HalfELNS0_8NormTypeE1EdLb0EdEEvPKT3_NS0_19TensorListAddressesEi,comdat
	.protected	_ZN2at6native14lpnorm_cleanupIN3c104HalfELNS0_8NormTypeE1EdLb0EdEEvPKT3_NS0_19TensorListAddressesEi ; -- Begin function _ZN2at6native14lpnorm_cleanupIN3c104HalfELNS0_8NormTypeE1EdLb0EdEEvPKT3_NS0_19TensorListAddressesEi
	.globl	_ZN2at6native14lpnorm_cleanupIN3c104HalfELNS0_8NormTypeE1EdLb0EdEEvPKT3_NS0_19TensorListAddressesEi
	.p2align	8
	.type	_ZN2at6native14lpnorm_cleanupIN3c104HalfELNS0_8NormTypeE1EdLb0EdEEvPKT3_NS0_19TensorListAddressesEi,@function
_ZN2at6native14lpnorm_cleanupIN3c104HalfELNS0_8NormTypeE1EdLb0EdEEvPKT3_NS0_19TensorListAddressesEi: ; @_ZN2at6native14lpnorm_cleanupIN3c104HalfELNS0_8NormTypeE1EdLb0EdEEvPKT3_NS0_19TensorListAddressesEi
; %bb.0:
	s_load_b32 s2, s[0:1], 0xc88
	s_bfe_u32 s3, ttmp6, 0x4000c
	s_and_b32 s4, ttmp6, 15
	s_add_co_i32 s3, s3, 1
	v_mov_b64_e32 v[2:3], 0
	s_mul_i32 s3, ttmp9, s3
	s_mov_b32 s5, 0
	s_add_co_i32 s4, s4, s3
	s_getreg_b32 s3, hwreg(HW_REG_IB_STS2, 6, 4)
	s_mov_b32 s9, exec_lo
	s_cmp_eq_u32 s3, 0
	s_cselect_b32 s8, ttmp9, s4
	s_wait_kmcnt 0x0
	v_cmpx_gt_u32_e64 s2, v0
	s_cbranch_execz .LBB173_4
; %bb.1:
	s_clause 0x1
	s_load_b64 s[6:7], s[0:1], 0x0
	s_load_b32 s4, s[0:1], 0xc9c
	v_dual_mov_b32 v1, 0 :: v_dual_lshlrev_b32 v2, 3, v0
	s_mul_i32 s10, s2, s8
	s_mov_b32 s11, s5
	s_ashr_i32 s3, s2, 31
	s_delay_alu instid0(VALU_DEP_1)
	v_mov_b32_e32 v3, v1
	s_lshl_b64 s[10:11], s[10:11], 3
	v_mov_b64_e32 v[6:7], v[0:1]
	s_wait_kmcnt 0x0
	s_add_nc_u64 s[6:7], s[6:7], s[10:11]
	s_and_b32 s4, s4, 0xffff
	v_add_nc_u64_e32 v[4:5], s[6:7], v[2:3]
	v_mov_b64_e32 v[2:3], 0
	s_lshl_b32 s6, s4, 3
	s_mov_b32 s7, s5
	s_mov_b32 s10, s5
.LBB173_2:                              ; =>This Inner Loop Header: Depth=1
	global_load_b64 v[8:9], v[4:5], off
	v_add_nc_u64_e32 v[6:7], s[4:5], v[6:7]
	s_wait_xcnt 0x0
	v_add_nc_u64_e32 v[4:5], s[6:7], v[4:5]
	s_delay_alu instid0(VALU_DEP_2)
	v_cmp_le_u64_e32 vcc_lo, s[2:3], v[6:7]
	s_or_b32 s10, vcc_lo, s10
	s_wait_loadcnt 0x0
	v_add_f64_e32 v[2:3], v[2:3], v[8:9]
	s_and_not1_b32 exec_lo, exec_lo, s10
	s_cbranch_execnz .LBB173_2
; %bb.3:
	s_or_b32 exec_lo, exec_lo, s10
.LBB173_4:
	s_delay_alu instid0(SALU_CYCLE_1) | instskip(SKIP_4) | instid1(VALU_DEP_2)
	s_or_b32 exec_lo, exec_lo, s9
	v_mbcnt_lo_u32_b32 v9, -1, 0
	v_and_b32_e32 v10, 31, v0
	s_mov_b32 s2, exec_lo
	s_barrier_signal -1
	v_lshl_or_b32 v1, v9, 2, 64
	v_cmp_gt_u32_e32 vcc_lo, 24, v9
	s_barrier_wait -1
	ds_bpermute_b32 v4, v1, v2
	ds_bpermute_b32 v5, v1, v3
	s_wait_dscnt 0x0
	v_add_f64_e32 v[2:3], v[2:3], v[4:5]
	v_cndmask_b32_e64 v4, 0, 8, vcc_lo
	v_cmp_gt_u32_e32 vcc_lo, 28, v9
	s_delay_alu instid0(VALU_DEP_2)
	v_add_lshl_u32 v6, v4, v9, 2
	ds_bpermute_b32 v4, v6, v2
	ds_bpermute_b32 v5, v6, v3
	s_wait_dscnt 0x0
	v_add_f64_e32 v[2:3], v[2:3], v[4:5]
	v_cndmask_b32_e64 v4, 0, 4, vcc_lo
	v_cmp_gt_u32_e32 vcc_lo, 30, v9
	s_delay_alu instid0(VALU_DEP_2)
	v_add_lshl_u32 v7, v4, v9, 2
	ds_bpermute_b32 v4, v7, v2
	ds_bpermute_b32 v5, v7, v3
	s_wait_dscnt 0x0
	v_add_f64_e32 v[2:3], v[2:3], v[4:5]
	v_cndmask_b32_e64 v4, 0, 2, vcc_lo
	v_cmp_ne_u32_e32 vcc_lo, 31, v9
	s_delay_alu instid0(VALU_DEP_2)
	v_add_lshl_u32 v8, v4, v9, 2
	ds_bpermute_b32 v4, v8, v2
	ds_bpermute_b32 v5, v8, v3
	s_wait_dscnt 0x0
	v_add_f64_e32 v[2:3], v[2:3], v[4:5]
	v_add_co_ci_u32_e64 v4, null, 0, v9, vcc_lo
	s_delay_alu instid0(VALU_DEP_1)
	v_lshlrev_b32_e32 v9, 2, v4
	ds_bpermute_b32 v4, v9, v2
	ds_bpermute_b32 v5, v9, v3
	v_cmpx_eq_u32_e32 0, v10
	s_cbranch_execz .LBB173_6
; %bb.5:
	s_wait_dscnt 0x0
	v_add_f64_e32 v[2:3], v[2:3], v[4:5]
	v_lshrrev_b32_e32 v4, 2, v0
	ds_store_b64 v4, v[2:3]
.LBB173_6:
	s_or_b32 exec_lo, exec_lo, s2
	s_wait_dscnt 0x0
	s_barrier_signal -1
	s_barrier_wait -1
	s_load_b32 s2, s[0:1], 0xc9c
	v_mov_b64_e32 v[2:3], 0
	s_wait_kmcnt 0x0
	s_bfe_u32 s2, s2, 0xb0005
	s_delay_alu instid0(SALU_CYCLE_1)
	v_cmp_gt_u32_e32 vcc_lo, s2, v0
	s_and_saveexec_b32 s2, vcc_lo
; %bb.7:
	v_lshlrev_b32_e32 v2, 3, v10
	ds_load_b64 v[2:3], v2
; %bb.8:
	s_or_b32 exec_lo, exec_lo, s2
	s_delay_alu instid0(SALU_CYCLE_1)
	s_mov_b32 s2, exec_lo
	v_cmpx_gt_u32_e32 32, v0
	s_cbranch_execz .LBB173_10
; %bb.9:
	s_wait_dscnt 0x0
	ds_bpermute_b32 v4, v1, v2
	ds_bpermute_b32 v5, v1, v3
	s_wait_dscnt 0x0
	v_add_f64_e32 v[2:3], v[2:3], v[4:5]
	ds_bpermute_b32 v4, v6, v2
	ds_bpermute_b32 v5, v6, v3
	s_wait_dscnt 0x0
	v_add_f64_e32 v[2:3], v[2:3], v[4:5]
	;; [unrolled: 4-line block ×5, first 2 shown]
.LBB173_10:
	s_or_b32 exec_lo, exec_lo, s2
	s_delay_alu instid0(SALU_CYCLE_1)
	s_mov_b32 s2, exec_lo
	v_cmpx_eq_u32_e32 0, v0
	s_cbranch_execz .LBB173_12
; %bb.11:
	s_load_b64 s[0:1], s[0:1], s8 offset:0x8 scale_offset
	v_mov_b32_e32 v0, 0
	s_wait_dscnt 0x0
	s_wait_kmcnt 0x0
	global_store_b64 v0, v[2:3], s[0:1]
.LBB173_12:
	s_endpgm
	.section	.rodata,"a",@progbits
	.p2align	6, 0x0
	.amdhsa_kernel _ZN2at6native14lpnorm_cleanupIN3c104HalfELNS0_8NormTypeE1EdLb0EdEEvPKT3_NS0_19TensorListAddressesEi
		.amdhsa_group_segment_fixed_size 4096
		.amdhsa_private_segment_fixed_size 0
		.amdhsa_kernarg_size 3472
		.amdhsa_user_sgpr_count 2
		.amdhsa_user_sgpr_dispatch_ptr 0
		.amdhsa_user_sgpr_queue_ptr 0
		.amdhsa_user_sgpr_kernarg_segment_ptr 1
		.amdhsa_user_sgpr_dispatch_id 0
		.amdhsa_user_sgpr_kernarg_preload_length 0
		.amdhsa_user_sgpr_kernarg_preload_offset 0
		.amdhsa_user_sgpr_private_segment_size 0
		.amdhsa_wavefront_size32 1
		.amdhsa_uses_dynamic_stack 0
		.amdhsa_enable_private_segment 0
		.amdhsa_system_sgpr_workgroup_id_x 1
		.amdhsa_system_sgpr_workgroup_id_y 0
		.amdhsa_system_sgpr_workgroup_id_z 0
		.amdhsa_system_sgpr_workgroup_info 0
		.amdhsa_system_vgpr_workitem_id 0
		.amdhsa_next_free_vgpr 11
		.amdhsa_next_free_sgpr 12
		.amdhsa_named_barrier_count 0
		.amdhsa_reserve_vcc 1
		.amdhsa_float_round_mode_32 0
		.amdhsa_float_round_mode_16_64 0
		.amdhsa_float_denorm_mode_32 3
		.amdhsa_float_denorm_mode_16_64 3
		.amdhsa_fp16_overflow 0
		.amdhsa_memory_ordered 1
		.amdhsa_forward_progress 1
		.amdhsa_inst_pref_size 6
		.amdhsa_round_robin_scheduling 0
		.amdhsa_exception_fp_ieee_invalid_op 0
		.amdhsa_exception_fp_denorm_src 0
		.amdhsa_exception_fp_ieee_div_zero 0
		.amdhsa_exception_fp_ieee_overflow 0
		.amdhsa_exception_fp_ieee_underflow 0
		.amdhsa_exception_fp_ieee_inexact 0
		.amdhsa_exception_int_div_zero 0
	.end_amdhsa_kernel
	.section	.text._ZN2at6native14lpnorm_cleanupIN3c104HalfELNS0_8NormTypeE1EdLb0EdEEvPKT3_NS0_19TensorListAddressesEi,"axG",@progbits,_ZN2at6native14lpnorm_cleanupIN3c104HalfELNS0_8NormTypeE1EdLb0EdEEvPKT3_NS0_19TensorListAddressesEi,comdat
.Lfunc_end173:
	.size	_ZN2at6native14lpnorm_cleanupIN3c104HalfELNS0_8NormTypeE1EdLb0EdEEvPKT3_NS0_19TensorListAddressesEi, .Lfunc_end173-_ZN2at6native14lpnorm_cleanupIN3c104HalfELNS0_8NormTypeE1EdLb0EdEEvPKT3_NS0_19TensorListAddressesEi
                                        ; -- End function
	.set _ZN2at6native14lpnorm_cleanupIN3c104HalfELNS0_8NormTypeE1EdLb0EdEEvPKT3_NS0_19TensorListAddressesEi.num_vgpr, 11
	.set _ZN2at6native14lpnorm_cleanupIN3c104HalfELNS0_8NormTypeE1EdLb0EdEEvPKT3_NS0_19TensorListAddressesEi.num_agpr, 0
	.set _ZN2at6native14lpnorm_cleanupIN3c104HalfELNS0_8NormTypeE1EdLb0EdEEvPKT3_NS0_19TensorListAddressesEi.numbered_sgpr, 12
	.set _ZN2at6native14lpnorm_cleanupIN3c104HalfELNS0_8NormTypeE1EdLb0EdEEvPKT3_NS0_19TensorListAddressesEi.num_named_barrier, 0
	.set _ZN2at6native14lpnorm_cleanupIN3c104HalfELNS0_8NormTypeE1EdLb0EdEEvPKT3_NS0_19TensorListAddressesEi.private_seg_size, 0
	.set _ZN2at6native14lpnorm_cleanupIN3c104HalfELNS0_8NormTypeE1EdLb0EdEEvPKT3_NS0_19TensorListAddressesEi.uses_vcc, 1
	.set _ZN2at6native14lpnorm_cleanupIN3c104HalfELNS0_8NormTypeE1EdLb0EdEEvPKT3_NS0_19TensorListAddressesEi.uses_flat_scratch, 0
	.set _ZN2at6native14lpnorm_cleanupIN3c104HalfELNS0_8NormTypeE1EdLb0EdEEvPKT3_NS0_19TensorListAddressesEi.has_dyn_sized_stack, 0
	.set _ZN2at6native14lpnorm_cleanupIN3c104HalfELNS0_8NormTypeE1EdLb0EdEEvPKT3_NS0_19TensorListAddressesEi.has_recursion, 0
	.set _ZN2at6native14lpnorm_cleanupIN3c104HalfELNS0_8NormTypeE1EdLb0EdEEvPKT3_NS0_19TensorListAddressesEi.has_indirect_call, 0
	.section	.AMDGPU.csdata,"",@progbits
; Kernel info:
; codeLenInByte = 756
; TotalNumSgprs: 14
; NumVgprs: 11
; ScratchSize: 0
; MemoryBound: 0
; FloatMode: 240
; IeeeMode: 1
; LDSByteSize: 4096 bytes/workgroup (compile time only)
; SGPRBlocks: 0
; VGPRBlocks: 0
; NumSGPRsForWavesPerEU: 14
; NumVGPRsForWavesPerEU: 11
; NamedBarCnt: 0
; Occupancy: 16
; WaveLimiterHint : 0
; COMPUTE_PGM_RSRC2:SCRATCH_EN: 0
; COMPUTE_PGM_RSRC2:USER_SGPR: 2
; COMPUTE_PGM_RSRC2:TRAP_HANDLER: 0
; COMPUTE_PGM_RSRC2:TGID_X_EN: 1
; COMPUTE_PGM_RSRC2:TGID_Y_EN: 0
; COMPUTE_PGM_RSRC2:TGID_Z_EN: 0
; COMPUTE_PGM_RSRC2:TIDIG_COMP_CNT: 0
	.section	.text._ZN2at6native14lpnorm_cleanupIN3c104HalfELNS0_8NormTypeE2EdLb0EdEEvPKT3_NS0_19TensorListAddressesEi,"axG",@progbits,_ZN2at6native14lpnorm_cleanupIN3c104HalfELNS0_8NormTypeE2EdLb0EdEEvPKT3_NS0_19TensorListAddressesEi,comdat
	.protected	_ZN2at6native14lpnorm_cleanupIN3c104HalfELNS0_8NormTypeE2EdLb0EdEEvPKT3_NS0_19TensorListAddressesEi ; -- Begin function _ZN2at6native14lpnorm_cleanupIN3c104HalfELNS0_8NormTypeE2EdLb0EdEEvPKT3_NS0_19TensorListAddressesEi
	.globl	_ZN2at6native14lpnorm_cleanupIN3c104HalfELNS0_8NormTypeE2EdLb0EdEEvPKT3_NS0_19TensorListAddressesEi
	.p2align	8
	.type	_ZN2at6native14lpnorm_cleanupIN3c104HalfELNS0_8NormTypeE2EdLb0EdEEvPKT3_NS0_19TensorListAddressesEi,@function
_ZN2at6native14lpnorm_cleanupIN3c104HalfELNS0_8NormTypeE2EdLb0EdEEvPKT3_NS0_19TensorListAddressesEi: ; @_ZN2at6native14lpnorm_cleanupIN3c104HalfELNS0_8NormTypeE2EdLb0EdEEvPKT3_NS0_19TensorListAddressesEi
; %bb.0:
	s_load_b32 s2, s[0:1], 0xc88
	s_bfe_u32 s3, ttmp6, 0x4000c
	s_and_b32 s4, ttmp6, 15
	s_add_co_i32 s3, s3, 1
	v_mov_b64_e32 v[2:3], 0
	s_mul_i32 s3, ttmp9, s3
	s_mov_b32 s5, 0
	s_add_co_i32 s4, s4, s3
	s_getreg_b32 s3, hwreg(HW_REG_IB_STS2, 6, 4)
	s_mov_b32 s9, exec_lo
	s_cmp_eq_u32 s3, 0
	s_cselect_b32 s8, ttmp9, s4
	s_wait_kmcnt 0x0
	v_cmpx_gt_u32_e64 s2, v0
	s_cbranch_execz .LBB174_4
; %bb.1:
	s_clause 0x1
	s_load_b64 s[6:7], s[0:1], 0x0
	s_load_b32 s4, s[0:1], 0xc9c
	v_dual_mov_b32 v1, 0 :: v_dual_lshlrev_b32 v2, 3, v0
	s_mul_i32 s10, s2, s8
	s_mov_b32 s11, s5
	s_ashr_i32 s3, s2, 31
	s_delay_alu instid0(VALU_DEP_1)
	v_mov_b32_e32 v3, v1
	s_lshl_b64 s[10:11], s[10:11], 3
	v_mov_b64_e32 v[6:7], v[0:1]
	s_wait_kmcnt 0x0
	s_add_nc_u64 s[6:7], s[6:7], s[10:11]
	s_and_b32 s4, s4, 0xffff
	v_add_nc_u64_e32 v[4:5], s[6:7], v[2:3]
	v_mov_b64_e32 v[2:3], 0
	s_lshl_b32 s6, s4, 3
	s_mov_b32 s7, s5
	s_mov_b32 s10, s5
.LBB174_2:                              ; =>This Inner Loop Header: Depth=1
	global_load_b64 v[8:9], v[4:5], off
	v_add_nc_u64_e32 v[6:7], s[4:5], v[6:7]
	s_wait_xcnt 0x0
	v_add_nc_u64_e32 v[4:5], s[6:7], v[4:5]
	s_delay_alu instid0(VALU_DEP_2)
	v_cmp_le_u64_e32 vcc_lo, s[2:3], v[6:7]
	s_or_b32 s10, vcc_lo, s10
	s_wait_loadcnt 0x0
	v_add_f64_e32 v[2:3], v[2:3], v[8:9]
	s_and_not1_b32 exec_lo, exec_lo, s10
	s_cbranch_execnz .LBB174_2
; %bb.3:
	s_or_b32 exec_lo, exec_lo, s10
.LBB174_4:
	s_delay_alu instid0(SALU_CYCLE_1) | instskip(SKIP_4) | instid1(VALU_DEP_2)
	s_or_b32 exec_lo, exec_lo, s9
	v_mbcnt_lo_u32_b32 v9, -1, 0
	v_and_b32_e32 v10, 31, v0
	s_mov_b32 s2, exec_lo
	s_barrier_signal -1
	v_lshl_or_b32 v1, v9, 2, 64
	v_cmp_gt_u32_e32 vcc_lo, 24, v9
	s_barrier_wait -1
	ds_bpermute_b32 v4, v1, v2
	ds_bpermute_b32 v5, v1, v3
	s_wait_dscnt 0x0
	v_add_f64_e32 v[2:3], v[2:3], v[4:5]
	v_cndmask_b32_e64 v4, 0, 8, vcc_lo
	v_cmp_gt_u32_e32 vcc_lo, 28, v9
	s_delay_alu instid0(VALU_DEP_2)
	v_add_lshl_u32 v6, v4, v9, 2
	ds_bpermute_b32 v4, v6, v2
	ds_bpermute_b32 v5, v6, v3
	s_wait_dscnt 0x0
	v_add_f64_e32 v[2:3], v[2:3], v[4:5]
	v_cndmask_b32_e64 v4, 0, 4, vcc_lo
	v_cmp_gt_u32_e32 vcc_lo, 30, v9
	s_delay_alu instid0(VALU_DEP_2)
	v_add_lshl_u32 v7, v4, v9, 2
	ds_bpermute_b32 v4, v7, v2
	ds_bpermute_b32 v5, v7, v3
	s_wait_dscnt 0x0
	v_add_f64_e32 v[2:3], v[2:3], v[4:5]
	v_cndmask_b32_e64 v4, 0, 2, vcc_lo
	v_cmp_ne_u32_e32 vcc_lo, 31, v9
	s_delay_alu instid0(VALU_DEP_2)
	v_add_lshl_u32 v8, v4, v9, 2
	ds_bpermute_b32 v4, v8, v2
	ds_bpermute_b32 v5, v8, v3
	s_wait_dscnt 0x0
	v_add_f64_e32 v[2:3], v[2:3], v[4:5]
	v_add_co_ci_u32_e64 v4, null, 0, v9, vcc_lo
	s_delay_alu instid0(VALU_DEP_1)
	v_lshlrev_b32_e32 v9, 2, v4
	ds_bpermute_b32 v4, v9, v2
	ds_bpermute_b32 v5, v9, v3
	v_cmpx_eq_u32_e32 0, v10
	s_cbranch_execz .LBB174_6
; %bb.5:
	s_wait_dscnt 0x0
	v_add_f64_e32 v[2:3], v[2:3], v[4:5]
	v_lshrrev_b32_e32 v4, 2, v0
	ds_store_b64 v4, v[2:3]
.LBB174_6:
	s_or_b32 exec_lo, exec_lo, s2
	s_wait_dscnt 0x0
	s_barrier_signal -1
	s_barrier_wait -1
	s_load_b32 s2, s[0:1], 0xc9c
	v_mov_b64_e32 v[2:3], 0
	s_wait_kmcnt 0x0
	s_bfe_u32 s2, s2, 0xb0005
	s_delay_alu instid0(SALU_CYCLE_1)
	v_cmp_gt_u32_e32 vcc_lo, s2, v0
	s_and_saveexec_b32 s2, vcc_lo
; %bb.7:
	v_lshlrev_b32_e32 v2, 3, v10
	ds_load_b64 v[2:3], v2
; %bb.8:
	s_or_b32 exec_lo, exec_lo, s2
	s_delay_alu instid0(SALU_CYCLE_1)
	s_mov_b32 s2, exec_lo
	v_cmpx_gt_u32_e32 32, v0
	s_cbranch_execz .LBB174_10
; %bb.9:
	s_wait_dscnt 0x0
	ds_bpermute_b32 v4, v1, v2
	ds_bpermute_b32 v5, v1, v3
	s_wait_dscnt 0x0
	v_add_f64_e32 v[2:3], v[2:3], v[4:5]
	ds_bpermute_b32 v4, v6, v2
	ds_bpermute_b32 v5, v6, v3
	s_wait_dscnt 0x0
	v_add_f64_e32 v[2:3], v[2:3], v[4:5]
	;; [unrolled: 4-line block ×5, first 2 shown]
.LBB174_10:
	s_or_b32 exec_lo, exec_lo, s2
	s_delay_alu instid0(SALU_CYCLE_1)
	s_mov_b32 s2, exec_lo
	v_cmpx_eq_u32_e32 0, v0
	s_cbranch_execz .LBB174_12
; %bb.11:
	s_load_b64 s[0:1], s[0:1], s8 offset:0x8 scale_offset
	v_mov_b32_e32 v0, 0
	s_wait_dscnt 0x0
	s_wait_kmcnt 0x0
	global_store_b64 v0, v[2:3], s[0:1]
.LBB174_12:
	s_endpgm
	.section	.rodata,"a",@progbits
	.p2align	6, 0x0
	.amdhsa_kernel _ZN2at6native14lpnorm_cleanupIN3c104HalfELNS0_8NormTypeE2EdLb0EdEEvPKT3_NS0_19TensorListAddressesEi
		.amdhsa_group_segment_fixed_size 4096
		.amdhsa_private_segment_fixed_size 0
		.amdhsa_kernarg_size 3472
		.amdhsa_user_sgpr_count 2
		.amdhsa_user_sgpr_dispatch_ptr 0
		.amdhsa_user_sgpr_queue_ptr 0
		.amdhsa_user_sgpr_kernarg_segment_ptr 1
		.amdhsa_user_sgpr_dispatch_id 0
		.amdhsa_user_sgpr_kernarg_preload_length 0
		.amdhsa_user_sgpr_kernarg_preload_offset 0
		.amdhsa_user_sgpr_private_segment_size 0
		.amdhsa_wavefront_size32 1
		.amdhsa_uses_dynamic_stack 0
		.amdhsa_enable_private_segment 0
		.amdhsa_system_sgpr_workgroup_id_x 1
		.amdhsa_system_sgpr_workgroup_id_y 0
		.amdhsa_system_sgpr_workgroup_id_z 0
		.amdhsa_system_sgpr_workgroup_info 0
		.amdhsa_system_vgpr_workitem_id 0
		.amdhsa_next_free_vgpr 11
		.amdhsa_next_free_sgpr 12
		.amdhsa_named_barrier_count 0
		.amdhsa_reserve_vcc 1
		.amdhsa_float_round_mode_32 0
		.amdhsa_float_round_mode_16_64 0
		.amdhsa_float_denorm_mode_32 3
		.amdhsa_float_denorm_mode_16_64 3
		.amdhsa_fp16_overflow 0
		.amdhsa_memory_ordered 1
		.amdhsa_forward_progress 1
		.amdhsa_inst_pref_size 6
		.amdhsa_round_robin_scheduling 0
		.amdhsa_exception_fp_ieee_invalid_op 0
		.amdhsa_exception_fp_denorm_src 0
		.amdhsa_exception_fp_ieee_div_zero 0
		.amdhsa_exception_fp_ieee_overflow 0
		.amdhsa_exception_fp_ieee_underflow 0
		.amdhsa_exception_fp_ieee_inexact 0
		.amdhsa_exception_int_div_zero 0
	.end_amdhsa_kernel
	.section	.text._ZN2at6native14lpnorm_cleanupIN3c104HalfELNS0_8NormTypeE2EdLb0EdEEvPKT3_NS0_19TensorListAddressesEi,"axG",@progbits,_ZN2at6native14lpnorm_cleanupIN3c104HalfELNS0_8NormTypeE2EdLb0EdEEvPKT3_NS0_19TensorListAddressesEi,comdat
.Lfunc_end174:
	.size	_ZN2at6native14lpnorm_cleanupIN3c104HalfELNS0_8NormTypeE2EdLb0EdEEvPKT3_NS0_19TensorListAddressesEi, .Lfunc_end174-_ZN2at6native14lpnorm_cleanupIN3c104HalfELNS0_8NormTypeE2EdLb0EdEEvPKT3_NS0_19TensorListAddressesEi
                                        ; -- End function
	.set _ZN2at6native14lpnorm_cleanupIN3c104HalfELNS0_8NormTypeE2EdLb0EdEEvPKT3_NS0_19TensorListAddressesEi.num_vgpr, 11
	.set _ZN2at6native14lpnorm_cleanupIN3c104HalfELNS0_8NormTypeE2EdLb0EdEEvPKT3_NS0_19TensorListAddressesEi.num_agpr, 0
	.set _ZN2at6native14lpnorm_cleanupIN3c104HalfELNS0_8NormTypeE2EdLb0EdEEvPKT3_NS0_19TensorListAddressesEi.numbered_sgpr, 12
	.set _ZN2at6native14lpnorm_cleanupIN3c104HalfELNS0_8NormTypeE2EdLb0EdEEvPKT3_NS0_19TensorListAddressesEi.num_named_barrier, 0
	.set _ZN2at6native14lpnorm_cleanupIN3c104HalfELNS0_8NormTypeE2EdLb0EdEEvPKT3_NS0_19TensorListAddressesEi.private_seg_size, 0
	.set _ZN2at6native14lpnorm_cleanupIN3c104HalfELNS0_8NormTypeE2EdLb0EdEEvPKT3_NS0_19TensorListAddressesEi.uses_vcc, 1
	.set _ZN2at6native14lpnorm_cleanupIN3c104HalfELNS0_8NormTypeE2EdLb0EdEEvPKT3_NS0_19TensorListAddressesEi.uses_flat_scratch, 0
	.set _ZN2at6native14lpnorm_cleanupIN3c104HalfELNS0_8NormTypeE2EdLb0EdEEvPKT3_NS0_19TensorListAddressesEi.has_dyn_sized_stack, 0
	.set _ZN2at6native14lpnorm_cleanupIN3c104HalfELNS0_8NormTypeE2EdLb0EdEEvPKT3_NS0_19TensorListAddressesEi.has_recursion, 0
	.set _ZN2at6native14lpnorm_cleanupIN3c104HalfELNS0_8NormTypeE2EdLb0EdEEvPKT3_NS0_19TensorListAddressesEi.has_indirect_call, 0
	.section	.AMDGPU.csdata,"",@progbits
; Kernel info:
; codeLenInByte = 756
; TotalNumSgprs: 14
; NumVgprs: 11
; ScratchSize: 0
; MemoryBound: 0
; FloatMode: 240
; IeeeMode: 1
; LDSByteSize: 4096 bytes/workgroup (compile time only)
; SGPRBlocks: 0
; VGPRBlocks: 0
; NumSGPRsForWavesPerEU: 14
; NumVGPRsForWavesPerEU: 11
; NamedBarCnt: 0
; Occupancy: 16
; WaveLimiterHint : 0
; COMPUTE_PGM_RSRC2:SCRATCH_EN: 0
; COMPUTE_PGM_RSRC2:USER_SGPR: 2
; COMPUTE_PGM_RSRC2:TRAP_HANDLER: 0
; COMPUTE_PGM_RSRC2:TGID_X_EN: 1
; COMPUTE_PGM_RSRC2:TGID_Y_EN: 0
; COMPUTE_PGM_RSRC2:TGID_Z_EN: 0
; COMPUTE_PGM_RSRC2:TIDIG_COMP_CNT: 0
	.section	.text._ZN2at6native14lpnorm_cleanupIN3c104HalfELNS0_8NormTypeE0EfLb0EfEEvPKT3_NS0_19TensorListAddressesEi,"axG",@progbits,_ZN2at6native14lpnorm_cleanupIN3c104HalfELNS0_8NormTypeE0EfLb0EfEEvPKT3_NS0_19TensorListAddressesEi,comdat
	.protected	_ZN2at6native14lpnorm_cleanupIN3c104HalfELNS0_8NormTypeE0EfLb0EfEEvPKT3_NS0_19TensorListAddressesEi ; -- Begin function _ZN2at6native14lpnorm_cleanupIN3c104HalfELNS0_8NormTypeE0EfLb0EfEEvPKT3_NS0_19TensorListAddressesEi
	.globl	_ZN2at6native14lpnorm_cleanupIN3c104HalfELNS0_8NormTypeE0EfLb0EfEEvPKT3_NS0_19TensorListAddressesEi
	.p2align	8
	.type	_ZN2at6native14lpnorm_cleanupIN3c104HalfELNS0_8NormTypeE0EfLb0EfEEvPKT3_NS0_19TensorListAddressesEi,@function
_ZN2at6native14lpnorm_cleanupIN3c104HalfELNS0_8NormTypeE0EfLb0EfEEvPKT3_NS0_19TensorListAddressesEi: ; @_ZN2at6native14lpnorm_cleanupIN3c104HalfELNS0_8NormTypeE0EfLb0EfEEvPKT3_NS0_19TensorListAddressesEi
; %bb.0:
	s_load_b32 s2, s[0:1], 0xc88
	s_bfe_u32 s3, ttmp6, 0x4000c
	s_and_b32 s4, ttmp6, 15
	s_add_co_i32 s3, s3, 1
	s_getreg_b32 s5, hwreg(HW_REG_IB_STS2, 6, 4)
	s_mul_i32 s3, ttmp9, s3
	v_mov_b32_e32 v1, 0
	s_add_co_i32 s4, s4, s3
	s_cmp_eq_u32 s5, 0
	s_mov_b32 s5, 0
	s_cselect_b32 s8, ttmp9, s4
	s_mov_b32 s9, exec_lo
	s_wait_kmcnt 0x0
	v_cmpx_gt_u32_e64 s2, v0
	s_cbranch_execz .LBB175_4
; %bb.1:
	s_clause 0x1
	s_load_b64 s[6:7], s[0:1], 0x0
	s_load_b32 s4, s[0:1], 0xc9c
	v_dual_mov_b32 v1, 0 :: v_dual_lshlrev_b32 v2, 2, v0
	s_mul_i32 s10, s2, s8
	s_mov_b32 s11, s5
	s_ashr_i32 s3, s2, 31
	s_delay_alu instid0(VALU_DEP_1)
	v_mov_b32_e32 v3, v1
	s_lshl_b64 s[10:11], s[10:11], 2
	v_mov_b64_e32 v[4:5], v[0:1]
	s_wait_kmcnt 0x0
	s_add_nc_u64 s[6:7], s[6:7], s[10:11]
	s_and_b32 s4, s4, 0xffff
	v_add_nc_u64_e32 v[2:3], s[6:7], v[2:3]
	s_lshl_b32 s6, s4, 2
	s_mov_b32 s7, s5
	s_mov_b32 s10, s5
.LBB175_2:                              ; =>This Inner Loop Header: Depth=1
	global_load_b32 v6, v[2:3], off
	v_add_nc_u64_e32 v[4:5], s[4:5], v[4:5]
	s_wait_xcnt 0x0
	v_add_nc_u64_e32 v[2:3], s[6:7], v[2:3]
	s_delay_alu instid0(VALU_DEP_2)
	v_cmp_le_u64_e32 vcc_lo, s[2:3], v[4:5]
	s_or_b32 s10, vcc_lo, s10
	s_wait_loadcnt 0x0
	v_add_f32_e32 v1, v1, v6
	s_and_not1_b32 exec_lo, exec_lo, s10
	s_cbranch_execnz .LBB175_2
; %bb.3:
	s_or_b32 exec_lo, exec_lo, s10
.LBB175_4:
	s_delay_alu instid0(SALU_CYCLE_1) | instskip(SKIP_4) | instid1(VALU_DEP_1)
	s_or_b32 exec_lo, exec_lo, s9
	v_mbcnt_lo_u32_b32 v5, -1, 0
	s_mov_b32 s2, exec_lo
	s_barrier_signal -1
	s_barrier_wait -1
	v_lshl_or_b32 v2, v5, 2, 64
	v_cmp_gt_u32_e32 vcc_lo, 24, v5
	ds_bpermute_b32 v4, v2, v1
	v_cndmask_b32_e64 v3, 0, 8, vcc_lo
	v_cmp_gt_u32_e32 vcc_lo, 28, v5
	s_delay_alu instid0(VALU_DEP_2)
	v_add_lshl_u32 v3, v3, v5, 2
	s_wait_dscnt 0x0
	v_add_f32_e32 v4, v1, v4
	v_cndmask_b32_e64 v1, 0, 4, vcc_lo
	v_cmp_gt_u32_e32 vcc_lo, 30, v5
	ds_bpermute_b32 v6, v3, v4
	v_add_lshl_u32 v1, v1, v5, 2
	s_wait_dscnt 0x0
	v_add_f32_e32 v6, v4, v6
	v_cndmask_b32_e64 v4, 0, 2, vcc_lo
	v_cmp_ne_u32_e32 vcc_lo, 31, v5
	s_delay_alu instid0(VALU_DEP_2) | instskip(SKIP_1) | instid1(VALU_DEP_1)
	v_add_lshl_u32 v4, v4, v5, 2
	v_add_co_ci_u32_e64 v5, null, 0, v5, vcc_lo
	v_lshlrev_b32_e32 v5, 2, v5
	ds_bpermute_b32 v7, v1, v6
	s_wait_dscnt 0x0
	v_add_f32_e32 v6, v6, v7
	ds_bpermute_b32 v7, v4, v6
	s_wait_dscnt 0x0
	v_dual_add_f32 v7, v6, v7 :: v_dual_bitop2_b32 v6, 31, v0 bitop3:0x40
	ds_bpermute_b32 v8, v5, v7
	v_cmpx_eq_u32_e32 0, v6
	s_cbranch_execz .LBB175_6
; %bb.5:
	s_wait_dscnt 0x0
	v_add_f32_e32 v7, v7, v8
	v_lshrrev_b32_e32 v8, 3, v0
	ds_store_b32 v8, v7
.LBB175_6:
	s_or_b32 exec_lo, exec_lo, s2
	s_wait_dscnt 0x0
	s_barrier_signal -1
	s_barrier_wait -1
	s_load_b32 s2, s[0:1], 0xc9c
	v_mov_b32_e32 v7, 0
	s_wait_kmcnt 0x0
	s_bfe_u32 s2, s2, 0xb0005
	s_delay_alu instid0(SALU_CYCLE_1)
	v_cmp_gt_u32_e32 vcc_lo, s2, v0
	s_and_saveexec_b32 s2, vcc_lo
; %bb.7:
	v_lshlrev_b32_e32 v6, 2, v6
	ds_load_b32 v7, v6
; %bb.8:
	s_or_b32 exec_lo, exec_lo, s2
	s_delay_alu instid0(SALU_CYCLE_1)
	s_mov_b32 s2, exec_lo
	v_cmpx_gt_u32_e32 32, v0
	s_cbranch_execz .LBB175_10
; %bb.9:
	s_wait_dscnt 0x0
	ds_bpermute_b32 v2, v2, v7
	s_wait_dscnt 0x0
	v_add_f32_e32 v2, v7, v2
	ds_bpermute_b32 v3, v3, v2
	s_wait_dscnt 0x0
	v_add_f32_e32 v2, v2, v3
	;; [unrolled: 3-line block ×5, first 2 shown]
.LBB175_10:
	s_or_b32 exec_lo, exec_lo, s2
	s_delay_alu instid0(SALU_CYCLE_1)
	s_mov_b32 s2, exec_lo
	v_cmpx_eq_u32_e32 0, v0
	s_cbranch_execz .LBB175_12
; %bb.11:
	s_load_b64 s[0:1], s[0:1], s8 offset:0x8 scale_offset
	v_mov_b32_e32 v0, 0
	s_wait_dscnt 0x0
	s_wait_kmcnt 0x0
	global_store_b32 v0, v7, s[0:1]
.LBB175_12:
	s_endpgm
	.section	.rodata,"a",@progbits
	.p2align	6, 0x0
	.amdhsa_kernel _ZN2at6native14lpnorm_cleanupIN3c104HalfELNS0_8NormTypeE0EfLb0EfEEvPKT3_NS0_19TensorListAddressesEi
		.amdhsa_group_segment_fixed_size 2048
		.amdhsa_private_segment_fixed_size 0
		.amdhsa_kernarg_size 3472
		.amdhsa_user_sgpr_count 2
		.amdhsa_user_sgpr_dispatch_ptr 0
		.amdhsa_user_sgpr_queue_ptr 0
		.amdhsa_user_sgpr_kernarg_segment_ptr 1
		.amdhsa_user_sgpr_dispatch_id 0
		.amdhsa_user_sgpr_kernarg_preload_length 0
		.amdhsa_user_sgpr_kernarg_preload_offset 0
		.amdhsa_user_sgpr_private_segment_size 0
		.amdhsa_wavefront_size32 1
		.amdhsa_uses_dynamic_stack 0
		.amdhsa_enable_private_segment 0
		.amdhsa_system_sgpr_workgroup_id_x 1
		.amdhsa_system_sgpr_workgroup_id_y 0
		.amdhsa_system_sgpr_workgroup_id_z 0
		.amdhsa_system_sgpr_workgroup_info 0
		.amdhsa_system_vgpr_workitem_id 0
		.amdhsa_next_free_vgpr 9
		.amdhsa_next_free_sgpr 12
		.amdhsa_named_barrier_count 0
		.amdhsa_reserve_vcc 1
		.amdhsa_float_round_mode_32 0
		.amdhsa_float_round_mode_16_64 0
		.amdhsa_float_denorm_mode_32 3
		.amdhsa_float_denorm_mode_16_64 3
		.amdhsa_fp16_overflow 0
		.amdhsa_memory_ordered 1
		.amdhsa_forward_progress 1
		.amdhsa_inst_pref_size 6
		.amdhsa_round_robin_scheduling 0
		.amdhsa_exception_fp_ieee_invalid_op 0
		.amdhsa_exception_fp_denorm_src 0
		.amdhsa_exception_fp_ieee_div_zero 0
		.amdhsa_exception_fp_ieee_overflow 0
		.amdhsa_exception_fp_ieee_underflow 0
		.amdhsa_exception_fp_ieee_inexact 0
		.amdhsa_exception_int_div_zero 0
	.end_amdhsa_kernel
	.section	.text._ZN2at6native14lpnorm_cleanupIN3c104HalfELNS0_8NormTypeE0EfLb0EfEEvPKT3_NS0_19TensorListAddressesEi,"axG",@progbits,_ZN2at6native14lpnorm_cleanupIN3c104HalfELNS0_8NormTypeE0EfLb0EfEEvPKT3_NS0_19TensorListAddressesEi,comdat
.Lfunc_end175:
	.size	_ZN2at6native14lpnorm_cleanupIN3c104HalfELNS0_8NormTypeE0EfLb0EfEEvPKT3_NS0_19TensorListAddressesEi, .Lfunc_end175-_ZN2at6native14lpnorm_cleanupIN3c104HalfELNS0_8NormTypeE0EfLb0EfEEvPKT3_NS0_19TensorListAddressesEi
                                        ; -- End function
	.set _ZN2at6native14lpnorm_cleanupIN3c104HalfELNS0_8NormTypeE0EfLb0EfEEvPKT3_NS0_19TensorListAddressesEi.num_vgpr, 9
	.set _ZN2at6native14lpnorm_cleanupIN3c104HalfELNS0_8NormTypeE0EfLb0EfEEvPKT3_NS0_19TensorListAddressesEi.num_agpr, 0
	.set _ZN2at6native14lpnorm_cleanupIN3c104HalfELNS0_8NormTypeE0EfLb0EfEEvPKT3_NS0_19TensorListAddressesEi.numbered_sgpr, 12
	.set _ZN2at6native14lpnorm_cleanupIN3c104HalfELNS0_8NormTypeE0EfLb0EfEEvPKT3_NS0_19TensorListAddressesEi.num_named_barrier, 0
	.set _ZN2at6native14lpnorm_cleanupIN3c104HalfELNS0_8NormTypeE0EfLb0EfEEvPKT3_NS0_19TensorListAddressesEi.private_seg_size, 0
	.set _ZN2at6native14lpnorm_cleanupIN3c104HalfELNS0_8NormTypeE0EfLb0EfEEvPKT3_NS0_19TensorListAddressesEi.uses_vcc, 1
	.set _ZN2at6native14lpnorm_cleanupIN3c104HalfELNS0_8NormTypeE0EfLb0EfEEvPKT3_NS0_19TensorListAddressesEi.uses_flat_scratch, 0
	.set _ZN2at6native14lpnorm_cleanupIN3c104HalfELNS0_8NormTypeE0EfLb0EfEEvPKT3_NS0_19TensorListAddressesEi.has_dyn_sized_stack, 0
	.set _ZN2at6native14lpnorm_cleanupIN3c104HalfELNS0_8NormTypeE0EfLb0EfEEvPKT3_NS0_19TensorListAddressesEi.has_recursion, 0
	.set _ZN2at6native14lpnorm_cleanupIN3c104HalfELNS0_8NormTypeE0EfLb0EfEEvPKT3_NS0_19TensorListAddressesEi.has_indirect_call, 0
	.section	.AMDGPU.csdata,"",@progbits
; Kernel info:
; codeLenInByte = 668
; TotalNumSgprs: 14
; NumVgprs: 9
; ScratchSize: 0
; MemoryBound: 0
; FloatMode: 240
; IeeeMode: 1
; LDSByteSize: 2048 bytes/workgroup (compile time only)
; SGPRBlocks: 0
; VGPRBlocks: 0
; NumSGPRsForWavesPerEU: 14
; NumVGPRsForWavesPerEU: 9
; NamedBarCnt: 0
; Occupancy: 16
; WaveLimiterHint : 0
; COMPUTE_PGM_RSRC2:SCRATCH_EN: 0
; COMPUTE_PGM_RSRC2:USER_SGPR: 2
; COMPUTE_PGM_RSRC2:TRAP_HANDLER: 0
; COMPUTE_PGM_RSRC2:TGID_X_EN: 1
; COMPUTE_PGM_RSRC2:TGID_Y_EN: 0
; COMPUTE_PGM_RSRC2:TGID_Z_EN: 0
; COMPUTE_PGM_RSRC2:TIDIG_COMP_CNT: 0
	.section	.text._ZN2at6native14lpnorm_cleanupIN3c104HalfELNS0_8NormTypeE1EfLb0EfEEvPKT3_NS0_19TensorListAddressesEi,"axG",@progbits,_ZN2at6native14lpnorm_cleanupIN3c104HalfELNS0_8NormTypeE1EfLb0EfEEvPKT3_NS0_19TensorListAddressesEi,comdat
	.protected	_ZN2at6native14lpnorm_cleanupIN3c104HalfELNS0_8NormTypeE1EfLb0EfEEvPKT3_NS0_19TensorListAddressesEi ; -- Begin function _ZN2at6native14lpnorm_cleanupIN3c104HalfELNS0_8NormTypeE1EfLb0EfEEvPKT3_NS0_19TensorListAddressesEi
	.globl	_ZN2at6native14lpnorm_cleanupIN3c104HalfELNS0_8NormTypeE1EfLb0EfEEvPKT3_NS0_19TensorListAddressesEi
	.p2align	8
	.type	_ZN2at6native14lpnorm_cleanupIN3c104HalfELNS0_8NormTypeE1EfLb0EfEEvPKT3_NS0_19TensorListAddressesEi,@function
_ZN2at6native14lpnorm_cleanupIN3c104HalfELNS0_8NormTypeE1EfLb0EfEEvPKT3_NS0_19TensorListAddressesEi: ; @_ZN2at6native14lpnorm_cleanupIN3c104HalfELNS0_8NormTypeE1EfLb0EfEEvPKT3_NS0_19TensorListAddressesEi
; %bb.0:
	s_load_b32 s2, s[0:1], 0xc88
	s_bfe_u32 s3, ttmp6, 0x4000c
	s_and_b32 s4, ttmp6, 15
	s_add_co_i32 s3, s3, 1
	s_getreg_b32 s5, hwreg(HW_REG_IB_STS2, 6, 4)
	s_mul_i32 s3, ttmp9, s3
	v_mov_b32_e32 v1, 0
	s_add_co_i32 s4, s4, s3
	s_cmp_eq_u32 s5, 0
	s_mov_b32 s5, 0
	s_cselect_b32 s8, ttmp9, s4
	s_mov_b32 s9, exec_lo
	s_wait_kmcnt 0x0
	v_cmpx_gt_u32_e64 s2, v0
	s_cbranch_execz .LBB176_4
; %bb.1:
	s_clause 0x1
	s_load_b64 s[6:7], s[0:1], 0x0
	s_load_b32 s4, s[0:1], 0xc9c
	v_dual_mov_b32 v1, 0 :: v_dual_lshlrev_b32 v2, 2, v0
	s_mul_i32 s10, s2, s8
	s_mov_b32 s11, s5
	s_ashr_i32 s3, s2, 31
	s_delay_alu instid0(VALU_DEP_1)
	v_mov_b32_e32 v3, v1
	s_lshl_b64 s[10:11], s[10:11], 2
	v_mov_b64_e32 v[4:5], v[0:1]
	s_wait_kmcnt 0x0
	s_add_nc_u64 s[6:7], s[6:7], s[10:11]
	s_and_b32 s4, s4, 0xffff
	v_add_nc_u64_e32 v[2:3], s[6:7], v[2:3]
	s_lshl_b32 s6, s4, 2
	s_mov_b32 s7, s5
	s_mov_b32 s10, s5
.LBB176_2:                              ; =>This Inner Loop Header: Depth=1
	global_load_b32 v6, v[2:3], off
	v_add_nc_u64_e32 v[4:5], s[4:5], v[4:5]
	s_wait_xcnt 0x0
	v_add_nc_u64_e32 v[2:3], s[6:7], v[2:3]
	s_delay_alu instid0(VALU_DEP_2)
	v_cmp_le_u64_e32 vcc_lo, s[2:3], v[4:5]
	s_or_b32 s10, vcc_lo, s10
	s_wait_loadcnt 0x0
	v_add_f32_e32 v1, v1, v6
	s_and_not1_b32 exec_lo, exec_lo, s10
	s_cbranch_execnz .LBB176_2
; %bb.3:
	s_or_b32 exec_lo, exec_lo, s10
.LBB176_4:
	s_delay_alu instid0(SALU_CYCLE_1) | instskip(SKIP_4) | instid1(VALU_DEP_1)
	s_or_b32 exec_lo, exec_lo, s9
	v_mbcnt_lo_u32_b32 v5, -1, 0
	s_mov_b32 s2, exec_lo
	s_barrier_signal -1
	s_barrier_wait -1
	v_lshl_or_b32 v2, v5, 2, 64
	v_cmp_gt_u32_e32 vcc_lo, 24, v5
	ds_bpermute_b32 v4, v2, v1
	v_cndmask_b32_e64 v3, 0, 8, vcc_lo
	v_cmp_gt_u32_e32 vcc_lo, 28, v5
	s_delay_alu instid0(VALU_DEP_2)
	v_add_lshl_u32 v3, v3, v5, 2
	s_wait_dscnt 0x0
	v_add_f32_e32 v4, v1, v4
	v_cndmask_b32_e64 v1, 0, 4, vcc_lo
	v_cmp_gt_u32_e32 vcc_lo, 30, v5
	ds_bpermute_b32 v6, v3, v4
	v_add_lshl_u32 v1, v1, v5, 2
	s_wait_dscnt 0x0
	v_add_f32_e32 v6, v4, v6
	v_cndmask_b32_e64 v4, 0, 2, vcc_lo
	v_cmp_ne_u32_e32 vcc_lo, 31, v5
	s_delay_alu instid0(VALU_DEP_2) | instskip(SKIP_1) | instid1(VALU_DEP_1)
	v_add_lshl_u32 v4, v4, v5, 2
	v_add_co_ci_u32_e64 v5, null, 0, v5, vcc_lo
	v_lshlrev_b32_e32 v5, 2, v5
	ds_bpermute_b32 v7, v1, v6
	s_wait_dscnt 0x0
	v_add_f32_e32 v6, v6, v7
	ds_bpermute_b32 v7, v4, v6
	s_wait_dscnt 0x0
	v_dual_add_f32 v7, v6, v7 :: v_dual_bitop2_b32 v6, 31, v0 bitop3:0x40
	ds_bpermute_b32 v8, v5, v7
	v_cmpx_eq_u32_e32 0, v6
	s_cbranch_execz .LBB176_6
; %bb.5:
	s_wait_dscnt 0x0
	v_add_f32_e32 v7, v7, v8
	v_lshrrev_b32_e32 v8, 3, v0
	ds_store_b32 v8, v7
.LBB176_6:
	s_or_b32 exec_lo, exec_lo, s2
	s_wait_dscnt 0x0
	s_barrier_signal -1
	s_barrier_wait -1
	s_load_b32 s2, s[0:1], 0xc9c
	v_mov_b32_e32 v7, 0
	s_wait_kmcnt 0x0
	s_bfe_u32 s2, s2, 0xb0005
	s_delay_alu instid0(SALU_CYCLE_1)
	v_cmp_gt_u32_e32 vcc_lo, s2, v0
	s_and_saveexec_b32 s2, vcc_lo
; %bb.7:
	v_lshlrev_b32_e32 v6, 2, v6
	ds_load_b32 v7, v6
; %bb.8:
	s_or_b32 exec_lo, exec_lo, s2
	s_delay_alu instid0(SALU_CYCLE_1)
	s_mov_b32 s2, exec_lo
	v_cmpx_gt_u32_e32 32, v0
	s_cbranch_execz .LBB176_10
; %bb.9:
	s_wait_dscnt 0x0
	ds_bpermute_b32 v2, v2, v7
	s_wait_dscnt 0x0
	v_add_f32_e32 v2, v7, v2
	ds_bpermute_b32 v3, v3, v2
	s_wait_dscnt 0x0
	v_add_f32_e32 v2, v2, v3
	;; [unrolled: 3-line block ×5, first 2 shown]
.LBB176_10:
	s_or_b32 exec_lo, exec_lo, s2
	s_delay_alu instid0(SALU_CYCLE_1)
	s_mov_b32 s2, exec_lo
	v_cmpx_eq_u32_e32 0, v0
	s_cbranch_execz .LBB176_12
; %bb.11:
	s_load_b64 s[0:1], s[0:1], s8 offset:0x8 scale_offset
	v_mov_b32_e32 v0, 0
	s_wait_dscnt 0x0
	s_wait_kmcnt 0x0
	global_store_b32 v0, v7, s[0:1]
.LBB176_12:
	s_endpgm
	.section	.rodata,"a",@progbits
	.p2align	6, 0x0
	.amdhsa_kernel _ZN2at6native14lpnorm_cleanupIN3c104HalfELNS0_8NormTypeE1EfLb0EfEEvPKT3_NS0_19TensorListAddressesEi
		.amdhsa_group_segment_fixed_size 2048
		.amdhsa_private_segment_fixed_size 0
		.amdhsa_kernarg_size 3472
		.amdhsa_user_sgpr_count 2
		.amdhsa_user_sgpr_dispatch_ptr 0
		.amdhsa_user_sgpr_queue_ptr 0
		.amdhsa_user_sgpr_kernarg_segment_ptr 1
		.amdhsa_user_sgpr_dispatch_id 0
		.amdhsa_user_sgpr_kernarg_preload_length 0
		.amdhsa_user_sgpr_kernarg_preload_offset 0
		.amdhsa_user_sgpr_private_segment_size 0
		.amdhsa_wavefront_size32 1
		.amdhsa_uses_dynamic_stack 0
		.amdhsa_enable_private_segment 0
		.amdhsa_system_sgpr_workgroup_id_x 1
		.amdhsa_system_sgpr_workgroup_id_y 0
		.amdhsa_system_sgpr_workgroup_id_z 0
		.amdhsa_system_sgpr_workgroup_info 0
		.amdhsa_system_vgpr_workitem_id 0
		.amdhsa_next_free_vgpr 9
		.amdhsa_next_free_sgpr 12
		.amdhsa_named_barrier_count 0
		.amdhsa_reserve_vcc 1
		.amdhsa_float_round_mode_32 0
		.amdhsa_float_round_mode_16_64 0
		.amdhsa_float_denorm_mode_32 3
		.amdhsa_float_denorm_mode_16_64 3
		.amdhsa_fp16_overflow 0
		.amdhsa_memory_ordered 1
		.amdhsa_forward_progress 1
		.amdhsa_inst_pref_size 6
		.amdhsa_round_robin_scheduling 0
		.amdhsa_exception_fp_ieee_invalid_op 0
		.amdhsa_exception_fp_denorm_src 0
		.amdhsa_exception_fp_ieee_div_zero 0
		.amdhsa_exception_fp_ieee_overflow 0
		.amdhsa_exception_fp_ieee_underflow 0
		.amdhsa_exception_fp_ieee_inexact 0
		.amdhsa_exception_int_div_zero 0
	.end_amdhsa_kernel
	.section	.text._ZN2at6native14lpnorm_cleanupIN3c104HalfELNS0_8NormTypeE1EfLb0EfEEvPKT3_NS0_19TensorListAddressesEi,"axG",@progbits,_ZN2at6native14lpnorm_cleanupIN3c104HalfELNS0_8NormTypeE1EfLb0EfEEvPKT3_NS0_19TensorListAddressesEi,comdat
.Lfunc_end176:
	.size	_ZN2at6native14lpnorm_cleanupIN3c104HalfELNS0_8NormTypeE1EfLb0EfEEvPKT3_NS0_19TensorListAddressesEi, .Lfunc_end176-_ZN2at6native14lpnorm_cleanupIN3c104HalfELNS0_8NormTypeE1EfLb0EfEEvPKT3_NS0_19TensorListAddressesEi
                                        ; -- End function
	.set _ZN2at6native14lpnorm_cleanupIN3c104HalfELNS0_8NormTypeE1EfLb0EfEEvPKT3_NS0_19TensorListAddressesEi.num_vgpr, 9
	.set _ZN2at6native14lpnorm_cleanupIN3c104HalfELNS0_8NormTypeE1EfLb0EfEEvPKT3_NS0_19TensorListAddressesEi.num_agpr, 0
	.set _ZN2at6native14lpnorm_cleanupIN3c104HalfELNS0_8NormTypeE1EfLb0EfEEvPKT3_NS0_19TensorListAddressesEi.numbered_sgpr, 12
	.set _ZN2at6native14lpnorm_cleanupIN3c104HalfELNS0_8NormTypeE1EfLb0EfEEvPKT3_NS0_19TensorListAddressesEi.num_named_barrier, 0
	.set _ZN2at6native14lpnorm_cleanupIN3c104HalfELNS0_8NormTypeE1EfLb0EfEEvPKT3_NS0_19TensorListAddressesEi.private_seg_size, 0
	.set _ZN2at6native14lpnorm_cleanupIN3c104HalfELNS0_8NormTypeE1EfLb0EfEEvPKT3_NS0_19TensorListAddressesEi.uses_vcc, 1
	.set _ZN2at6native14lpnorm_cleanupIN3c104HalfELNS0_8NormTypeE1EfLb0EfEEvPKT3_NS0_19TensorListAddressesEi.uses_flat_scratch, 0
	.set _ZN2at6native14lpnorm_cleanupIN3c104HalfELNS0_8NormTypeE1EfLb0EfEEvPKT3_NS0_19TensorListAddressesEi.has_dyn_sized_stack, 0
	.set _ZN2at6native14lpnorm_cleanupIN3c104HalfELNS0_8NormTypeE1EfLb0EfEEvPKT3_NS0_19TensorListAddressesEi.has_recursion, 0
	.set _ZN2at6native14lpnorm_cleanupIN3c104HalfELNS0_8NormTypeE1EfLb0EfEEvPKT3_NS0_19TensorListAddressesEi.has_indirect_call, 0
	.section	.AMDGPU.csdata,"",@progbits
; Kernel info:
; codeLenInByte = 668
; TotalNumSgprs: 14
; NumVgprs: 9
; ScratchSize: 0
; MemoryBound: 0
; FloatMode: 240
; IeeeMode: 1
; LDSByteSize: 2048 bytes/workgroup (compile time only)
; SGPRBlocks: 0
; VGPRBlocks: 0
; NumSGPRsForWavesPerEU: 14
; NumVGPRsForWavesPerEU: 9
; NamedBarCnt: 0
; Occupancy: 16
; WaveLimiterHint : 0
; COMPUTE_PGM_RSRC2:SCRATCH_EN: 0
; COMPUTE_PGM_RSRC2:USER_SGPR: 2
; COMPUTE_PGM_RSRC2:TRAP_HANDLER: 0
; COMPUTE_PGM_RSRC2:TGID_X_EN: 1
; COMPUTE_PGM_RSRC2:TGID_Y_EN: 0
; COMPUTE_PGM_RSRC2:TGID_Z_EN: 0
; COMPUTE_PGM_RSRC2:TIDIG_COMP_CNT: 0
	.section	.text._ZN2at6native14lpnorm_cleanupIN3c104HalfELNS0_8NormTypeE2EfLb0EfEEvPKT3_NS0_19TensorListAddressesEi,"axG",@progbits,_ZN2at6native14lpnorm_cleanupIN3c104HalfELNS0_8NormTypeE2EfLb0EfEEvPKT3_NS0_19TensorListAddressesEi,comdat
	.protected	_ZN2at6native14lpnorm_cleanupIN3c104HalfELNS0_8NormTypeE2EfLb0EfEEvPKT3_NS0_19TensorListAddressesEi ; -- Begin function _ZN2at6native14lpnorm_cleanupIN3c104HalfELNS0_8NormTypeE2EfLb0EfEEvPKT3_NS0_19TensorListAddressesEi
	.globl	_ZN2at6native14lpnorm_cleanupIN3c104HalfELNS0_8NormTypeE2EfLb0EfEEvPKT3_NS0_19TensorListAddressesEi
	.p2align	8
	.type	_ZN2at6native14lpnorm_cleanupIN3c104HalfELNS0_8NormTypeE2EfLb0EfEEvPKT3_NS0_19TensorListAddressesEi,@function
_ZN2at6native14lpnorm_cleanupIN3c104HalfELNS0_8NormTypeE2EfLb0EfEEvPKT3_NS0_19TensorListAddressesEi: ; @_ZN2at6native14lpnorm_cleanupIN3c104HalfELNS0_8NormTypeE2EfLb0EfEEvPKT3_NS0_19TensorListAddressesEi
; %bb.0:
	s_load_b32 s2, s[0:1], 0xc88
	s_bfe_u32 s3, ttmp6, 0x4000c
	s_and_b32 s4, ttmp6, 15
	s_add_co_i32 s3, s3, 1
	s_getreg_b32 s5, hwreg(HW_REG_IB_STS2, 6, 4)
	s_mul_i32 s3, ttmp9, s3
	v_mov_b32_e32 v1, 0
	s_add_co_i32 s4, s4, s3
	s_cmp_eq_u32 s5, 0
	s_mov_b32 s5, 0
	s_cselect_b32 s8, ttmp9, s4
	s_mov_b32 s9, exec_lo
	s_wait_kmcnt 0x0
	v_cmpx_gt_u32_e64 s2, v0
	s_cbranch_execz .LBB177_4
; %bb.1:
	s_clause 0x1
	s_load_b64 s[6:7], s[0:1], 0x0
	s_load_b32 s4, s[0:1], 0xc9c
	v_dual_mov_b32 v1, 0 :: v_dual_lshlrev_b32 v2, 2, v0
	s_mul_i32 s10, s2, s8
	s_mov_b32 s11, s5
	s_ashr_i32 s3, s2, 31
	s_delay_alu instid0(VALU_DEP_1)
	v_mov_b32_e32 v3, v1
	s_lshl_b64 s[10:11], s[10:11], 2
	v_mov_b64_e32 v[4:5], v[0:1]
	s_wait_kmcnt 0x0
	s_add_nc_u64 s[6:7], s[6:7], s[10:11]
	s_and_b32 s4, s4, 0xffff
	v_add_nc_u64_e32 v[2:3], s[6:7], v[2:3]
	s_lshl_b32 s6, s4, 2
	s_mov_b32 s7, s5
	s_mov_b32 s10, s5
.LBB177_2:                              ; =>This Inner Loop Header: Depth=1
	global_load_b32 v6, v[2:3], off
	v_add_nc_u64_e32 v[4:5], s[4:5], v[4:5]
	s_wait_xcnt 0x0
	v_add_nc_u64_e32 v[2:3], s[6:7], v[2:3]
	s_delay_alu instid0(VALU_DEP_2)
	v_cmp_le_u64_e32 vcc_lo, s[2:3], v[4:5]
	s_or_b32 s10, vcc_lo, s10
	s_wait_loadcnt 0x0
	v_add_f32_e32 v1, v1, v6
	s_and_not1_b32 exec_lo, exec_lo, s10
	s_cbranch_execnz .LBB177_2
; %bb.3:
	s_or_b32 exec_lo, exec_lo, s10
.LBB177_4:
	s_delay_alu instid0(SALU_CYCLE_1) | instskip(SKIP_4) | instid1(VALU_DEP_1)
	s_or_b32 exec_lo, exec_lo, s9
	v_mbcnt_lo_u32_b32 v5, -1, 0
	s_mov_b32 s2, exec_lo
	s_barrier_signal -1
	s_barrier_wait -1
	v_lshl_or_b32 v2, v5, 2, 64
	v_cmp_gt_u32_e32 vcc_lo, 24, v5
	ds_bpermute_b32 v4, v2, v1
	v_cndmask_b32_e64 v3, 0, 8, vcc_lo
	v_cmp_gt_u32_e32 vcc_lo, 28, v5
	s_delay_alu instid0(VALU_DEP_2)
	v_add_lshl_u32 v3, v3, v5, 2
	s_wait_dscnt 0x0
	v_add_f32_e32 v4, v1, v4
	v_cndmask_b32_e64 v1, 0, 4, vcc_lo
	v_cmp_gt_u32_e32 vcc_lo, 30, v5
	ds_bpermute_b32 v6, v3, v4
	v_add_lshl_u32 v1, v1, v5, 2
	s_wait_dscnt 0x0
	v_add_f32_e32 v6, v4, v6
	v_cndmask_b32_e64 v4, 0, 2, vcc_lo
	v_cmp_ne_u32_e32 vcc_lo, 31, v5
	s_delay_alu instid0(VALU_DEP_2) | instskip(SKIP_1) | instid1(VALU_DEP_1)
	v_add_lshl_u32 v4, v4, v5, 2
	v_add_co_ci_u32_e64 v5, null, 0, v5, vcc_lo
	v_lshlrev_b32_e32 v5, 2, v5
	ds_bpermute_b32 v7, v1, v6
	s_wait_dscnt 0x0
	v_add_f32_e32 v6, v6, v7
	ds_bpermute_b32 v7, v4, v6
	s_wait_dscnt 0x0
	v_dual_add_f32 v7, v6, v7 :: v_dual_bitop2_b32 v6, 31, v0 bitop3:0x40
	ds_bpermute_b32 v8, v5, v7
	v_cmpx_eq_u32_e32 0, v6
	s_cbranch_execz .LBB177_6
; %bb.5:
	s_wait_dscnt 0x0
	v_add_f32_e32 v7, v7, v8
	v_lshrrev_b32_e32 v8, 3, v0
	ds_store_b32 v8, v7
.LBB177_6:
	s_or_b32 exec_lo, exec_lo, s2
	s_wait_dscnt 0x0
	s_barrier_signal -1
	s_barrier_wait -1
	s_load_b32 s2, s[0:1], 0xc9c
	v_mov_b32_e32 v7, 0
	s_wait_kmcnt 0x0
	s_bfe_u32 s2, s2, 0xb0005
	s_delay_alu instid0(SALU_CYCLE_1)
	v_cmp_gt_u32_e32 vcc_lo, s2, v0
	s_and_saveexec_b32 s2, vcc_lo
; %bb.7:
	v_lshlrev_b32_e32 v6, 2, v6
	ds_load_b32 v7, v6
; %bb.8:
	s_or_b32 exec_lo, exec_lo, s2
	s_delay_alu instid0(SALU_CYCLE_1)
	s_mov_b32 s2, exec_lo
	v_cmpx_gt_u32_e32 32, v0
	s_cbranch_execz .LBB177_10
; %bb.9:
	s_wait_dscnt 0x0
	ds_bpermute_b32 v2, v2, v7
	s_wait_dscnt 0x0
	v_add_f32_e32 v2, v7, v2
	ds_bpermute_b32 v3, v3, v2
	s_wait_dscnt 0x0
	v_add_f32_e32 v2, v2, v3
	;; [unrolled: 3-line block ×5, first 2 shown]
.LBB177_10:
	s_or_b32 exec_lo, exec_lo, s2
	s_delay_alu instid0(SALU_CYCLE_1)
	s_mov_b32 s2, exec_lo
	v_cmpx_eq_u32_e32 0, v0
	s_cbranch_execz .LBB177_12
; %bb.11:
	s_load_b64 s[0:1], s[0:1], s8 offset:0x8 scale_offset
	v_mov_b32_e32 v0, 0
	s_wait_dscnt 0x0
	s_wait_kmcnt 0x0
	global_store_b32 v0, v7, s[0:1]
.LBB177_12:
	s_endpgm
	.section	.rodata,"a",@progbits
	.p2align	6, 0x0
	.amdhsa_kernel _ZN2at6native14lpnorm_cleanupIN3c104HalfELNS0_8NormTypeE2EfLb0EfEEvPKT3_NS0_19TensorListAddressesEi
		.amdhsa_group_segment_fixed_size 2048
		.amdhsa_private_segment_fixed_size 0
		.amdhsa_kernarg_size 3472
		.amdhsa_user_sgpr_count 2
		.amdhsa_user_sgpr_dispatch_ptr 0
		.amdhsa_user_sgpr_queue_ptr 0
		.amdhsa_user_sgpr_kernarg_segment_ptr 1
		.amdhsa_user_sgpr_dispatch_id 0
		.amdhsa_user_sgpr_kernarg_preload_length 0
		.amdhsa_user_sgpr_kernarg_preload_offset 0
		.amdhsa_user_sgpr_private_segment_size 0
		.amdhsa_wavefront_size32 1
		.amdhsa_uses_dynamic_stack 0
		.amdhsa_enable_private_segment 0
		.amdhsa_system_sgpr_workgroup_id_x 1
		.amdhsa_system_sgpr_workgroup_id_y 0
		.amdhsa_system_sgpr_workgroup_id_z 0
		.amdhsa_system_sgpr_workgroup_info 0
		.amdhsa_system_vgpr_workitem_id 0
		.amdhsa_next_free_vgpr 9
		.amdhsa_next_free_sgpr 12
		.amdhsa_named_barrier_count 0
		.amdhsa_reserve_vcc 1
		.amdhsa_float_round_mode_32 0
		.amdhsa_float_round_mode_16_64 0
		.amdhsa_float_denorm_mode_32 3
		.amdhsa_float_denorm_mode_16_64 3
		.amdhsa_fp16_overflow 0
		.amdhsa_memory_ordered 1
		.amdhsa_forward_progress 1
		.amdhsa_inst_pref_size 6
		.amdhsa_round_robin_scheduling 0
		.amdhsa_exception_fp_ieee_invalid_op 0
		.amdhsa_exception_fp_denorm_src 0
		.amdhsa_exception_fp_ieee_div_zero 0
		.amdhsa_exception_fp_ieee_overflow 0
		.amdhsa_exception_fp_ieee_underflow 0
		.amdhsa_exception_fp_ieee_inexact 0
		.amdhsa_exception_int_div_zero 0
	.end_amdhsa_kernel
	.section	.text._ZN2at6native14lpnorm_cleanupIN3c104HalfELNS0_8NormTypeE2EfLb0EfEEvPKT3_NS0_19TensorListAddressesEi,"axG",@progbits,_ZN2at6native14lpnorm_cleanupIN3c104HalfELNS0_8NormTypeE2EfLb0EfEEvPKT3_NS0_19TensorListAddressesEi,comdat
.Lfunc_end177:
	.size	_ZN2at6native14lpnorm_cleanupIN3c104HalfELNS0_8NormTypeE2EfLb0EfEEvPKT3_NS0_19TensorListAddressesEi, .Lfunc_end177-_ZN2at6native14lpnorm_cleanupIN3c104HalfELNS0_8NormTypeE2EfLb0EfEEvPKT3_NS0_19TensorListAddressesEi
                                        ; -- End function
	.set _ZN2at6native14lpnorm_cleanupIN3c104HalfELNS0_8NormTypeE2EfLb0EfEEvPKT3_NS0_19TensorListAddressesEi.num_vgpr, 9
	.set _ZN2at6native14lpnorm_cleanupIN3c104HalfELNS0_8NormTypeE2EfLb0EfEEvPKT3_NS0_19TensorListAddressesEi.num_agpr, 0
	.set _ZN2at6native14lpnorm_cleanupIN3c104HalfELNS0_8NormTypeE2EfLb0EfEEvPKT3_NS0_19TensorListAddressesEi.numbered_sgpr, 12
	.set _ZN2at6native14lpnorm_cleanupIN3c104HalfELNS0_8NormTypeE2EfLb0EfEEvPKT3_NS0_19TensorListAddressesEi.num_named_barrier, 0
	.set _ZN2at6native14lpnorm_cleanupIN3c104HalfELNS0_8NormTypeE2EfLb0EfEEvPKT3_NS0_19TensorListAddressesEi.private_seg_size, 0
	.set _ZN2at6native14lpnorm_cleanupIN3c104HalfELNS0_8NormTypeE2EfLb0EfEEvPKT3_NS0_19TensorListAddressesEi.uses_vcc, 1
	.set _ZN2at6native14lpnorm_cleanupIN3c104HalfELNS0_8NormTypeE2EfLb0EfEEvPKT3_NS0_19TensorListAddressesEi.uses_flat_scratch, 0
	.set _ZN2at6native14lpnorm_cleanupIN3c104HalfELNS0_8NormTypeE2EfLb0EfEEvPKT3_NS0_19TensorListAddressesEi.has_dyn_sized_stack, 0
	.set _ZN2at6native14lpnorm_cleanupIN3c104HalfELNS0_8NormTypeE2EfLb0EfEEvPKT3_NS0_19TensorListAddressesEi.has_recursion, 0
	.set _ZN2at6native14lpnorm_cleanupIN3c104HalfELNS0_8NormTypeE2EfLb0EfEEvPKT3_NS0_19TensorListAddressesEi.has_indirect_call, 0
	.section	.AMDGPU.csdata,"",@progbits
; Kernel info:
; codeLenInByte = 668
; TotalNumSgprs: 14
; NumVgprs: 9
; ScratchSize: 0
; MemoryBound: 0
; FloatMode: 240
; IeeeMode: 1
; LDSByteSize: 2048 bytes/workgroup (compile time only)
; SGPRBlocks: 0
; VGPRBlocks: 0
; NumSGPRsForWavesPerEU: 14
; NumVGPRsForWavesPerEU: 9
; NamedBarCnt: 0
; Occupancy: 16
; WaveLimiterHint : 0
; COMPUTE_PGM_RSRC2:SCRATCH_EN: 0
; COMPUTE_PGM_RSRC2:USER_SGPR: 2
; COMPUTE_PGM_RSRC2:TRAP_HANDLER: 0
; COMPUTE_PGM_RSRC2:TGID_X_EN: 1
; COMPUTE_PGM_RSRC2:TGID_Y_EN: 0
; COMPUTE_PGM_RSRC2:TGID_Z_EN: 0
; COMPUTE_PGM_RSRC2:TIDIG_COMP_CNT: 0
	.section	.text._ZN2at6native14lpnorm_cleanupIN3c104HalfELNS0_8NormTypeE0ES3_Lb0EfEEvPKT3_NS0_19TensorListAddressesEi,"axG",@progbits,_ZN2at6native14lpnorm_cleanupIN3c104HalfELNS0_8NormTypeE0ES3_Lb0EfEEvPKT3_NS0_19TensorListAddressesEi,comdat
	.protected	_ZN2at6native14lpnorm_cleanupIN3c104HalfELNS0_8NormTypeE0ES3_Lb0EfEEvPKT3_NS0_19TensorListAddressesEi ; -- Begin function _ZN2at6native14lpnorm_cleanupIN3c104HalfELNS0_8NormTypeE0ES3_Lb0EfEEvPKT3_NS0_19TensorListAddressesEi
	.globl	_ZN2at6native14lpnorm_cleanupIN3c104HalfELNS0_8NormTypeE0ES3_Lb0EfEEvPKT3_NS0_19TensorListAddressesEi
	.p2align	8
	.type	_ZN2at6native14lpnorm_cleanupIN3c104HalfELNS0_8NormTypeE0ES3_Lb0EfEEvPKT3_NS0_19TensorListAddressesEi,@function
_ZN2at6native14lpnorm_cleanupIN3c104HalfELNS0_8NormTypeE0ES3_Lb0EfEEvPKT3_NS0_19TensorListAddressesEi: ; @_ZN2at6native14lpnorm_cleanupIN3c104HalfELNS0_8NormTypeE0ES3_Lb0EfEEvPKT3_NS0_19TensorListAddressesEi
; %bb.0:
	s_load_b32 s2, s[0:1], 0xc88
	s_bfe_u32 s3, ttmp6, 0x4000c
	s_and_b32 s4, ttmp6, 15
	s_add_co_i32 s3, s3, 1
	s_getreg_b32 s5, hwreg(HW_REG_IB_STS2, 6, 4)
	s_mul_i32 s3, ttmp9, s3
	v_mov_b32_e32 v1, 0
	s_add_co_i32 s4, s4, s3
	s_cmp_eq_u32 s5, 0
	s_mov_b32 s5, 0
	s_cselect_b32 s8, ttmp9, s4
	s_mov_b32 s9, exec_lo
	s_wait_kmcnt 0x0
	v_cmpx_gt_u32_e64 s2, v0
	s_cbranch_execz .LBB178_4
; %bb.1:
	s_clause 0x1
	s_load_b64 s[6:7], s[0:1], 0x0
	s_load_b32 s4, s[0:1], 0xc9c
	v_dual_mov_b32 v1, 0 :: v_dual_lshlrev_b32 v2, 2, v0
	s_mul_i32 s10, s2, s8
	s_mov_b32 s11, s5
	s_ashr_i32 s3, s2, 31
	s_delay_alu instid0(VALU_DEP_1)
	v_mov_b32_e32 v3, v1
	s_lshl_b64 s[10:11], s[10:11], 2
	v_mov_b64_e32 v[4:5], v[0:1]
	s_wait_kmcnt 0x0
	s_add_nc_u64 s[6:7], s[6:7], s[10:11]
	s_and_b32 s4, s4, 0xffff
	v_add_nc_u64_e32 v[2:3], s[6:7], v[2:3]
	s_lshl_b32 s6, s4, 2
	s_mov_b32 s7, s5
	s_mov_b32 s10, s5
.LBB178_2:                              ; =>This Inner Loop Header: Depth=1
	global_load_b32 v6, v[2:3], off
	v_add_nc_u64_e32 v[4:5], s[4:5], v[4:5]
	s_wait_xcnt 0x0
	v_add_nc_u64_e32 v[2:3], s[6:7], v[2:3]
	s_delay_alu instid0(VALU_DEP_2)
	v_cmp_le_u64_e32 vcc_lo, s[2:3], v[4:5]
	s_or_b32 s10, vcc_lo, s10
	s_wait_loadcnt 0x0
	v_add_f32_e32 v1, v1, v6
	s_and_not1_b32 exec_lo, exec_lo, s10
	s_cbranch_execnz .LBB178_2
; %bb.3:
	s_or_b32 exec_lo, exec_lo, s10
.LBB178_4:
	s_delay_alu instid0(SALU_CYCLE_1) | instskip(SKIP_4) | instid1(VALU_DEP_1)
	s_or_b32 exec_lo, exec_lo, s9
	v_mbcnt_lo_u32_b32 v5, -1, 0
	s_mov_b32 s2, exec_lo
	s_barrier_signal -1
	s_barrier_wait -1
	v_lshl_or_b32 v2, v5, 2, 64
	v_cmp_gt_u32_e32 vcc_lo, 24, v5
	ds_bpermute_b32 v4, v2, v1
	v_cndmask_b32_e64 v3, 0, 8, vcc_lo
	v_cmp_gt_u32_e32 vcc_lo, 28, v5
	s_delay_alu instid0(VALU_DEP_2)
	v_add_lshl_u32 v3, v3, v5, 2
	s_wait_dscnt 0x0
	v_add_f32_e32 v4, v1, v4
	v_cndmask_b32_e64 v1, 0, 4, vcc_lo
	v_cmp_gt_u32_e32 vcc_lo, 30, v5
	ds_bpermute_b32 v6, v3, v4
	v_add_lshl_u32 v1, v1, v5, 2
	s_wait_dscnt 0x0
	v_add_f32_e32 v6, v4, v6
	v_cndmask_b32_e64 v4, 0, 2, vcc_lo
	v_cmp_ne_u32_e32 vcc_lo, 31, v5
	s_delay_alu instid0(VALU_DEP_2) | instskip(SKIP_1) | instid1(VALU_DEP_1)
	v_add_lshl_u32 v4, v4, v5, 2
	v_add_co_ci_u32_e64 v5, null, 0, v5, vcc_lo
	v_lshlrev_b32_e32 v5, 2, v5
	ds_bpermute_b32 v7, v1, v6
	s_wait_dscnt 0x0
	v_add_f32_e32 v6, v6, v7
	ds_bpermute_b32 v7, v4, v6
	s_wait_dscnt 0x0
	v_dual_add_f32 v7, v6, v7 :: v_dual_bitop2_b32 v6, 31, v0 bitop3:0x40
	ds_bpermute_b32 v8, v5, v7
	v_cmpx_eq_u32_e32 0, v6
	s_cbranch_execz .LBB178_6
; %bb.5:
	s_wait_dscnt 0x0
	v_add_f32_e32 v7, v7, v8
	v_lshrrev_b32_e32 v8, 3, v0
	ds_store_b32 v8, v7
.LBB178_6:
	s_or_b32 exec_lo, exec_lo, s2
	s_wait_dscnt 0x0
	s_barrier_signal -1
	s_barrier_wait -1
	s_load_b32 s2, s[0:1], 0xc9c
	v_mov_b32_e32 v7, 0
	s_wait_kmcnt 0x0
	s_bfe_u32 s2, s2, 0xb0005
	s_delay_alu instid0(SALU_CYCLE_1)
	v_cmp_gt_u32_e32 vcc_lo, s2, v0
	s_and_saveexec_b32 s2, vcc_lo
; %bb.7:
	v_lshlrev_b32_e32 v6, 2, v6
	ds_load_b32 v7, v6
; %bb.8:
	s_or_b32 exec_lo, exec_lo, s2
	s_delay_alu instid0(SALU_CYCLE_1)
	s_mov_b32 s2, exec_lo
	v_cmpx_gt_u32_e32 32, v0
	s_cbranch_execz .LBB178_10
; %bb.9:
	s_wait_dscnt 0x0
	ds_bpermute_b32 v2, v2, v7
	s_wait_dscnt 0x0
	v_add_f32_e32 v2, v7, v2
	ds_bpermute_b32 v3, v3, v2
	s_wait_dscnt 0x0
	v_add_f32_e32 v2, v2, v3
	;; [unrolled: 3-line block ×5, first 2 shown]
.LBB178_10:
	s_or_b32 exec_lo, exec_lo, s2
	s_delay_alu instid0(SALU_CYCLE_1)
	s_mov_b32 s2, exec_lo
	v_cmpx_eq_u32_e32 0, v0
	s_cbranch_execz .LBB178_12
; %bb.11:
	s_load_b64 s[0:1], s[0:1], s8 offset:0x8 scale_offset
	s_wait_dscnt 0x0
	v_cvt_f16_f32_e32 v0, v7
	v_mov_b32_e32 v1, 0
	s_wait_kmcnt 0x0
	global_store_b16 v1, v0, s[0:1]
.LBB178_12:
	s_endpgm
	.section	.rodata,"a",@progbits
	.p2align	6, 0x0
	.amdhsa_kernel _ZN2at6native14lpnorm_cleanupIN3c104HalfELNS0_8NormTypeE0ES3_Lb0EfEEvPKT3_NS0_19TensorListAddressesEi
		.amdhsa_group_segment_fixed_size 2048
		.amdhsa_private_segment_fixed_size 0
		.amdhsa_kernarg_size 3472
		.amdhsa_user_sgpr_count 2
		.amdhsa_user_sgpr_dispatch_ptr 0
		.amdhsa_user_sgpr_queue_ptr 0
		.amdhsa_user_sgpr_kernarg_segment_ptr 1
		.amdhsa_user_sgpr_dispatch_id 0
		.amdhsa_user_sgpr_kernarg_preload_length 0
		.amdhsa_user_sgpr_kernarg_preload_offset 0
		.amdhsa_user_sgpr_private_segment_size 0
		.amdhsa_wavefront_size32 1
		.amdhsa_uses_dynamic_stack 0
		.amdhsa_enable_private_segment 0
		.amdhsa_system_sgpr_workgroup_id_x 1
		.amdhsa_system_sgpr_workgroup_id_y 0
		.amdhsa_system_sgpr_workgroup_id_z 0
		.amdhsa_system_sgpr_workgroup_info 0
		.amdhsa_system_vgpr_workitem_id 0
		.amdhsa_next_free_vgpr 9
		.amdhsa_next_free_sgpr 12
		.amdhsa_named_barrier_count 0
		.amdhsa_reserve_vcc 1
		.amdhsa_float_round_mode_32 0
		.amdhsa_float_round_mode_16_64 0
		.amdhsa_float_denorm_mode_32 3
		.amdhsa_float_denorm_mode_16_64 3
		.amdhsa_fp16_overflow 0
		.amdhsa_memory_ordered 1
		.amdhsa_forward_progress 1
		.amdhsa_inst_pref_size 6
		.amdhsa_round_robin_scheduling 0
		.amdhsa_exception_fp_ieee_invalid_op 0
		.amdhsa_exception_fp_denorm_src 0
		.amdhsa_exception_fp_ieee_div_zero 0
		.amdhsa_exception_fp_ieee_overflow 0
		.amdhsa_exception_fp_ieee_underflow 0
		.amdhsa_exception_fp_ieee_inexact 0
		.amdhsa_exception_int_div_zero 0
	.end_amdhsa_kernel
	.section	.text._ZN2at6native14lpnorm_cleanupIN3c104HalfELNS0_8NormTypeE0ES3_Lb0EfEEvPKT3_NS0_19TensorListAddressesEi,"axG",@progbits,_ZN2at6native14lpnorm_cleanupIN3c104HalfELNS0_8NormTypeE0ES3_Lb0EfEEvPKT3_NS0_19TensorListAddressesEi,comdat
.Lfunc_end178:
	.size	_ZN2at6native14lpnorm_cleanupIN3c104HalfELNS0_8NormTypeE0ES3_Lb0EfEEvPKT3_NS0_19TensorListAddressesEi, .Lfunc_end178-_ZN2at6native14lpnorm_cleanupIN3c104HalfELNS0_8NormTypeE0ES3_Lb0EfEEvPKT3_NS0_19TensorListAddressesEi
                                        ; -- End function
	.set _ZN2at6native14lpnorm_cleanupIN3c104HalfELNS0_8NormTypeE0ES3_Lb0EfEEvPKT3_NS0_19TensorListAddressesEi.num_vgpr, 9
	.set _ZN2at6native14lpnorm_cleanupIN3c104HalfELNS0_8NormTypeE0ES3_Lb0EfEEvPKT3_NS0_19TensorListAddressesEi.num_agpr, 0
	.set _ZN2at6native14lpnorm_cleanupIN3c104HalfELNS0_8NormTypeE0ES3_Lb0EfEEvPKT3_NS0_19TensorListAddressesEi.numbered_sgpr, 12
	.set _ZN2at6native14lpnorm_cleanupIN3c104HalfELNS0_8NormTypeE0ES3_Lb0EfEEvPKT3_NS0_19TensorListAddressesEi.num_named_barrier, 0
	.set _ZN2at6native14lpnorm_cleanupIN3c104HalfELNS0_8NormTypeE0ES3_Lb0EfEEvPKT3_NS0_19TensorListAddressesEi.private_seg_size, 0
	.set _ZN2at6native14lpnorm_cleanupIN3c104HalfELNS0_8NormTypeE0ES3_Lb0EfEEvPKT3_NS0_19TensorListAddressesEi.uses_vcc, 1
	.set _ZN2at6native14lpnorm_cleanupIN3c104HalfELNS0_8NormTypeE0ES3_Lb0EfEEvPKT3_NS0_19TensorListAddressesEi.uses_flat_scratch, 0
	.set _ZN2at6native14lpnorm_cleanupIN3c104HalfELNS0_8NormTypeE0ES3_Lb0EfEEvPKT3_NS0_19TensorListAddressesEi.has_dyn_sized_stack, 0
	.set _ZN2at6native14lpnorm_cleanupIN3c104HalfELNS0_8NormTypeE0ES3_Lb0EfEEvPKT3_NS0_19TensorListAddressesEi.has_recursion, 0
	.set _ZN2at6native14lpnorm_cleanupIN3c104HalfELNS0_8NormTypeE0ES3_Lb0EfEEvPKT3_NS0_19TensorListAddressesEi.has_indirect_call, 0
	.section	.AMDGPU.csdata,"",@progbits
; Kernel info:
; codeLenInByte = 672
; TotalNumSgprs: 14
; NumVgprs: 9
; ScratchSize: 0
; MemoryBound: 0
; FloatMode: 240
; IeeeMode: 1
; LDSByteSize: 2048 bytes/workgroup (compile time only)
; SGPRBlocks: 0
; VGPRBlocks: 0
; NumSGPRsForWavesPerEU: 14
; NumVGPRsForWavesPerEU: 9
; NamedBarCnt: 0
; Occupancy: 16
; WaveLimiterHint : 0
; COMPUTE_PGM_RSRC2:SCRATCH_EN: 0
; COMPUTE_PGM_RSRC2:USER_SGPR: 2
; COMPUTE_PGM_RSRC2:TRAP_HANDLER: 0
; COMPUTE_PGM_RSRC2:TGID_X_EN: 1
; COMPUTE_PGM_RSRC2:TGID_Y_EN: 0
; COMPUTE_PGM_RSRC2:TGID_Z_EN: 0
; COMPUTE_PGM_RSRC2:TIDIG_COMP_CNT: 0
	.section	.text._ZN2at6native14lpnorm_cleanupIN3c104HalfELNS0_8NormTypeE1ES3_Lb0EfEEvPKT3_NS0_19TensorListAddressesEi,"axG",@progbits,_ZN2at6native14lpnorm_cleanupIN3c104HalfELNS0_8NormTypeE1ES3_Lb0EfEEvPKT3_NS0_19TensorListAddressesEi,comdat
	.protected	_ZN2at6native14lpnorm_cleanupIN3c104HalfELNS0_8NormTypeE1ES3_Lb0EfEEvPKT3_NS0_19TensorListAddressesEi ; -- Begin function _ZN2at6native14lpnorm_cleanupIN3c104HalfELNS0_8NormTypeE1ES3_Lb0EfEEvPKT3_NS0_19TensorListAddressesEi
	.globl	_ZN2at6native14lpnorm_cleanupIN3c104HalfELNS0_8NormTypeE1ES3_Lb0EfEEvPKT3_NS0_19TensorListAddressesEi
	.p2align	8
	.type	_ZN2at6native14lpnorm_cleanupIN3c104HalfELNS0_8NormTypeE1ES3_Lb0EfEEvPKT3_NS0_19TensorListAddressesEi,@function
_ZN2at6native14lpnorm_cleanupIN3c104HalfELNS0_8NormTypeE1ES3_Lb0EfEEvPKT3_NS0_19TensorListAddressesEi: ; @_ZN2at6native14lpnorm_cleanupIN3c104HalfELNS0_8NormTypeE1ES3_Lb0EfEEvPKT3_NS0_19TensorListAddressesEi
; %bb.0:
	s_load_b32 s2, s[0:1], 0xc88
	s_bfe_u32 s3, ttmp6, 0x4000c
	s_and_b32 s4, ttmp6, 15
	s_add_co_i32 s3, s3, 1
	s_getreg_b32 s5, hwreg(HW_REG_IB_STS2, 6, 4)
	s_mul_i32 s3, ttmp9, s3
	v_mov_b32_e32 v1, 0
	s_add_co_i32 s4, s4, s3
	s_cmp_eq_u32 s5, 0
	s_mov_b32 s5, 0
	s_cselect_b32 s8, ttmp9, s4
	s_mov_b32 s9, exec_lo
	s_wait_kmcnt 0x0
	v_cmpx_gt_u32_e64 s2, v0
	s_cbranch_execz .LBB179_4
; %bb.1:
	s_clause 0x1
	s_load_b64 s[6:7], s[0:1], 0x0
	s_load_b32 s4, s[0:1], 0xc9c
	v_dual_mov_b32 v1, 0 :: v_dual_lshlrev_b32 v2, 2, v0
	s_mul_i32 s10, s2, s8
	s_mov_b32 s11, s5
	s_ashr_i32 s3, s2, 31
	s_delay_alu instid0(VALU_DEP_1)
	v_mov_b32_e32 v3, v1
	s_lshl_b64 s[10:11], s[10:11], 2
	v_mov_b64_e32 v[4:5], v[0:1]
	s_wait_kmcnt 0x0
	s_add_nc_u64 s[6:7], s[6:7], s[10:11]
	s_and_b32 s4, s4, 0xffff
	v_add_nc_u64_e32 v[2:3], s[6:7], v[2:3]
	s_lshl_b32 s6, s4, 2
	s_mov_b32 s7, s5
	s_mov_b32 s10, s5
.LBB179_2:                              ; =>This Inner Loop Header: Depth=1
	global_load_b32 v6, v[2:3], off
	v_add_nc_u64_e32 v[4:5], s[4:5], v[4:5]
	s_wait_xcnt 0x0
	v_add_nc_u64_e32 v[2:3], s[6:7], v[2:3]
	s_delay_alu instid0(VALU_DEP_2)
	v_cmp_le_u64_e32 vcc_lo, s[2:3], v[4:5]
	s_or_b32 s10, vcc_lo, s10
	s_wait_loadcnt 0x0
	v_add_f32_e32 v1, v1, v6
	s_and_not1_b32 exec_lo, exec_lo, s10
	s_cbranch_execnz .LBB179_2
; %bb.3:
	s_or_b32 exec_lo, exec_lo, s10
.LBB179_4:
	s_delay_alu instid0(SALU_CYCLE_1) | instskip(SKIP_4) | instid1(VALU_DEP_1)
	s_or_b32 exec_lo, exec_lo, s9
	v_mbcnt_lo_u32_b32 v5, -1, 0
	s_mov_b32 s2, exec_lo
	s_barrier_signal -1
	s_barrier_wait -1
	v_lshl_or_b32 v2, v5, 2, 64
	v_cmp_gt_u32_e32 vcc_lo, 24, v5
	ds_bpermute_b32 v4, v2, v1
	v_cndmask_b32_e64 v3, 0, 8, vcc_lo
	v_cmp_gt_u32_e32 vcc_lo, 28, v5
	s_delay_alu instid0(VALU_DEP_2)
	v_add_lshl_u32 v3, v3, v5, 2
	s_wait_dscnt 0x0
	v_add_f32_e32 v4, v1, v4
	v_cndmask_b32_e64 v1, 0, 4, vcc_lo
	v_cmp_gt_u32_e32 vcc_lo, 30, v5
	ds_bpermute_b32 v6, v3, v4
	v_add_lshl_u32 v1, v1, v5, 2
	s_wait_dscnt 0x0
	v_add_f32_e32 v6, v4, v6
	v_cndmask_b32_e64 v4, 0, 2, vcc_lo
	v_cmp_ne_u32_e32 vcc_lo, 31, v5
	s_delay_alu instid0(VALU_DEP_2) | instskip(SKIP_1) | instid1(VALU_DEP_1)
	v_add_lshl_u32 v4, v4, v5, 2
	v_add_co_ci_u32_e64 v5, null, 0, v5, vcc_lo
	v_lshlrev_b32_e32 v5, 2, v5
	ds_bpermute_b32 v7, v1, v6
	s_wait_dscnt 0x0
	v_add_f32_e32 v6, v6, v7
	ds_bpermute_b32 v7, v4, v6
	s_wait_dscnt 0x0
	v_dual_add_f32 v7, v6, v7 :: v_dual_bitop2_b32 v6, 31, v0 bitop3:0x40
	ds_bpermute_b32 v8, v5, v7
	v_cmpx_eq_u32_e32 0, v6
	s_cbranch_execz .LBB179_6
; %bb.5:
	s_wait_dscnt 0x0
	v_add_f32_e32 v7, v7, v8
	v_lshrrev_b32_e32 v8, 3, v0
	ds_store_b32 v8, v7
.LBB179_6:
	s_or_b32 exec_lo, exec_lo, s2
	s_wait_dscnt 0x0
	s_barrier_signal -1
	s_barrier_wait -1
	s_load_b32 s2, s[0:1], 0xc9c
	v_mov_b32_e32 v7, 0
	s_wait_kmcnt 0x0
	s_bfe_u32 s2, s2, 0xb0005
	s_delay_alu instid0(SALU_CYCLE_1)
	v_cmp_gt_u32_e32 vcc_lo, s2, v0
	s_and_saveexec_b32 s2, vcc_lo
; %bb.7:
	v_lshlrev_b32_e32 v6, 2, v6
	ds_load_b32 v7, v6
; %bb.8:
	s_or_b32 exec_lo, exec_lo, s2
	s_delay_alu instid0(SALU_CYCLE_1)
	s_mov_b32 s2, exec_lo
	v_cmpx_gt_u32_e32 32, v0
	s_cbranch_execz .LBB179_10
; %bb.9:
	s_wait_dscnt 0x0
	ds_bpermute_b32 v2, v2, v7
	s_wait_dscnt 0x0
	v_add_f32_e32 v2, v7, v2
	ds_bpermute_b32 v3, v3, v2
	s_wait_dscnt 0x0
	v_add_f32_e32 v2, v2, v3
	;; [unrolled: 3-line block ×5, first 2 shown]
.LBB179_10:
	s_or_b32 exec_lo, exec_lo, s2
	s_delay_alu instid0(SALU_CYCLE_1)
	s_mov_b32 s2, exec_lo
	v_cmpx_eq_u32_e32 0, v0
	s_cbranch_execz .LBB179_12
; %bb.11:
	s_load_b64 s[0:1], s[0:1], s8 offset:0x8 scale_offset
	s_wait_dscnt 0x0
	v_cvt_f16_f32_e32 v0, v7
	v_mov_b32_e32 v1, 0
	s_wait_kmcnt 0x0
	global_store_b16 v1, v0, s[0:1]
.LBB179_12:
	s_endpgm
	.section	.rodata,"a",@progbits
	.p2align	6, 0x0
	.amdhsa_kernel _ZN2at6native14lpnorm_cleanupIN3c104HalfELNS0_8NormTypeE1ES3_Lb0EfEEvPKT3_NS0_19TensorListAddressesEi
		.amdhsa_group_segment_fixed_size 2048
		.amdhsa_private_segment_fixed_size 0
		.amdhsa_kernarg_size 3472
		.amdhsa_user_sgpr_count 2
		.amdhsa_user_sgpr_dispatch_ptr 0
		.amdhsa_user_sgpr_queue_ptr 0
		.amdhsa_user_sgpr_kernarg_segment_ptr 1
		.amdhsa_user_sgpr_dispatch_id 0
		.amdhsa_user_sgpr_kernarg_preload_length 0
		.amdhsa_user_sgpr_kernarg_preload_offset 0
		.amdhsa_user_sgpr_private_segment_size 0
		.amdhsa_wavefront_size32 1
		.amdhsa_uses_dynamic_stack 0
		.amdhsa_enable_private_segment 0
		.amdhsa_system_sgpr_workgroup_id_x 1
		.amdhsa_system_sgpr_workgroup_id_y 0
		.amdhsa_system_sgpr_workgroup_id_z 0
		.amdhsa_system_sgpr_workgroup_info 0
		.amdhsa_system_vgpr_workitem_id 0
		.amdhsa_next_free_vgpr 9
		.amdhsa_next_free_sgpr 12
		.amdhsa_named_barrier_count 0
		.amdhsa_reserve_vcc 1
		.amdhsa_float_round_mode_32 0
		.amdhsa_float_round_mode_16_64 0
		.amdhsa_float_denorm_mode_32 3
		.amdhsa_float_denorm_mode_16_64 3
		.amdhsa_fp16_overflow 0
		.amdhsa_memory_ordered 1
		.amdhsa_forward_progress 1
		.amdhsa_inst_pref_size 6
		.amdhsa_round_robin_scheduling 0
		.amdhsa_exception_fp_ieee_invalid_op 0
		.amdhsa_exception_fp_denorm_src 0
		.amdhsa_exception_fp_ieee_div_zero 0
		.amdhsa_exception_fp_ieee_overflow 0
		.amdhsa_exception_fp_ieee_underflow 0
		.amdhsa_exception_fp_ieee_inexact 0
		.amdhsa_exception_int_div_zero 0
	.end_amdhsa_kernel
	.section	.text._ZN2at6native14lpnorm_cleanupIN3c104HalfELNS0_8NormTypeE1ES3_Lb0EfEEvPKT3_NS0_19TensorListAddressesEi,"axG",@progbits,_ZN2at6native14lpnorm_cleanupIN3c104HalfELNS0_8NormTypeE1ES3_Lb0EfEEvPKT3_NS0_19TensorListAddressesEi,comdat
.Lfunc_end179:
	.size	_ZN2at6native14lpnorm_cleanupIN3c104HalfELNS0_8NormTypeE1ES3_Lb0EfEEvPKT3_NS0_19TensorListAddressesEi, .Lfunc_end179-_ZN2at6native14lpnorm_cleanupIN3c104HalfELNS0_8NormTypeE1ES3_Lb0EfEEvPKT3_NS0_19TensorListAddressesEi
                                        ; -- End function
	.set _ZN2at6native14lpnorm_cleanupIN3c104HalfELNS0_8NormTypeE1ES3_Lb0EfEEvPKT3_NS0_19TensorListAddressesEi.num_vgpr, 9
	.set _ZN2at6native14lpnorm_cleanupIN3c104HalfELNS0_8NormTypeE1ES3_Lb0EfEEvPKT3_NS0_19TensorListAddressesEi.num_agpr, 0
	.set _ZN2at6native14lpnorm_cleanupIN3c104HalfELNS0_8NormTypeE1ES3_Lb0EfEEvPKT3_NS0_19TensorListAddressesEi.numbered_sgpr, 12
	.set _ZN2at6native14lpnorm_cleanupIN3c104HalfELNS0_8NormTypeE1ES3_Lb0EfEEvPKT3_NS0_19TensorListAddressesEi.num_named_barrier, 0
	.set _ZN2at6native14lpnorm_cleanupIN3c104HalfELNS0_8NormTypeE1ES3_Lb0EfEEvPKT3_NS0_19TensorListAddressesEi.private_seg_size, 0
	.set _ZN2at6native14lpnorm_cleanupIN3c104HalfELNS0_8NormTypeE1ES3_Lb0EfEEvPKT3_NS0_19TensorListAddressesEi.uses_vcc, 1
	.set _ZN2at6native14lpnorm_cleanupIN3c104HalfELNS0_8NormTypeE1ES3_Lb0EfEEvPKT3_NS0_19TensorListAddressesEi.uses_flat_scratch, 0
	.set _ZN2at6native14lpnorm_cleanupIN3c104HalfELNS0_8NormTypeE1ES3_Lb0EfEEvPKT3_NS0_19TensorListAddressesEi.has_dyn_sized_stack, 0
	.set _ZN2at6native14lpnorm_cleanupIN3c104HalfELNS0_8NormTypeE1ES3_Lb0EfEEvPKT3_NS0_19TensorListAddressesEi.has_recursion, 0
	.set _ZN2at6native14lpnorm_cleanupIN3c104HalfELNS0_8NormTypeE1ES3_Lb0EfEEvPKT3_NS0_19TensorListAddressesEi.has_indirect_call, 0
	.section	.AMDGPU.csdata,"",@progbits
; Kernel info:
; codeLenInByte = 672
; TotalNumSgprs: 14
; NumVgprs: 9
; ScratchSize: 0
; MemoryBound: 0
; FloatMode: 240
; IeeeMode: 1
; LDSByteSize: 2048 bytes/workgroup (compile time only)
; SGPRBlocks: 0
; VGPRBlocks: 0
; NumSGPRsForWavesPerEU: 14
; NumVGPRsForWavesPerEU: 9
; NamedBarCnt: 0
; Occupancy: 16
; WaveLimiterHint : 0
; COMPUTE_PGM_RSRC2:SCRATCH_EN: 0
; COMPUTE_PGM_RSRC2:USER_SGPR: 2
; COMPUTE_PGM_RSRC2:TRAP_HANDLER: 0
; COMPUTE_PGM_RSRC2:TGID_X_EN: 1
; COMPUTE_PGM_RSRC2:TGID_Y_EN: 0
; COMPUTE_PGM_RSRC2:TGID_Z_EN: 0
; COMPUTE_PGM_RSRC2:TIDIG_COMP_CNT: 0
	.section	.text._ZN2at6native14lpnorm_cleanupIN3c104HalfELNS0_8NormTypeE2ES3_Lb0EfEEvPKT3_NS0_19TensorListAddressesEi,"axG",@progbits,_ZN2at6native14lpnorm_cleanupIN3c104HalfELNS0_8NormTypeE2ES3_Lb0EfEEvPKT3_NS0_19TensorListAddressesEi,comdat
	.protected	_ZN2at6native14lpnorm_cleanupIN3c104HalfELNS0_8NormTypeE2ES3_Lb0EfEEvPKT3_NS0_19TensorListAddressesEi ; -- Begin function _ZN2at6native14lpnorm_cleanupIN3c104HalfELNS0_8NormTypeE2ES3_Lb0EfEEvPKT3_NS0_19TensorListAddressesEi
	.globl	_ZN2at6native14lpnorm_cleanupIN3c104HalfELNS0_8NormTypeE2ES3_Lb0EfEEvPKT3_NS0_19TensorListAddressesEi
	.p2align	8
	.type	_ZN2at6native14lpnorm_cleanupIN3c104HalfELNS0_8NormTypeE2ES3_Lb0EfEEvPKT3_NS0_19TensorListAddressesEi,@function
_ZN2at6native14lpnorm_cleanupIN3c104HalfELNS0_8NormTypeE2ES3_Lb0EfEEvPKT3_NS0_19TensorListAddressesEi: ; @_ZN2at6native14lpnorm_cleanupIN3c104HalfELNS0_8NormTypeE2ES3_Lb0EfEEvPKT3_NS0_19TensorListAddressesEi
; %bb.0:
	s_load_b32 s2, s[0:1], 0xc88
	s_bfe_u32 s3, ttmp6, 0x4000c
	s_and_b32 s4, ttmp6, 15
	s_add_co_i32 s3, s3, 1
	s_getreg_b32 s5, hwreg(HW_REG_IB_STS2, 6, 4)
	s_mul_i32 s3, ttmp9, s3
	v_mov_b32_e32 v1, 0
	s_add_co_i32 s4, s4, s3
	s_cmp_eq_u32 s5, 0
	s_mov_b32 s5, 0
	s_cselect_b32 s8, ttmp9, s4
	s_mov_b32 s9, exec_lo
	s_wait_kmcnt 0x0
	v_cmpx_gt_u32_e64 s2, v0
	s_cbranch_execz .LBB180_4
; %bb.1:
	s_clause 0x1
	s_load_b64 s[6:7], s[0:1], 0x0
	s_load_b32 s4, s[0:1], 0xc9c
	v_dual_mov_b32 v1, 0 :: v_dual_lshlrev_b32 v2, 2, v0
	s_mul_i32 s10, s2, s8
	s_mov_b32 s11, s5
	s_ashr_i32 s3, s2, 31
	s_delay_alu instid0(VALU_DEP_1)
	v_mov_b32_e32 v3, v1
	s_lshl_b64 s[10:11], s[10:11], 2
	v_mov_b64_e32 v[4:5], v[0:1]
	s_wait_kmcnt 0x0
	s_add_nc_u64 s[6:7], s[6:7], s[10:11]
	s_and_b32 s4, s4, 0xffff
	v_add_nc_u64_e32 v[2:3], s[6:7], v[2:3]
	s_lshl_b32 s6, s4, 2
	s_mov_b32 s7, s5
	s_mov_b32 s10, s5
.LBB180_2:                              ; =>This Inner Loop Header: Depth=1
	global_load_b32 v6, v[2:3], off
	v_add_nc_u64_e32 v[4:5], s[4:5], v[4:5]
	s_wait_xcnt 0x0
	v_add_nc_u64_e32 v[2:3], s[6:7], v[2:3]
	s_delay_alu instid0(VALU_DEP_2)
	v_cmp_le_u64_e32 vcc_lo, s[2:3], v[4:5]
	s_or_b32 s10, vcc_lo, s10
	s_wait_loadcnt 0x0
	v_add_f32_e32 v1, v1, v6
	s_and_not1_b32 exec_lo, exec_lo, s10
	s_cbranch_execnz .LBB180_2
; %bb.3:
	s_or_b32 exec_lo, exec_lo, s10
.LBB180_4:
	s_delay_alu instid0(SALU_CYCLE_1) | instskip(SKIP_4) | instid1(VALU_DEP_1)
	s_or_b32 exec_lo, exec_lo, s9
	v_mbcnt_lo_u32_b32 v5, -1, 0
	s_mov_b32 s2, exec_lo
	s_barrier_signal -1
	s_barrier_wait -1
	v_lshl_or_b32 v2, v5, 2, 64
	v_cmp_gt_u32_e32 vcc_lo, 24, v5
	ds_bpermute_b32 v4, v2, v1
	v_cndmask_b32_e64 v3, 0, 8, vcc_lo
	v_cmp_gt_u32_e32 vcc_lo, 28, v5
	s_delay_alu instid0(VALU_DEP_2)
	v_add_lshl_u32 v3, v3, v5, 2
	s_wait_dscnt 0x0
	v_add_f32_e32 v4, v1, v4
	v_cndmask_b32_e64 v1, 0, 4, vcc_lo
	v_cmp_gt_u32_e32 vcc_lo, 30, v5
	ds_bpermute_b32 v6, v3, v4
	v_add_lshl_u32 v1, v1, v5, 2
	s_wait_dscnt 0x0
	v_add_f32_e32 v6, v4, v6
	v_cndmask_b32_e64 v4, 0, 2, vcc_lo
	v_cmp_ne_u32_e32 vcc_lo, 31, v5
	s_delay_alu instid0(VALU_DEP_2) | instskip(SKIP_1) | instid1(VALU_DEP_1)
	v_add_lshl_u32 v4, v4, v5, 2
	v_add_co_ci_u32_e64 v5, null, 0, v5, vcc_lo
	v_lshlrev_b32_e32 v5, 2, v5
	ds_bpermute_b32 v7, v1, v6
	s_wait_dscnt 0x0
	v_add_f32_e32 v6, v6, v7
	ds_bpermute_b32 v7, v4, v6
	s_wait_dscnt 0x0
	v_dual_add_f32 v7, v6, v7 :: v_dual_bitop2_b32 v6, 31, v0 bitop3:0x40
	ds_bpermute_b32 v8, v5, v7
	v_cmpx_eq_u32_e32 0, v6
	s_cbranch_execz .LBB180_6
; %bb.5:
	s_wait_dscnt 0x0
	v_add_f32_e32 v7, v7, v8
	v_lshrrev_b32_e32 v8, 3, v0
	ds_store_b32 v8, v7
.LBB180_6:
	s_or_b32 exec_lo, exec_lo, s2
	s_wait_dscnt 0x0
	s_barrier_signal -1
	s_barrier_wait -1
	s_load_b32 s2, s[0:1], 0xc9c
	v_mov_b32_e32 v7, 0
	s_wait_kmcnt 0x0
	s_bfe_u32 s2, s2, 0xb0005
	s_delay_alu instid0(SALU_CYCLE_1)
	v_cmp_gt_u32_e32 vcc_lo, s2, v0
	s_and_saveexec_b32 s2, vcc_lo
; %bb.7:
	v_lshlrev_b32_e32 v6, 2, v6
	ds_load_b32 v7, v6
; %bb.8:
	s_or_b32 exec_lo, exec_lo, s2
	s_delay_alu instid0(SALU_CYCLE_1)
	s_mov_b32 s2, exec_lo
	v_cmpx_gt_u32_e32 32, v0
	s_cbranch_execz .LBB180_10
; %bb.9:
	s_wait_dscnt 0x0
	ds_bpermute_b32 v2, v2, v7
	s_wait_dscnt 0x0
	v_add_f32_e32 v2, v7, v2
	ds_bpermute_b32 v3, v3, v2
	s_wait_dscnt 0x0
	v_add_f32_e32 v2, v2, v3
	;; [unrolled: 3-line block ×5, first 2 shown]
.LBB180_10:
	s_or_b32 exec_lo, exec_lo, s2
	s_delay_alu instid0(SALU_CYCLE_1)
	s_mov_b32 s2, exec_lo
	v_cmpx_eq_u32_e32 0, v0
	s_cbranch_execz .LBB180_12
; %bb.11:
	s_load_b64 s[0:1], s[0:1], s8 offset:0x8 scale_offset
	s_wait_dscnt 0x0
	v_cvt_f16_f32_e32 v0, v7
	v_mov_b32_e32 v1, 0
	s_wait_kmcnt 0x0
	global_store_b16 v1, v0, s[0:1]
.LBB180_12:
	s_endpgm
	.section	.rodata,"a",@progbits
	.p2align	6, 0x0
	.amdhsa_kernel _ZN2at6native14lpnorm_cleanupIN3c104HalfELNS0_8NormTypeE2ES3_Lb0EfEEvPKT3_NS0_19TensorListAddressesEi
		.amdhsa_group_segment_fixed_size 2048
		.amdhsa_private_segment_fixed_size 0
		.amdhsa_kernarg_size 3472
		.amdhsa_user_sgpr_count 2
		.amdhsa_user_sgpr_dispatch_ptr 0
		.amdhsa_user_sgpr_queue_ptr 0
		.amdhsa_user_sgpr_kernarg_segment_ptr 1
		.amdhsa_user_sgpr_dispatch_id 0
		.amdhsa_user_sgpr_kernarg_preload_length 0
		.amdhsa_user_sgpr_kernarg_preload_offset 0
		.amdhsa_user_sgpr_private_segment_size 0
		.amdhsa_wavefront_size32 1
		.amdhsa_uses_dynamic_stack 0
		.amdhsa_enable_private_segment 0
		.amdhsa_system_sgpr_workgroup_id_x 1
		.amdhsa_system_sgpr_workgroup_id_y 0
		.amdhsa_system_sgpr_workgroup_id_z 0
		.amdhsa_system_sgpr_workgroup_info 0
		.amdhsa_system_vgpr_workitem_id 0
		.amdhsa_next_free_vgpr 9
		.amdhsa_next_free_sgpr 12
		.amdhsa_named_barrier_count 0
		.amdhsa_reserve_vcc 1
		.amdhsa_float_round_mode_32 0
		.amdhsa_float_round_mode_16_64 0
		.amdhsa_float_denorm_mode_32 3
		.amdhsa_float_denorm_mode_16_64 3
		.amdhsa_fp16_overflow 0
		.amdhsa_memory_ordered 1
		.amdhsa_forward_progress 1
		.amdhsa_inst_pref_size 6
		.amdhsa_round_robin_scheduling 0
		.amdhsa_exception_fp_ieee_invalid_op 0
		.amdhsa_exception_fp_denorm_src 0
		.amdhsa_exception_fp_ieee_div_zero 0
		.amdhsa_exception_fp_ieee_overflow 0
		.amdhsa_exception_fp_ieee_underflow 0
		.amdhsa_exception_fp_ieee_inexact 0
		.amdhsa_exception_int_div_zero 0
	.end_amdhsa_kernel
	.section	.text._ZN2at6native14lpnorm_cleanupIN3c104HalfELNS0_8NormTypeE2ES3_Lb0EfEEvPKT3_NS0_19TensorListAddressesEi,"axG",@progbits,_ZN2at6native14lpnorm_cleanupIN3c104HalfELNS0_8NormTypeE2ES3_Lb0EfEEvPKT3_NS0_19TensorListAddressesEi,comdat
.Lfunc_end180:
	.size	_ZN2at6native14lpnorm_cleanupIN3c104HalfELNS0_8NormTypeE2ES3_Lb0EfEEvPKT3_NS0_19TensorListAddressesEi, .Lfunc_end180-_ZN2at6native14lpnorm_cleanupIN3c104HalfELNS0_8NormTypeE2ES3_Lb0EfEEvPKT3_NS0_19TensorListAddressesEi
                                        ; -- End function
	.set _ZN2at6native14lpnorm_cleanupIN3c104HalfELNS0_8NormTypeE2ES3_Lb0EfEEvPKT3_NS0_19TensorListAddressesEi.num_vgpr, 9
	.set _ZN2at6native14lpnorm_cleanupIN3c104HalfELNS0_8NormTypeE2ES3_Lb0EfEEvPKT3_NS0_19TensorListAddressesEi.num_agpr, 0
	.set _ZN2at6native14lpnorm_cleanupIN3c104HalfELNS0_8NormTypeE2ES3_Lb0EfEEvPKT3_NS0_19TensorListAddressesEi.numbered_sgpr, 12
	.set _ZN2at6native14lpnorm_cleanupIN3c104HalfELNS0_8NormTypeE2ES3_Lb0EfEEvPKT3_NS0_19TensorListAddressesEi.num_named_barrier, 0
	.set _ZN2at6native14lpnorm_cleanupIN3c104HalfELNS0_8NormTypeE2ES3_Lb0EfEEvPKT3_NS0_19TensorListAddressesEi.private_seg_size, 0
	.set _ZN2at6native14lpnorm_cleanupIN3c104HalfELNS0_8NormTypeE2ES3_Lb0EfEEvPKT3_NS0_19TensorListAddressesEi.uses_vcc, 1
	.set _ZN2at6native14lpnorm_cleanupIN3c104HalfELNS0_8NormTypeE2ES3_Lb0EfEEvPKT3_NS0_19TensorListAddressesEi.uses_flat_scratch, 0
	.set _ZN2at6native14lpnorm_cleanupIN3c104HalfELNS0_8NormTypeE2ES3_Lb0EfEEvPKT3_NS0_19TensorListAddressesEi.has_dyn_sized_stack, 0
	.set _ZN2at6native14lpnorm_cleanupIN3c104HalfELNS0_8NormTypeE2ES3_Lb0EfEEvPKT3_NS0_19TensorListAddressesEi.has_recursion, 0
	.set _ZN2at6native14lpnorm_cleanupIN3c104HalfELNS0_8NormTypeE2ES3_Lb0EfEEvPKT3_NS0_19TensorListAddressesEi.has_indirect_call, 0
	.section	.AMDGPU.csdata,"",@progbits
; Kernel info:
; codeLenInByte = 672
; TotalNumSgprs: 14
; NumVgprs: 9
; ScratchSize: 0
; MemoryBound: 0
; FloatMode: 240
; IeeeMode: 1
; LDSByteSize: 2048 bytes/workgroup (compile time only)
; SGPRBlocks: 0
; VGPRBlocks: 0
; NumSGPRsForWavesPerEU: 14
; NumVGPRsForWavesPerEU: 9
; NamedBarCnt: 0
; Occupancy: 16
; WaveLimiterHint : 0
; COMPUTE_PGM_RSRC2:SCRATCH_EN: 0
; COMPUTE_PGM_RSRC2:USER_SGPR: 2
; COMPUTE_PGM_RSRC2:TRAP_HANDLER: 0
; COMPUTE_PGM_RSRC2:TGID_X_EN: 1
; COMPUTE_PGM_RSRC2:TGID_Y_EN: 0
; COMPUTE_PGM_RSRC2:TGID_Z_EN: 0
; COMPUTE_PGM_RSRC2:TIDIG_COMP_CNT: 0
	.section	.text._ZN2at6native14lpnorm_cleanupIN3c104HalfELNS0_8NormTypeE0ENS2_8BFloat16ELb0EfEEvPKT3_NS0_19TensorListAddressesEi,"axG",@progbits,_ZN2at6native14lpnorm_cleanupIN3c104HalfELNS0_8NormTypeE0ENS2_8BFloat16ELb0EfEEvPKT3_NS0_19TensorListAddressesEi,comdat
	.protected	_ZN2at6native14lpnorm_cleanupIN3c104HalfELNS0_8NormTypeE0ENS2_8BFloat16ELb0EfEEvPKT3_NS0_19TensorListAddressesEi ; -- Begin function _ZN2at6native14lpnorm_cleanupIN3c104HalfELNS0_8NormTypeE0ENS2_8BFloat16ELb0EfEEvPKT3_NS0_19TensorListAddressesEi
	.globl	_ZN2at6native14lpnorm_cleanupIN3c104HalfELNS0_8NormTypeE0ENS2_8BFloat16ELb0EfEEvPKT3_NS0_19TensorListAddressesEi
	.p2align	8
	.type	_ZN2at6native14lpnorm_cleanupIN3c104HalfELNS0_8NormTypeE0ENS2_8BFloat16ELb0EfEEvPKT3_NS0_19TensorListAddressesEi,@function
_ZN2at6native14lpnorm_cleanupIN3c104HalfELNS0_8NormTypeE0ENS2_8BFloat16ELb0EfEEvPKT3_NS0_19TensorListAddressesEi: ; @_ZN2at6native14lpnorm_cleanupIN3c104HalfELNS0_8NormTypeE0ENS2_8BFloat16ELb0EfEEvPKT3_NS0_19TensorListAddressesEi
; %bb.0:
	s_load_b32 s2, s[0:1], 0xc88
	s_bfe_u32 s3, ttmp6, 0x4000c
	s_and_b32 s4, ttmp6, 15
	s_add_co_i32 s3, s3, 1
	s_getreg_b32 s5, hwreg(HW_REG_IB_STS2, 6, 4)
	s_mul_i32 s3, ttmp9, s3
	v_mov_b32_e32 v1, 0
	s_add_co_i32 s4, s4, s3
	s_cmp_eq_u32 s5, 0
	s_mov_b32 s5, 0
	s_cselect_b32 s8, ttmp9, s4
	s_mov_b32 s9, exec_lo
	s_wait_kmcnt 0x0
	v_cmpx_gt_u32_e64 s2, v0
	s_cbranch_execz .LBB181_4
; %bb.1:
	s_clause 0x1
	s_load_b64 s[6:7], s[0:1], 0x0
	s_load_b32 s4, s[0:1], 0xc9c
	v_dual_mov_b32 v1, 0 :: v_dual_lshlrev_b32 v2, 2, v0
	s_mul_i32 s10, s2, s8
	s_mov_b32 s11, s5
	s_ashr_i32 s3, s2, 31
	s_delay_alu instid0(VALU_DEP_1)
	v_mov_b32_e32 v3, v1
	s_lshl_b64 s[10:11], s[10:11], 2
	v_mov_b64_e32 v[4:5], v[0:1]
	s_wait_kmcnt 0x0
	s_add_nc_u64 s[6:7], s[6:7], s[10:11]
	s_and_b32 s4, s4, 0xffff
	v_add_nc_u64_e32 v[2:3], s[6:7], v[2:3]
	s_lshl_b32 s6, s4, 2
	s_mov_b32 s7, s5
	s_mov_b32 s10, s5
.LBB181_2:                              ; =>This Inner Loop Header: Depth=1
	global_load_b32 v6, v[2:3], off
	v_add_nc_u64_e32 v[4:5], s[4:5], v[4:5]
	s_wait_xcnt 0x0
	v_add_nc_u64_e32 v[2:3], s[6:7], v[2:3]
	s_delay_alu instid0(VALU_DEP_2)
	v_cmp_le_u64_e32 vcc_lo, s[2:3], v[4:5]
	s_or_b32 s10, vcc_lo, s10
	s_wait_loadcnt 0x0
	v_add_f32_e32 v1, v1, v6
	s_and_not1_b32 exec_lo, exec_lo, s10
	s_cbranch_execnz .LBB181_2
; %bb.3:
	s_or_b32 exec_lo, exec_lo, s10
.LBB181_4:
	s_delay_alu instid0(SALU_CYCLE_1) | instskip(SKIP_4) | instid1(VALU_DEP_1)
	s_or_b32 exec_lo, exec_lo, s9
	v_mbcnt_lo_u32_b32 v5, -1, 0
	s_mov_b32 s2, exec_lo
	s_barrier_signal -1
	s_barrier_wait -1
	v_lshl_or_b32 v2, v5, 2, 64
	v_cmp_gt_u32_e32 vcc_lo, 24, v5
	ds_bpermute_b32 v4, v2, v1
	v_cndmask_b32_e64 v3, 0, 8, vcc_lo
	v_cmp_gt_u32_e32 vcc_lo, 28, v5
	s_delay_alu instid0(VALU_DEP_2)
	v_add_lshl_u32 v3, v3, v5, 2
	s_wait_dscnt 0x0
	v_add_f32_e32 v4, v1, v4
	v_cndmask_b32_e64 v1, 0, 4, vcc_lo
	v_cmp_gt_u32_e32 vcc_lo, 30, v5
	ds_bpermute_b32 v6, v3, v4
	v_add_lshl_u32 v1, v1, v5, 2
	s_wait_dscnt 0x0
	v_add_f32_e32 v6, v4, v6
	v_cndmask_b32_e64 v4, 0, 2, vcc_lo
	v_cmp_ne_u32_e32 vcc_lo, 31, v5
	s_delay_alu instid0(VALU_DEP_2) | instskip(SKIP_1) | instid1(VALU_DEP_1)
	v_add_lshl_u32 v4, v4, v5, 2
	v_add_co_ci_u32_e64 v5, null, 0, v5, vcc_lo
	v_lshlrev_b32_e32 v5, 2, v5
	ds_bpermute_b32 v7, v1, v6
	s_wait_dscnt 0x0
	v_add_f32_e32 v6, v6, v7
	ds_bpermute_b32 v7, v4, v6
	s_wait_dscnt 0x0
	v_dual_add_f32 v6, v6, v7 :: v_dual_bitop2_b32 v7, 31, v0 bitop3:0x40
	ds_bpermute_b32 v8, v5, v6
	v_cmpx_eq_u32_e32 0, v7
	s_cbranch_execz .LBB181_6
; %bb.5:
	s_wait_dscnt 0x0
	v_add_f32_e32 v6, v6, v8
	v_lshrrev_b32_e32 v8, 3, v0
	ds_store_b32 v8, v6
.LBB181_6:
	s_or_b32 exec_lo, exec_lo, s2
	s_wait_dscnt 0x0
	s_barrier_signal -1
	s_barrier_wait -1
	s_load_b32 s2, s[0:1], 0xc9c
	v_mov_b32_e32 v6, 0
	s_wait_kmcnt 0x0
	s_bfe_u32 s2, s2, 0xb0005
	s_delay_alu instid0(SALU_CYCLE_1)
	v_cmp_gt_u32_e32 vcc_lo, s2, v0
	s_and_saveexec_b32 s2, vcc_lo
; %bb.7:
	v_lshlrev_b32_e32 v6, 2, v7
	ds_load_b32 v6, v6
; %bb.8:
	s_or_b32 exec_lo, exec_lo, s2
	s_delay_alu instid0(SALU_CYCLE_1)
	s_mov_b32 s2, exec_lo
	v_cmpx_gt_u32_e32 32, v0
	s_cbranch_execz .LBB181_10
; %bb.9:
	s_wait_dscnt 0x0
	ds_bpermute_b32 v2, v2, v6
	s_wait_dscnt 0x0
	v_add_f32_e32 v2, v6, v2
	ds_bpermute_b32 v3, v3, v2
	s_wait_dscnt 0x0
	v_add_f32_e32 v2, v2, v3
	;; [unrolled: 3-line block ×5, first 2 shown]
.LBB181_10:
	s_or_b32 exec_lo, exec_lo, s2
	s_delay_alu instid0(SALU_CYCLE_1)
	s_mov_b32 s2, exec_lo
	v_cmpx_eq_u32_e32 0, v0
	s_cbranch_execz .LBB181_12
; %bb.11:
	s_wait_dscnt 0x0
	v_bfe_u32 v0, v6, 16, 1
	s_load_b64 s[0:1], s[0:1], s8 offset:0x8 scale_offset
	v_cmp_o_f32_e32 vcc_lo, v6, v6
	v_mov_b32_e32 v1, 0
	s_delay_alu instid0(VALU_DEP_3) | instskip(NEXT) | instid1(VALU_DEP_1)
	v_add3_u32 v0, v6, v0, 0x7fff
	v_lshrrev_b32_e32 v0, 16, v0
	s_delay_alu instid0(VALU_DEP_1)
	v_cndmask_b32_e32 v0, 0x7fc0, v0, vcc_lo
	s_wait_kmcnt 0x0
	global_store_b16 v1, v0, s[0:1]
.LBB181_12:
	s_endpgm
	.section	.rodata,"a",@progbits
	.p2align	6, 0x0
	.amdhsa_kernel _ZN2at6native14lpnorm_cleanupIN3c104HalfELNS0_8NormTypeE0ENS2_8BFloat16ELb0EfEEvPKT3_NS0_19TensorListAddressesEi
		.amdhsa_group_segment_fixed_size 2048
		.amdhsa_private_segment_fixed_size 0
		.amdhsa_kernarg_size 3472
		.amdhsa_user_sgpr_count 2
		.amdhsa_user_sgpr_dispatch_ptr 0
		.amdhsa_user_sgpr_queue_ptr 0
		.amdhsa_user_sgpr_kernarg_segment_ptr 1
		.amdhsa_user_sgpr_dispatch_id 0
		.amdhsa_user_sgpr_kernarg_preload_length 0
		.amdhsa_user_sgpr_kernarg_preload_offset 0
		.amdhsa_user_sgpr_private_segment_size 0
		.amdhsa_wavefront_size32 1
		.amdhsa_uses_dynamic_stack 0
		.amdhsa_enable_private_segment 0
		.amdhsa_system_sgpr_workgroup_id_x 1
		.amdhsa_system_sgpr_workgroup_id_y 0
		.amdhsa_system_sgpr_workgroup_id_z 0
		.amdhsa_system_sgpr_workgroup_info 0
		.amdhsa_system_vgpr_workitem_id 0
		.amdhsa_next_free_vgpr 9
		.amdhsa_next_free_sgpr 12
		.amdhsa_named_barrier_count 0
		.amdhsa_reserve_vcc 1
		.amdhsa_float_round_mode_32 0
		.amdhsa_float_round_mode_16_64 0
		.amdhsa_float_denorm_mode_32 3
		.amdhsa_float_denorm_mode_16_64 3
		.amdhsa_fp16_overflow 0
		.amdhsa_memory_ordered 1
		.amdhsa_forward_progress 1
		.amdhsa_inst_pref_size 6
		.amdhsa_round_robin_scheduling 0
		.amdhsa_exception_fp_ieee_invalid_op 0
		.amdhsa_exception_fp_denorm_src 0
		.amdhsa_exception_fp_ieee_div_zero 0
		.amdhsa_exception_fp_ieee_overflow 0
		.amdhsa_exception_fp_ieee_underflow 0
		.amdhsa_exception_fp_ieee_inexact 0
		.amdhsa_exception_int_div_zero 0
	.end_amdhsa_kernel
	.section	.text._ZN2at6native14lpnorm_cleanupIN3c104HalfELNS0_8NormTypeE0ENS2_8BFloat16ELb0EfEEvPKT3_NS0_19TensorListAddressesEi,"axG",@progbits,_ZN2at6native14lpnorm_cleanupIN3c104HalfELNS0_8NormTypeE0ENS2_8BFloat16ELb0EfEEvPKT3_NS0_19TensorListAddressesEi,comdat
.Lfunc_end181:
	.size	_ZN2at6native14lpnorm_cleanupIN3c104HalfELNS0_8NormTypeE0ENS2_8BFloat16ELb0EfEEvPKT3_NS0_19TensorListAddressesEi, .Lfunc_end181-_ZN2at6native14lpnorm_cleanupIN3c104HalfELNS0_8NormTypeE0ENS2_8BFloat16ELb0EfEEvPKT3_NS0_19TensorListAddressesEi
                                        ; -- End function
	.set _ZN2at6native14lpnorm_cleanupIN3c104HalfELNS0_8NormTypeE0ENS2_8BFloat16ELb0EfEEvPKT3_NS0_19TensorListAddressesEi.num_vgpr, 9
	.set _ZN2at6native14lpnorm_cleanupIN3c104HalfELNS0_8NormTypeE0ENS2_8BFloat16ELb0EfEEvPKT3_NS0_19TensorListAddressesEi.num_agpr, 0
	.set _ZN2at6native14lpnorm_cleanupIN3c104HalfELNS0_8NormTypeE0ENS2_8BFloat16ELb0EfEEvPKT3_NS0_19TensorListAddressesEi.numbered_sgpr, 12
	.set _ZN2at6native14lpnorm_cleanupIN3c104HalfELNS0_8NormTypeE0ENS2_8BFloat16ELb0EfEEvPKT3_NS0_19TensorListAddressesEi.num_named_barrier, 0
	.set _ZN2at6native14lpnorm_cleanupIN3c104HalfELNS0_8NormTypeE0ENS2_8BFloat16ELb0EfEEvPKT3_NS0_19TensorListAddressesEi.private_seg_size, 0
	.set _ZN2at6native14lpnorm_cleanupIN3c104HalfELNS0_8NormTypeE0ENS2_8BFloat16ELb0EfEEvPKT3_NS0_19TensorListAddressesEi.uses_vcc, 1
	.set _ZN2at6native14lpnorm_cleanupIN3c104HalfELNS0_8NormTypeE0ENS2_8BFloat16ELb0EfEEvPKT3_NS0_19TensorListAddressesEi.uses_flat_scratch, 0
	.set _ZN2at6native14lpnorm_cleanupIN3c104HalfELNS0_8NormTypeE0ENS2_8BFloat16ELb0EfEEvPKT3_NS0_19TensorListAddressesEi.has_dyn_sized_stack, 0
	.set _ZN2at6native14lpnorm_cleanupIN3c104HalfELNS0_8NormTypeE0ENS2_8BFloat16ELb0EfEEvPKT3_NS0_19TensorListAddressesEi.has_recursion, 0
	.set _ZN2at6native14lpnorm_cleanupIN3c104HalfELNS0_8NormTypeE0ENS2_8BFloat16ELb0EfEEvPKT3_NS0_19TensorListAddressesEi.has_indirect_call, 0
	.section	.AMDGPU.csdata,"",@progbits
; Kernel info:
; codeLenInByte = 712
; TotalNumSgprs: 14
; NumVgprs: 9
; ScratchSize: 0
; MemoryBound: 0
; FloatMode: 240
; IeeeMode: 1
; LDSByteSize: 2048 bytes/workgroup (compile time only)
; SGPRBlocks: 0
; VGPRBlocks: 0
; NumSGPRsForWavesPerEU: 14
; NumVGPRsForWavesPerEU: 9
; NamedBarCnt: 0
; Occupancy: 16
; WaveLimiterHint : 0
; COMPUTE_PGM_RSRC2:SCRATCH_EN: 0
; COMPUTE_PGM_RSRC2:USER_SGPR: 2
; COMPUTE_PGM_RSRC2:TRAP_HANDLER: 0
; COMPUTE_PGM_RSRC2:TGID_X_EN: 1
; COMPUTE_PGM_RSRC2:TGID_Y_EN: 0
; COMPUTE_PGM_RSRC2:TGID_Z_EN: 0
; COMPUTE_PGM_RSRC2:TIDIG_COMP_CNT: 0
	.section	.text._ZN2at6native14lpnorm_cleanupIN3c104HalfELNS0_8NormTypeE1ENS2_8BFloat16ELb0EfEEvPKT3_NS0_19TensorListAddressesEi,"axG",@progbits,_ZN2at6native14lpnorm_cleanupIN3c104HalfELNS0_8NormTypeE1ENS2_8BFloat16ELb0EfEEvPKT3_NS0_19TensorListAddressesEi,comdat
	.protected	_ZN2at6native14lpnorm_cleanupIN3c104HalfELNS0_8NormTypeE1ENS2_8BFloat16ELb0EfEEvPKT3_NS0_19TensorListAddressesEi ; -- Begin function _ZN2at6native14lpnorm_cleanupIN3c104HalfELNS0_8NormTypeE1ENS2_8BFloat16ELb0EfEEvPKT3_NS0_19TensorListAddressesEi
	.globl	_ZN2at6native14lpnorm_cleanupIN3c104HalfELNS0_8NormTypeE1ENS2_8BFloat16ELb0EfEEvPKT3_NS0_19TensorListAddressesEi
	.p2align	8
	.type	_ZN2at6native14lpnorm_cleanupIN3c104HalfELNS0_8NormTypeE1ENS2_8BFloat16ELb0EfEEvPKT3_NS0_19TensorListAddressesEi,@function
_ZN2at6native14lpnorm_cleanupIN3c104HalfELNS0_8NormTypeE1ENS2_8BFloat16ELb0EfEEvPKT3_NS0_19TensorListAddressesEi: ; @_ZN2at6native14lpnorm_cleanupIN3c104HalfELNS0_8NormTypeE1ENS2_8BFloat16ELb0EfEEvPKT3_NS0_19TensorListAddressesEi
; %bb.0:
	s_load_b32 s2, s[0:1], 0xc88
	s_bfe_u32 s3, ttmp6, 0x4000c
	s_and_b32 s4, ttmp6, 15
	s_add_co_i32 s3, s3, 1
	s_getreg_b32 s5, hwreg(HW_REG_IB_STS2, 6, 4)
	s_mul_i32 s3, ttmp9, s3
	v_mov_b32_e32 v1, 0
	s_add_co_i32 s4, s4, s3
	s_cmp_eq_u32 s5, 0
	s_mov_b32 s5, 0
	s_cselect_b32 s8, ttmp9, s4
	s_mov_b32 s9, exec_lo
	s_wait_kmcnt 0x0
	v_cmpx_gt_u32_e64 s2, v0
	s_cbranch_execz .LBB182_4
; %bb.1:
	s_clause 0x1
	s_load_b64 s[6:7], s[0:1], 0x0
	s_load_b32 s4, s[0:1], 0xc9c
	v_dual_mov_b32 v1, 0 :: v_dual_lshlrev_b32 v2, 2, v0
	s_mul_i32 s10, s2, s8
	s_mov_b32 s11, s5
	s_ashr_i32 s3, s2, 31
	s_delay_alu instid0(VALU_DEP_1)
	v_mov_b32_e32 v3, v1
	s_lshl_b64 s[10:11], s[10:11], 2
	v_mov_b64_e32 v[4:5], v[0:1]
	s_wait_kmcnt 0x0
	s_add_nc_u64 s[6:7], s[6:7], s[10:11]
	s_and_b32 s4, s4, 0xffff
	v_add_nc_u64_e32 v[2:3], s[6:7], v[2:3]
	s_lshl_b32 s6, s4, 2
	s_mov_b32 s7, s5
	s_mov_b32 s10, s5
.LBB182_2:                              ; =>This Inner Loop Header: Depth=1
	global_load_b32 v6, v[2:3], off
	v_add_nc_u64_e32 v[4:5], s[4:5], v[4:5]
	s_wait_xcnt 0x0
	v_add_nc_u64_e32 v[2:3], s[6:7], v[2:3]
	s_delay_alu instid0(VALU_DEP_2)
	v_cmp_le_u64_e32 vcc_lo, s[2:3], v[4:5]
	s_or_b32 s10, vcc_lo, s10
	s_wait_loadcnt 0x0
	v_add_f32_e32 v1, v1, v6
	s_and_not1_b32 exec_lo, exec_lo, s10
	s_cbranch_execnz .LBB182_2
; %bb.3:
	s_or_b32 exec_lo, exec_lo, s10
.LBB182_4:
	s_delay_alu instid0(SALU_CYCLE_1) | instskip(SKIP_4) | instid1(VALU_DEP_1)
	s_or_b32 exec_lo, exec_lo, s9
	v_mbcnt_lo_u32_b32 v5, -1, 0
	s_mov_b32 s2, exec_lo
	s_barrier_signal -1
	s_barrier_wait -1
	v_lshl_or_b32 v2, v5, 2, 64
	v_cmp_gt_u32_e32 vcc_lo, 24, v5
	ds_bpermute_b32 v4, v2, v1
	v_cndmask_b32_e64 v3, 0, 8, vcc_lo
	v_cmp_gt_u32_e32 vcc_lo, 28, v5
	s_delay_alu instid0(VALU_DEP_2)
	v_add_lshl_u32 v3, v3, v5, 2
	s_wait_dscnt 0x0
	v_add_f32_e32 v4, v1, v4
	v_cndmask_b32_e64 v1, 0, 4, vcc_lo
	v_cmp_gt_u32_e32 vcc_lo, 30, v5
	ds_bpermute_b32 v6, v3, v4
	v_add_lshl_u32 v1, v1, v5, 2
	s_wait_dscnt 0x0
	v_add_f32_e32 v6, v4, v6
	v_cndmask_b32_e64 v4, 0, 2, vcc_lo
	v_cmp_ne_u32_e32 vcc_lo, 31, v5
	s_delay_alu instid0(VALU_DEP_2) | instskip(SKIP_1) | instid1(VALU_DEP_1)
	v_add_lshl_u32 v4, v4, v5, 2
	v_add_co_ci_u32_e64 v5, null, 0, v5, vcc_lo
	v_lshlrev_b32_e32 v5, 2, v5
	ds_bpermute_b32 v7, v1, v6
	s_wait_dscnt 0x0
	v_add_f32_e32 v6, v6, v7
	ds_bpermute_b32 v7, v4, v6
	s_wait_dscnt 0x0
	v_dual_add_f32 v6, v6, v7 :: v_dual_bitop2_b32 v7, 31, v0 bitop3:0x40
	ds_bpermute_b32 v8, v5, v6
	v_cmpx_eq_u32_e32 0, v7
	s_cbranch_execz .LBB182_6
; %bb.5:
	s_wait_dscnt 0x0
	v_add_f32_e32 v6, v6, v8
	v_lshrrev_b32_e32 v8, 3, v0
	ds_store_b32 v8, v6
.LBB182_6:
	s_or_b32 exec_lo, exec_lo, s2
	s_wait_dscnt 0x0
	s_barrier_signal -1
	s_barrier_wait -1
	s_load_b32 s2, s[0:1], 0xc9c
	v_mov_b32_e32 v6, 0
	s_wait_kmcnt 0x0
	s_bfe_u32 s2, s2, 0xb0005
	s_delay_alu instid0(SALU_CYCLE_1)
	v_cmp_gt_u32_e32 vcc_lo, s2, v0
	s_and_saveexec_b32 s2, vcc_lo
; %bb.7:
	v_lshlrev_b32_e32 v6, 2, v7
	ds_load_b32 v6, v6
; %bb.8:
	s_or_b32 exec_lo, exec_lo, s2
	s_delay_alu instid0(SALU_CYCLE_1)
	s_mov_b32 s2, exec_lo
	v_cmpx_gt_u32_e32 32, v0
	s_cbranch_execz .LBB182_10
; %bb.9:
	s_wait_dscnt 0x0
	ds_bpermute_b32 v2, v2, v6
	s_wait_dscnt 0x0
	v_add_f32_e32 v2, v6, v2
	ds_bpermute_b32 v3, v3, v2
	s_wait_dscnt 0x0
	v_add_f32_e32 v2, v2, v3
	;; [unrolled: 3-line block ×5, first 2 shown]
.LBB182_10:
	s_or_b32 exec_lo, exec_lo, s2
	s_delay_alu instid0(SALU_CYCLE_1)
	s_mov_b32 s2, exec_lo
	v_cmpx_eq_u32_e32 0, v0
	s_cbranch_execz .LBB182_12
; %bb.11:
	s_wait_dscnt 0x0
	v_bfe_u32 v0, v6, 16, 1
	s_load_b64 s[0:1], s[0:1], s8 offset:0x8 scale_offset
	v_cmp_o_f32_e32 vcc_lo, v6, v6
	v_mov_b32_e32 v1, 0
	s_delay_alu instid0(VALU_DEP_3) | instskip(NEXT) | instid1(VALU_DEP_1)
	v_add3_u32 v0, v6, v0, 0x7fff
	v_lshrrev_b32_e32 v0, 16, v0
	s_delay_alu instid0(VALU_DEP_1)
	v_cndmask_b32_e32 v0, 0x7fc0, v0, vcc_lo
	s_wait_kmcnt 0x0
	global_store_b16 v1, v0, s[0:1]
.LBB182_12:
	s_endpgm
	.section	.rodata,"a",@progbits
	.p2align	6, 0x0
	.amdhsa_kernel _ZN2at6native14lpnorm_cleanupIN3c104HalfELNS0_8NormTypeE1ENS2_8BFloat16ELb0EfEEvPKT3_NS0_19TensorListAddressesEi
		.amdhsa_group_segment_fixed_size 2048
		.amdhsa_private_segment_fixed_size 0
		.amdhsa_kernarg_size 3472
		.amdhsa_user_sgpr_count 2
		.amdhsa_user_sgpr_dispatch_ptr 0
		.amdhsa_user_sgpr_queue_ptr 0
		.amdhsa_user_sgpr_kernarg_segment_ptr 1
		.amdhsa_user_sgpr_dispatch_id 0
		.amdhsa_user_sgpr_kernarg_preload_length 0
		.amdhsa_user_sgpr_kernarg_preload_offset 0
		.amdhsa_user_sgpr_private_segment_size 0
		.amdhsa_wavefront_size32 1
		.amdhsa_uses_dynamic_stack 0
		.amdhsa_enable_private_segment 0
		.amdhsa_system_sgpr_workgroup_id_x 1
		.amdhsa_system_sgpr_workgroup_id_y 0
		.amdhsa_system_sgpr_workgroup_id_z 0
		.amdhsa_system_sgpr_workgroup_info 0
		.amdhsa_system_vgpr_workitem_id 0
		.amdhsa_next_free_vgpr 9
		.amdhsa_next_free_sgpr 12
		.amdhsa_named_barrier_count 0
		.amdhsa_reserve_vcc 1
		.amdhsa_float_round_mode_32 0
		.amdhsa_float_round_mode_16_64 0
		.amdhsa_float_denorm_mode_32 3
		.amdhsa_float_denorm_mode_16_64 3
		.amdhsa_fp16_overflow 0
		.amdhsa_memory_ordered 1
		.amdhsa_forward_progress 1
		.amdhsa_inst_pref_size 6
		.amdhsa_round_robin_scheduling 0
		.amdhsa_exception_fp_ieee_invalid_op 0
		.amdhsa_exception_fp_denorm_src 0
		.amdhsa_exception_fp_ieee_div_zero 0
		.amdhsa_exception_fp_ieee_overflow 0
		.amdhsa_exception_fp_ieee_underflow 0
		.amdhsa_exception_fp_ieee_inexact 0
		.amdhsa_exception_int_div_zero 0
	.end_amdhsa_kernel
	.section	.text._ZN2at6native14lpnorm_cleanupIN3c104HalfELNS0_8NormTypeE1ENS2_8BFloat16ELb0EfEEvPKT3_NS0_19TensorListAddressesEi,"axG",@progbits,_ZN2at6native14lpnorm_cleanupIN3c104HalfELNS0_8NormTypeE1ENS2_8BFloat16ELb0EfEEvPKT3_NS0_19TensorListAddressesEi,comdat
.Lfunc_end182:
	.size	_ZN2at6native14lpnorm_cleanupIN3c104HalfELNS0_8NormTypeE1ENS2_8BFloat16ELb0EfEEvPKT3_NS0_19TensorListAddressesEi, .Lfunc_end182-_ZN2at6native14lpnorm_cleanupIN3c104HalfELNS0_8NormTypeE1ENS2_8BFloat16ELb0EfEEvPKT3_NS0_19TensorListAddressesEi
                                        ; -- End function
	.set _ZN2at6native14lpnorm_cleanupIN3c104HalfELNS0_8NormTypeE1ENS2_8BFloat16ELb0EfEEvPKT3_NS0_19TensorListAddressesEi.num_vgpr, 9
	.set _ZN2at6native14lpnorm_cleanupIN3c104HalfELNS0_8NormTypeE1ENS2_8BFloat16ELb0EfEEvPKT3_NS0_19TensorListAddressesEi.num_agpr, 0
	.set _ZN2at6native14lpnorm_cleanupIN3c104HalfELNS0_8NormTypeE1ENS2_8BFloat16ELb0EfEEvPKT3_NS0_19TensorListAddressesEi.numbered_sgpr, 12
	.set _ZN2at6native14lpnorm_cleanupIN3c104HalfELNS0_8NormTypeE1ENS2_8BFloat16ELb0EfEEvPKT3_NS0_19TensorListAddressesEi.num_named_barrier, 0
	.set _ZN2at6native14lpnorm_cleanupIN3c104HalfELNS0_8NormTypeE1ENS2_8BFloat16ELb0EfEEvPKT3_NS0_19TensorListAddressesEi.private_seg_size, 0
	.set _ZN2at6native14lpnorm_cleanupIN3c104HalfELNS0_8NormTypeE1ENS2_8BFloat16ELb0EfEEvPKT3_NS0_19TensorListAddressesEi.uses_vcc, 1
	.set _ZN2at6native14lpnorm_cleanupIN3c104HalfELNS0_8NormTypeE1ENS2_8BFloat16ELb0EfEEvPKT3_NS0_19TensorListAddressesEi.uses_flat_scratch, 0
	.set _ZN2at6native14lpnorm_cleanupIN3c104HalfELNS0_8NormTypeE1ENS2_8BFloat16ELb0EfEEvPKT3_NS0_19TensorListAddressesEi.has_dyn_sized_stack, 0
	.set _ZN2at6native14lpnorm_cleanupIN3c104HalfELNS0_8NormTypeE1ENS2_8BFloat16ELb0EfEEvPKT3_NS0_19TensorListAddressesEi.has_recursion, 0
	.set _ZN2at6native14lpnorm_cleanupIN3c104HalfELNS0_8NormTypeE1ENS2_8BFloat16ELb0EfEEvPKT3_NS0_19TensorListAddressesEi.has_indirect_call, 0
	.section	.AMDGPU.csdata,"",@progbits
; Kernel info:
; codeLenInByte = 712
; TotalNumSgprs: 14
; NumVgprs: 9
; ScratchSize: 0
; MemoryBound: 0
; FloatMode: 240
; IeeeMode: 1
; LDSByteSize: 2048 bytes/workgroup (compile time only)
; SGPRBlocks: 0
; VGPRBlocks: 0
; NumSGPRsForWavesPerEU: 14
; NumVGPRsForWavesPerEU: 9
; NamedBarCnt: 0
; Occupancy: 16
; WaveLimiterHint : 0
; COMPUTE_PGM_RSRC2:SCRATCH_EN: 0
; COMPUTE_PGM_RSRC2:USER_SGPR: 2
; COMPUTE_PGM_RSRC2:TRAP_HANDLER: 0
; COMPUTE_PGM_RSRC2:TGID_X_EN: 1
; COMPUTE_PGM_RSRC2:TGID_Y_EN: 0
; COMPUTE_PGM_RSRC2:TGID_Z_EN: 0
; COMPUTE_PGM_RSRC2:TIDIG_COMP_CNT: 0
	.section	.text._ZN2at6native14lpnorm_cleanupIN3c104HalfELNS0_8NormTypeE2ENS2_8BFloat16ELb0EfEEvPKT3_NS0_19TensorListAddressesEi,"axG",@progbits,_ZN2at6native14lpnorm_cleanupIN3c104HalfELNS0_8NormTypeE2ENS2_8BFloat16ELb0EfEEvPKT3_NS0_19TensorListAddressesEi,comdat
	.protected	_ZN2at6native14lpnorm_cleanupIN3c104HalfELNS0_8NormTypeE2ENS2_8BFloat16ELb0EfEEvPKT3_NS0_19TensorListAddressesEi ; -- Begin function _ZN2at6native14lpnorm_cleanupIN3c104HalfELNS0_8NormTypeE2ENS2_8BFloat16ELb0EfEEvPKT3_NS0_19TensorListAddressesEi
	.globl	_ZN2at6native14lpnorm_cleanupIN3c104HalfELNS0_8NormTypeE2ENS2_8BFloat16ELb0EfEEvPKT3_NS0_19TensorListAddressesEi
	.p2align	8
	.type	_ZN2at6native14lpnorm_cleanupIN3c104HalfELNS0_8NormTypeE2ENS2_8BFloat16ELb0EfEEvPKT3_NS0_19TensorListAddressesEi,@function
_ZN2at6native14lpnorm_cleanupIN3c104HalfELNS0_8NormTypeE2ENS2_8BFloat16ELb0EfEEvPKT3_NS0_19TensorListAddressesEi: ; @_ZN2at6native14lpnorm_cleanupIN3c104HalfELNS0_8NormTypeE2ENS2_8BFloat16ELb0EfEEvPKT3_NS0_19TensorListAddressesEi
; %bb.0:
	s_load_b32 s2, s[0:1], 0xc88
	s_bfe_u32 s3, ttmp6, 0x4000c
	s_and_b32 s4, ttmp6, 15
	s_add_co_i32 s3, s3, 1
	s_getreg_b32 s5, hwreg(HW_REG_IB_STS2, 6, 4)
	s_mul_i32 s3, ttmp9, s3
	v_mov_b32_e32 v1, 0
	s_add_co_i32 s4, s4, s3
	s_cmp_eq_u32 s5, 0
	s_mov_b32 s5, 0
	s_cselect_b32 s8, ttmp9, s4
	s_mov_b32 s9, exec_lo
	s_wait_kmcnt 0x0
	v_cmpx_gt_u32_e64 s2, v0
	s_cbranch_execz .LBB183_4
; %bb.1:
	s_clause 0x1
	s_load_b64 s[6:7], s[0:1], 0x0
	s_load_b32 s4, s[0:1], 0xc9c
	v_dual_mov_b32 v1, 0 :: v_dual_lshlrev_b32 v2, 2, v0
	s_mul_i32 s10, s2, s8
	s_mov_b32 s11, s5
	s_ashr_i32 s3, s2, 31
	s_delay_alu instid0(VALU_DEP_1)
	v_mov_b32_e32 v3, v1
	s_lshl_b64 s[10:11], s[10:11], 2
	v_mov_b64_e32 v[4:5], v[0:1]
	s_wait_kmcnt 0x0
	s_add_nc_u64 s[6:7], s[6:7], s[10:11]
	s_and_b32 s4, s4, 0xffff
	v_add_nc_u64_e32 v[2:3], s[6:7], v[2:3]
	s_lshl_b32 s6, s4, 2
	s_mov_b32 s7, s5
	s_mov_b32 s10, s5
.LBB183_2:                              ; =>This Inner Loop Header: Depth=1
	global_load_b32 v6, v[2:3], off
	v_add_nc_u64_e32 v[4:5], s[4:5], v[4:5]
	s_wait_xcnt 0x0
	v_add_nc_u64_e32 v[2:3], s[6:7], v[2:3]
	s_delay_alu instid0(VALU_DEP_2)
	v_cmp_le_u64_e32 vcc_lo, s[2:3], v[4:5]
	s_or_b32 s10, vcc_lo, s10
	s_wait_loadcnt 0x0
	v_add_f32_e32 v1, v1, v6
	s_and_not1_b32 exec_lo, exec_lo, s10
	s_cbranch_execnz .LBB183_2
; %bb.3:
	s_or_b32 exec_lo, exec_lo, s10
.LBB183_4:
	s_delay_alu instid0(SALU_CYCLE_1) | instskip(SKIP_4) | instid1(VALU_DEP_1)
	s_or_b32 exec_lo, exec_lo, s9
	v_mbcnt_lo_u32_b32 v5, -1, 0
	s_mov_b32 s2, exec_lo
	s_barrier_signal -1
	s_barrier_wait -1
	v_lshl_or_b32 v2, v5, 2, 64
	v_cmp_gt_u32_e32 vcc_lo, 24, v5
	ds_bpermute_b32 v4, v2, v1
	v_cndmask_b32_e64 v3, 0, 8, vcc_lo
	v_cmp_gt_u32_e32 vcc_lo, 28, v5
	s_delay_alu instid0(VALU_DEP_2)
	v_add_lshl_u32 v3, v3, v5, 2
	s_wait_dscnt 0x0
	v_add_f32_e32 v4, v1, v4
	v_cndmask_b32_e64 v1, 0, 4, vcc_lo
	v_cmp_gt_u32_e32 vcc_lo, 30, v5
	ds_bpermute_b32 v6, v3, v4
	v_add_lshl_u32 v1, v1, v5, 2
	s_wait_dscnt 0x0
	v_add_f32_e32 v6, v4, v6
	v_cndmask_b32_e64 v4, 0, 2, vcc_lo
	v_cmp_ne_u32_e32 vcc_lo, 31, v5
	s_delay_alu instid0(VALU_DEP_2) | instskip(SKIP_1) | instid1(VALU_DEP_1)
	v_add_lshl_u32 v4, v4, v5, 2
	v_add_co_ci_u32_e64 v5, null, 0, v5, vcc_lo
	v_lshlrev_b32_e32 v5, 2, v5
	ds_bpermute_b32 v7, v1, v6
	s_wait_dscnt 0x0
	v_add_f32_e32 v6, v6, v7
	ds_bpermute_b32 v7, v4, v6
	s_wait_dscnt 0x0
	v_dual_add_f32 v6, v6, v7 :: v_dual_bitop2_b32 v7, 31, v0 bitop3:0x40
	ds_bpermute_b32 v8, v5, v6
	v_cmpx_eq_u32_e32 0, v7
	s_cbranch_execz .LBB183_6
; %bb.5:
	s_wait_dscnt 0x0
	v_add_f32_e32 v6, v6, v8
	v_lshrrev_b32_e32 v8, 3, v0
	ds_store_b32 v8, v6
.LBB183_6:
	s_or_b32 exec_lo, exec_lo, s2
	s_wait_dscnt 0x0
	s_barrier_signal -1
	s_barrier_wait -1
	s_load_b32 s2, s[0:1], 0xc9c
	v_mov_b32_e32 v6, 0
	s_wait_kmcnt 0x0
	s_bfe_u32 s2, s2, 0xb0005
	s_delay_alu instid0(SALU_CYCLE_1)
	v_cmp_gt_u32_e32 vcc_lo, s2, v0
	s_and_saveexec_b32 s2, vcc_lo
; %bb.7:
	v_lshlrev_b32_e32 v6, 2, v7
	ds_load_b32 v6, v6
; %bb.8:
	s_or_b32 exec_lo, exec_lo, s2
	s_delay_alu instid0(SALU_CYCLE_1)
	s_mov_b32 s2, exec_lo
	v_cmpx_gt_u32_e32 32, v0
	s_cbranch_execz .LBB183_10
; %bb.9:
	s_wait_dscnt 0x0
	ds_bpermute_b32 v2, v2, v6
	s_wait_dscnt 0x0
	v_add_f32_e32 v2, v6, v2
	ds_bpermute_b32 v3, v3, v2
	s_wait_dscnt 0x0
	v_add_f32_e32 v2, v2, v3
	;; [unrolled: 3-line block ×5, first 2 shown]
.LBB183_10:
	s_or_b32 exec_lo, exec_lo, s2
	s_delay_alu instid0(SALU_CYCLE_1)
	s_mov_b32 s2, exec_lo
	v_cmpx_eq_u32_e32 0, v0
	s_cbranch_execz .LBB183_12
; %bb.11:
	s_wait_dscnt 0x0
	v_bfe_u32 v0, v6, 16, 1
	s_load_b64 s[0:1], s[0:1], s8 offset:0x8 scale_offset
	v_cmp_o_f32_e32 vcc_lo, v6, v6
	v_mov_b32_e32 v1, 0
	s_delay_alu instid0(VALU_DEP_3) | instskip(NEXT) | instid1(VALU_DEP_1)
	v_add3_u32 v0, v6, v0, 0x7fff
	v_lshrrev_b32_e32 v0, 16, v0
	s_delay_alu instid0(VALU_DEP_1)
	v_cndmask_b32_e32 v0, 0x7fc0, v0, vcc_lo
	s_wait_kmcnt 0x0
	global_store_b16 v1, v0, s[0:1]
.LBB183_12:
	s_endpgm
	.section	.rodata,"a",@progbits
	.p2align	6, 0x0
	.amdhsa_kernel _ZN2at6native14lpnorm_cleanupIN3c104HalfELNS0_8NormTypeE2ENS2_8BFloat16ELb0EfEEvPKT3_NS0_19TensorListAddressesEi
		.amdhsa_group_segment_fixed_size 2048
		.amdhsa_private_segment_fixed_size 0
		.amdhsa_kernarg_size 3472
		.amdhsa_user_sgpr_count 2
		.amdhsa_user_sgpr_dispatch_ptr 0
		.amdhsa_user_sgpr_queue_ptr 0
		.amdhsa_user_sgpr_kernarg_segment_ptr 1
		.amdhsa_user_sgpr_dispatch_id 0
		.amdhsa_user_sgpr_kernarg_preload_length 0
		.amdhsa_user_sgpr_kernarg_preload_offset 0
		.amdhsa_user_sgpr_private_segment_size 0
		.amdhsa_wavefront_size32 1
		.amdhsa_uses_dynamic_stack 0
		.amdhsa_enable_private_segment 0
		.amdhsa_system_sgpr_workgroup_id_x 1
		.amdhsa_system_sgpr_workgroup_id_y 0
		.amdhsa_system_sgpr_workgroup_id_z 0
		.amdhsa_system_sgpr_workgroup_info 0
		.amdhsa_system_vgpr_workitem_id 0
		.amdhsa_next_free_vgpr 9
		.amdhsa_next_free_sgpr 12
		.amdhsa_named_barrier_count 0
		.amdhsa_reserve_vcc 1
		.amdhsa_float_round_mode_32 0
		.amdhsa_float_round_mode_16_64 0
		.amdhsa_float_denorm_mode_32 3
		.amdhsa_float_denorm_mode_16_64 3
		.amdhsa_fp16_overflow 0
		.amdhsa_memory_ordered 1
		.amdhsa_forward_progress 1
		.amdhsa_inst_pref_size 6
		.amdhsa_round_robin_scheduling 0
		.amdhsa_exception_fp_ieee_invalid_op 0
		.amdhsa_exception_fp_denorm_src 0
		.amdhsa_exception_fp_ieee_div_zero 0
		.amdhsa_exception_fp_ieee_overflow 0
		.amdhsa_exception_fp_ieee_underflow 0
		.amdhsa_exception_fp_ieee_inexact 0
		.amdhsa_exception_int_div_zero 0
	.end_amdhsa_kernel
	.section	.text._ZN2at6native14lpnorm_cleanupIN3c104HalfELNS0_8NormTypeE2ENS2_8BFloat16ELb0EfEEvPKT3_NS0_19TensorListAddressesEi,"axG",@progbits,_ZN2at6native14lpnorm_cleanupIN3c104HalfELNS0_8NormTypeE2ENS2_8BFloat16ELb0EfEEvPKT3_NS0_19TensorListAddressesEi,comdat
.Lfunc_end183:
	.size	_ZN2at6native14lpnorm_cleanupIN3c104HalfELNS0_8NormTypeE2ENS2_8BFloat16ELb0EfEEvPKT3_NS0_19TensorListAddressesEi, .Lfunc_end183-_ZN2at6native14lpnorm_cleanupIN3c104HalfELNS0_8NormTypeE2ENS2_8BFloat16ELb0EfEEvPKT3_NS0_19TensorListAddressesEi
                                        ; -- End function
	.set _ZN2at6native14lpnorm_cleanupIN3c104HalfELNS0_8NormTypeE2ENS2_8BFloat16ELb0EfEEvPKT3_NS0_19TensorListAddressesEi.num_vgpr, 9
	.set _ZN2at6native14lpnorm_cleanupIN3c104HalfELNS0_8NormTypeE2ENS2_8BFloat16ELb0EfEEvPKT3_NS0_19TensorListAddressesEi.num_agpr, 0
	.set _ZN2at6native14lpnorm_cleanupIN3c104HalfELNS0_8NormTypeE2ENS2_8BFloat16ELb0EfEEvPKT3_NS0_19TensorListAddressesEi.numbered_sgpr, 12
	.set _ZN2at6native14lpnorm_cleanupIN3c104HalfELNS0_8NormTypeE2ENS2_8BFloat16ELb0EfEEvPKT3_NS0_19TensorListAddressesEi.num_named_barrier, 0
	.set _ZN2at6native14lpnorm_cleanupIN3c104HalfELNS0_8NormTypeE2ENS2_8BFloat16ELb0EfEEvPKT3_NS0_19TensorListAddressesEi.private_seg_size, 0
	.set _ZN2at6native14lpnorm_cleanupIN3c104HalfELNS0_8NormTypeE2ENS2_8BFloat16ELb0EfEEvPKT3_NS0_19TensorListAddressesEi.uses_vcc, 1
	.set _ZN2at6native14lpnorm_cleanupIN3c104HalfELNS0_8NormTypeE2ENS2_8BFloat16ELb0EfEEvPKT3_NS0_19TensorListAddressesEi.uses_flat_scratch, 0
	.set _ZN2at6native14lpnorm_cleanupIN3c104HalfELNS0_8NormTypeE2ENS2_8BFloat16ELb0EfEEvPKT3_NS0_19TensorListAddressesEi.has_dyn_sized_stack, 0
	.set _ZN2at6native14lpnorm_cleanupIN3c104HalfELNS0_8NormTypeE2ENS2_8BFloat16ELb0EfEEvPKT3_NS0_19TensorListAddressesEi.has_recursion, 0
	.set _ZN2at6native14lpnorm_cleanupIN3c104HalfELNS0_8NormTypeE2ENS2_8BFloat16ELb0EfEEvPKT3_NS0_19TensorListAddressesEi.has_indirect_call, 0
	.section	.AMDGPU.csdata,"",@progbits
; Kernel info:
; codeLenInByte = 712
; TotalNumSgprs: 14
; NumVgprs: 9
; ScratchSize: 0
; MemoryBound: 0
; FloatMode: 240
; IeeeMode: 1
; LDSByteSize: 2048 bytes/workgroup (compile time only)
; SGPRBlocks: 0
; VGPRBlocks: 0
; NumSGPRsForWavesPerEU: 14
; NumVGPRsForWavesPerEU: 9
; NamedBarCnt: 0
; Occupancy: 16
; WaveLimiterHint : 0
; COMPUTE_PGM_RSRC2:SCRATCH_EN: 0
; COMPUTE_PGM_RSRC2:USER_SGPR: 2
; COMPUTE_PGM_RSRC2:TRAP_HANDLER: 0
; COMPUTE_PGM_RSRC2:TGID_X_EN: 1
; COMPUTE_PGM_RSRC2:TGID_Y_EN: 0
; COMPUTE_PGM_RSRC2:TGID_Z_EN: 0
; COMPUTE_PGM_RSRC2:TIDIG_COMP_CNT: 0
	.section	.text._ZN2at6native14lpnorm_cleanupIN3c108BFloat16ELNS0_8NormTypeE0EdLb0EdEEvPKT3_NS0_19TensorListAddressesEi,"axG",@progbits,_ZN2at6native14lpnorm_cleanupIN3c108BFloat16ELNS0_8NormTypeE0EdLb0EdEEvPKT3_NS0_19TensorListAddressesEi,comdat
	.protected	_ZN2at6native14lpnorm_cleanupIN3c108BFloat16ELNS0_8NormTypeE0EdLb0EdEEvPKT3_NS0_19TensorListAddressesEi ; -- Begin function _ZN2at6native14lpnorm_cleanupIN3c108BFloat16ELNS0_8NormTypeE0EdLb0EdEEvPKT3_NS0_19TensorListAddressesEi
	.globl	_ZN2at6native14lpnorm_cleanupIN3c108BFloat16ELNS0_8NormTypeE0EdLb0EdEEvPKT3_NS0_19TensorListAddressesEi
	.p2align	8
	.type	_ZN2at6native14lpnorm_cleanupIN3c108BFloat16ELNS0_8NormTypeE0EdLb0EdEEvPKT3_NS0_19TensorListAddressesEi,@function
_ZN2at6native14lpnorm_cleanupIN3c108BFloat16ELNS0_8NormTypeE0EdLb0EdEEvPKT3_NS0_19TensorListAddressesEi: ; @_ZN2at6native14lpnorm_cleanupIN3c108BFloat16ELNS0_8NormTypeE0EdLb0EdEEvPKT3_NS0_19TensorListAddressesEi
; %bb.0:
	s_load_b32 s2, s[0:1], 0xc88
	s_bfe_u32 s3, ttmp6, 0x4000c
	s_and_b32 s4, ttmp6, 15
	s_add_co_i32 s3, s3, 1
	v_mov_b64_e32 v[2:3], 0
	s_mul_i32 s3, ttmp9, s3
	s_mov_b32 s5, 0
	s_add_co_i32 s4, s4, s3
	s_getreg_b32 s3, hwreg(HW_REG_IB_STS2, 6, 4)
	s_mov_b32 s9, exec_lo
	s_cmp_eq_u32 s3, 0
	s_cselect_b32 s8, ttmp9, s4
	s_wait_kmcnt 0x0
	v_cmpx_gt_u32_e64 s2, v0
	s_cbranch_execz .LBB184_4
; %bb.1:
	s_clause 0x1
	s_load_b64 s[6:7], s[0:1], 0x0
	s_load_b32 s4, s[0:1], 0xc9c
	v_dual_mov_b32 v1, 0 :: v_dual_lshlrev_b32 v2, 3, v0
	s_mul_i32 s10, s2, s8
	s_mov_b32 s11, s5
	s_ashr_i32 s3, s2, 31
	s_delay_alu instid0(VALU_DEP_1)
	v_mov_b32_e32 v3, v1
	s_lshl_b64 s[10:11], s[10:11], 3
	v_mov_b64_e32 v[6:7], v[0:1]
	s_wait_kmcnt 0x0
	s_add_nc_u64 s[6:7], s[6:7], s[10:11]
	s_and_b32 s4, s4, 0xffff
	v_add_nc_u64_e32 v[4:5], s[6:7], v[2:3]
	v_mov_b64_e32 v[2:3], 0
	s_lshl_b32 s6, s4, 3
	s_mov_b32 s7, s5
	s_mov_b32 s10, s5
.LBB184_2:                              ; =>This Inner Loop Header: Depth=1
	global_load_b64 v[8:9], v[4:5], off
	v_add_nc_u64_e32 v[6:7], s[4:5], v[6:7]
	s_wait_xcnt 0x0
	v_add_nc_u64_e32 v[4:5], s[6:7], v[4:5]
	s_delay_alu instid0(VALU_DEP_2)
	v_cmp_le_u64_e32 vcc_lo, s[2:3], v[6:7]
	s_or_b32 s10, vcc_lo, s10
	s_wait_loadcnt 0x0
	v_add_f64_e32 v[2:3], v[2:3], v[8:9]
	s_and_not1_b32 exec_lo, exec_lo, s10
	s_cbranch_execnz .LBB184_2
; %bb.3:
	s_or_b32 exec_lo, exec_lo, s10
.LBB184_4:
	s_delay_alu instid0(SALU_CYCLE_1) | instskip(SKIP_4) | instid1(VALU_DEP_2)
	s_or_b32 exec_lo, exec_lo, s9
	v_mbcnt_lo_u32_b32 v9, -1, 0
	v_and_b32_e32 v10, 31, v0
	s_mov_b32 s2, exec_lo
	s_barrier_signal -1
	v_lshl_or_b32 v1, v9, 2, 64
	v_cmp_gt_u32_e32 vcc_lo, 24, v9
	s_barrier_wait -1
	ds_bpermute_b32 v4, v1, v2
	ds_bpermute_b32 v5, v1, v3
	s_wait_dscnt 0x0
	v_add_f64_e32 v[2:3], v[2:3], v[4:5]
	v_cndmask_b32_e64 v4, 0, 8, vcc_lo
	v_cmp_gt_u32_e32 vcc_lo, 28, v9
	s_delay_alu instid0(VALU_DEP_2)
	v_add_lshl_u32 v6, v4, v9, 2
	ds_bpermute_b32 v4, v6, v2
	ds_bpermute_b32 v5, v6, v3
	s_wait_dscnt 0x0
	v_add_f64_e32 v[2:3], v[2:3], v[4:5]
	v_cndmask_b32_e64 v4, 0, 4, vcc_lo
	v_cmp_gt_u32_e32 vcc_lo, 30, v9
	s_delay_alu instid0(VALU_DEP_2)
	v_add_lshl_u32 v7, v4, v9, 2
	ds_bpermute_b32 v4, v7, v2
	ds_bpermute_b32 v5, v7, v3
	s_wait_dscnt 0x0
	v_add_f64_e32 v[2:3], v[2:3], v[4:5]
	v_cndmask_b32_e64 v4, 0, 2, vcc_lo
	v_cmp_ne_u32_e32 vcc_lo, 31, v9
	s_delay_alu instid0(VALU_DEP_2)
	v_add_lshl_u32 v8, v4, v9, 2
	ds_bpermute_b32 v4, v8, v2
	ds_bpermute_b32 v5, v8, v3
	s_wait_dscnt 0x0
	v_add_f64_e32 v[2:3], v[2:3], v[4:5]
	v_add_co_ci_u32_e64 v4, null, 0, v9, vcc_lo
	s_delay_alu instid0(VALU_DEP_1)
	v_lshlrev_b32_e32 v9, 2, v4
	ds_bpermute_b32 v4, v9, v2
	ds_bpermute_b32 v5, v9, v3
	v_cmpx_eq_u32_e32 0, v10
	s_cbranch_execz .LBB184_6
; %bb.5:
	s_wait_dscnt 0x0
	v_add_f64_e32 v[2:3], v[2:3], v[4:5]
	v_lshrrev_b32_e32 v4, 2, v0
	ds_store_b64 v4, v[2:3]
.LBB184_6:
	s_or_b32 exec_lo, exec_lo, s2
	s_wait_dscnt 0x0
	s_barrier_signal -1
	s_barrier_wait -1
	s_load_b32 s2, s[0:1], 0xc9c
	v_mov_b64_e32 v[2:3], 0
	s_wait_kmcnt 0x0
	s_bfe_u32 s2, s2, 0xb0005
	s_delay_alu instid0(SALU_CYCLE_1)
	v_cmp_gt_u32_e32 vcc_lo, s2, v0
	s_and_saveexec_b32 s2, vcc_lo
; %bb.7:
	v_lshlrev_b32_e32 v2, 3, v10
	ds_load_b64 v[2:3], v2
; %bb.8:
	s_or_b32 exec_lo, exec_lo, s2
	s_delay_alu instid0(SALU_CYCLE_1)
	s_mov_b32 s2, exec_lo
	v_cmpx_gt_u32_e32 32, v0
	s_cbranch_execz .LBB184_10
; %bb.9:
	s_wait_dscnt 0x0
	ds_bpermute_b32 v4, v1, v2
	ds_bpermute_b32 v5, v1, v3
	s_wait_dscnt 0x0
	v_add_f64_e32 v[2:3], v[2:3], v[4:5]
	ds_bpermute_b32 v4, v6, v2
	ds_bpermute_b32 v5, v6, v3
	s_wait_dscnt 0x0
	v_add_f64_e32 v[2:3], v[2:3], v[4:5]
	;; [unrolled: 4-line block ×5, first 2 shown]
.LBB184_10:
	s_or_b32 exec_lo, exec_lo, s2
	s_delay_alu instid0(SALU_CYCLE_1)
	s_mov_b32 s2, exec_lo
	v_cmpx_eq_u32_e32 0, v0
	s_cbranch_execz .LBB184_12
; %bb.11:
	s_load_b64 s[0:1], s[0:1], s8 offset:0x8 scale_offset
	v_mov_b32_e32 v0, 0
	s_wait_dscnt 0x0
	s_wait_kmcnt 0x0
	global_store_b64 v0, v[2:3], s[0:1]
.LBB184_12:
	s_endpgm
	.section	.rodata,"a",@progbits
	.p2align	6, 0x0
	.amdhsa_kernel _ZN2at6native14lpnorm_cleanupIN3c108BFloat16ELNS0_8NormTypeE0EdLb0EdEEvPKT3_NS0_19TensorListAddressesEi
		.amdhsa_group_segment_fixed_size 4096
		.amdhsa_private_segment_fixed_size 0
		.amdhsa_kernarg_size 3472
		.amdhsa_user_sgpr_count 2
		.amdhsa_user_sgpr_dispatch_ptr 0
		.amdhsa_user_sgpr_queue_ptr 0
		.amdhsa_user_sgpr_kernarg_segment_ptr 1
		.amdhsa_user_sgpr_dispatch_id 0
		.amdhsa_user_sgpr_kernarg_preload_length 0
		.amdhsa_user_sgpr_kernarg_preload_offset 0
		.amdhsa_user_sgpr_private_segment_size 0
		.amdhsa_wavefront_size32 1
		.amdhsa_uses_dynamic_stack 0
		.amdhsa_enable_private_segment 0
		.amdhsa_system_sgpr_workgroup_id_x 1
		.amdhsa_system_sgpr_workgroup_id_y 0
		.amdhsa_system_sgpr_workgroup_id_z 0
		.amdhsa_system_sgpr_workgroup_info 0
		.amdhsa_system_vgpr_workitem_id 0
		.amdhsa_next_free_vgpr 11
		.amdhsa_next_free_sgpr 12
		.amdhsa_named_barrier_count 0
		.amdhsa_reserve_vcc 1
		.amdhsa_float_round_mode_32 0
		.amdhsa_float_round_mode_16_64 0
		.amdhsa_float_denorm_mode_32 3
		.amdhsa_float_denorm_mode_16_64 3
		.amdhsa_fp16_overflow 0
		.amdhsa_memory_ordered 1
		.amdhsa_forward_progress 1
		.amdhsa_inst_pref_size 6
		.amdhsa_round_robin_scheduling 0
		.amdhsa_exception_fp_ieee_invalid_op 0
		.amdhsa_exception_fp_denorm_src 0
		.amdhsa_exception_fp_ieee_div_zero 0
		.amdhsa_exception_fp_ieee_overflow 0
		.amdhsa_exception_fp_ieee_underflow 0
		.amdhsa_exception_fp_ieee_inexact 0
		.amdhsa_exception_int_div_zero 0
	.end_amdhsa_kernel
	.section	.text._ZN2at6native14lpnorm_cleanupIN3c108BFloat16ELNS0_8NormTypeE0EdLb0EdEEvPKT3_NS0_19TensorListAddressesEi,"axG",@progbits,_ZN2at6native14lpnorm_cleanupIN3c108BFloat16ELNS0_8NormTypeE0EdLb0EdEEvPKT3_NS0_19TensorListAddressesEi,comdat
.Lfunc_end184:
	.size	_ZN2at6native14lpnorm_cleanupIN3c108BFloat16ELNS0_8NormTypeE0EdLb0EdEEvPKT3_NS0_19TensorListAddressesEi, .Lfunc_end184-_ZN2at6native14lpnorm_cleanupIN3c108BFloat16ELNS0_8NormTypeE0EdLb0EdEEvPKT3_NS0_19TensorListAddressesEi
                                        ; -- End function
	.set _ZN2at6native14lpnorm_cleanupIN3c108BFloat16ELNS0_8NormTypeE0EdLb0EdEEvPKT3_NS0_19TensorListAddressesEi.num_vgpr, 11
	.set _ZN2at6native14lpnorm_cleanupIN3c108BFloat16ELNS0_8NormTypeE0EdLb0EdEEvPKT3_NS0_19TensorListAddressesEi.num_agpr, 0
	.set _ZN2at6native14lpnorm_cleanupIN3c108BFloat16ELNS0_8NormTypeE0EdLb0EdEEvPKT3_NS0_19TensorListAddressesEi.numbered_sgpr, 12
	.set _ZN2at6native14lpnorm_cleanupIN3c108BFloat16ELNS0_8NormTypeE0EdLb0EdEEvPKT3_NS0_19TensorListAddressesEi.num_named_barrier, 0
	.set _ZN2at6native14lpnorm_cleanupIN3c108BFloat16ELNS0_8NormTypeE0EdLb0EdEEvPKT3_NS0_19TensorListAddressesEi.private_seg_size, 0
	.set _ZN2at6native14lpnorm_cleanupIN3c108BFloat16ELNS0_8NormTypeE0EdLb0EdEEvPKT3_NS0_19TensorListAddressesEi.uses_vcc, 1
	.set _ZN2at6native14lpnorm_cleanupIN3c108BFloat16ELNS0_8NormTypeE0EdLb0EdEEvPKT3_NS0_19TensorListAddressesEi.uses_flat_scratch, 0
	.set _ZN2at6native14lpnorm_cleanupIN3c108BFloat16ELNS0_8NormTypeE0EdLb0EdEEvPKT3_NS0_19TensorListAddressesEi.has_dyn_sized_stack, 0
	.set _ZN2at6native14lpnorm_cleanupIN3c108BFloat16ELNS0_8NormTypeE0EdLb0EdEEvPKT3_NS0_19TensorListAddressesEi.has_recursion, 0
	.set _ZN2at6native14lpnorm_cleanupIN3c108BFloat16ELNS0_8NormTypeE0EdLb0EdEEvPKT3_NS0_19TensorListAddressesEi.has_indirect_call, 0
	.section	.AMDGPU.csdata,"",@progbits
; Kernel info:
; codeLenInByte = 756
; TotalNumSgprs: 14
; NumVgprs: 11
; ScratchSize: 0
; MemoryBound: 0
; FloatMode: 240
; IeeeMode: 1
; LDSByteSize: 4096 bytes/workgroup (compile time only)
; SGPRBlocks: 0
; VGPRBlocks: 0
; NumSGPRsForWavesPerEU: 14
; NumVGPRsForWavesPerEU: 11
; NamedBarCnt: 0
; Occupancy: 16
; WaveLimiterHint : 0
; COMPUTE_PGM_RSRC2:SCRATCH_EN: 0
; COMPUTE_PGM_RSRC2:USER_SGPR: 2
; COMPUTE_PGM_RSRC2:TRAP_HANDLER: 0
; COMPUTE_PGM_RSRC2:TGID_X_EN: 1
; COMPUTE_PGM_RSRC2:TGID_Y_EN: 0
; COMPUTE_PGM_RSRC2:TGID_Z_EN: 0
; COMPUTE_PGM_RSRC2:TIDIG_COMP_CNT: 0
	.section	.text._ZN2at6native14lpnorm_cleanupIN3c108BFloat16ELNS0_8NormTypeE1EdLb0EdEEvPKT3_NS0_19TensorListAddressesEi,"axG",@progbits,_ZN2at6native14lpnorm_cleanupIN3c108BFloat16ELNS0_8NormTypeE1EdLb0EdEEvPKT3_NS0_19TensorListAddressesEi,comdat
	.protected	_ZN2at6native14lpnorm_cleanupIN3c108BFloat16ELNS0_8NormTypeE1EdLb0EdEEvPKT3_NS0_19TensorListAddressesEi ; -- Begin function _ZN2at6native14lpnorm_cleanupIN3c108BFloat16ELNS0_8NormTypeE1EdLb0EdEEvPKT3_NS0_19TensorListAddressesEi
	.globl	_ZN2at6native14lpnorm_cleanupIN3c108BFloat16ELNS0_8NormTypeE1EdLb0EdEEvPKT3_NS0_19TensorListAddressesEi
	.p2align	8
	.type	_ZN2at6native14lpnorm_cleanupIN3c108BFloat16ELNS0_8NormTypeE1EdLb0EdEEvPKT3_NS0_19TensorListAddressesEi,@function
_ZN2at6native14lpnorm_cleanupIN3c108BFloat16ELNS0_8NormTypeE1EdLb0EdEEvPKT3_NS0_19TensorListAddressesEi: ; @_ZN2at6native14lpnorm_cleanupIN3c108BFloat16ELNS0_8NormTypeE1EdLb0EdEEvPKT3_NS0_19TensorListAddressesEi
; %bb.0:
	s_load_b32 s2, s[0:1], 0xc88
	s_bfe_u32 s3, ttmp6, 0x4000c
	s_and_b32 s4, ttmp6, 15
	s_add_co_i32 s3, s3, 1
	v_mov_b64_e32 v[2:3], 0
	s_mul_i32 s3, ttmp9, s3
	s_mov_b32 s5, 0
	s_add_co_i32 s4, s4, s3
	s_getreg_b32 s3, hwreg(HW_REG_IB_STS2, 6, 4)
	s_mov_b32 s9, exec_lo
	s_cmp_eq_u32 s3, 0
	s_cselect_b32 s8, ttmp9, s4
	s_wait_kmcnt 0x0
	v_cmpx_gt_u32_e64 s2, v0
	s_cbranch_execz .LBB185_4
; %bb.1:
	s_clause 0x1
	s_load_b64 s[6:7], s[0:1], 0x0
	s_load_b32 s4, s[0:1], 0xc9c
	v_dual_mov_b32 v1, 0 :: v_dual_lshlrev_b32 v2, 3, v0
	s_mul_i32 s10, s2, s8
	s_mov_b32 s11, s5
	s_ashr_i32 s3, s2, 31
	s_delay_alu instid0(VALU_DEP_1)
	v_mov_b32_e32 v3, v1
	s_lshl_b64 s[10:11], s[10:11], 3
	v_mov_b64_e32 v[6:7], v[0:1]
	s_wait_kmcnt 0x0
	s_add_nc_u64 s[6:7], s[6:7], s[10:11]
	s_and_b32 s4, s4, 0xffff
	v_add_nc_u64_e32 v[4:5], s[6:7], v[2:3]
	v_mov_b64_e32 v[2:3], 0
	s_lshl_b32 s6, s4, 3
	s_mov_b32 s7, s5
	s_mov_b32 s10, s5
.LBB185_2:                              ; =>This Inner Loop Header: Depth=1
	global_load_b64 v[8:9], v[4:5], off
	v_add_nc_u64_e32 v[6:7], s[4:5], v[6:7]
	s_wait_xcnt 0x0
	v_add_nc_u64_e32 v[4:5], s[6:7], v[4:5]
	s_delay_alu instid0(VALU_DEP_2)
	v_cmp_le_u64_e32 vcc_lo, s[2:3], v[6:7]
	s_or_b32 s10, vcc_lo, s10
	s_wait_loadcnt 0x0
	v_add_f64_e32 v[2:3], v[2:3], v[8:9]
	s_and_not1_b32 exec_lo, exec_lo, s10
	s_cbranch_execnz .LBB185_2
; %bb.3:
	s_or_b32 exec_lo, exec_lo, s10
.LBB185_4:
	s_delay_alu instid0(SALU_CYCLE_1) | instskip(SKIP_4) | instid1(VALU_DEP_2)
	s_or_b32 exec_lo, exec_lo, s9
	v_mbcnt_lo_u32_b32 v9, -1, 0
	v_and_b32_e32 v10, 31, v0
	s_mov_b32 s2, exec_lo
	s_barrier_signal -1
	v_lshl_or_b32 v1, v9, 2, 64
	v_cmp_gt_u32_e32 vcc_lo, 24, v9
	s_barrier_wait -1
	ds_bpermute_b32 v4, v1, v2
	ds_bpermute_b32 v5, v1, v3
	s_wait_dscnt 0x0
	v_add_f64_e32 v[2:3], v[2:3], v[4:5]
	v_cndmask_b32_e64 v4, 0, 8, vcc_lo
	v_cmp_gt_u32_e32 vcc_lo, 28, v9
	s_delay_alu instid0(VALU_DEP_2)
	v_add_lshl_u32 v6, v4, v9, 2
	ds_bpermute_b32 v4, v6, v2
	ds_bpermute_b32 v5, v6, v3
	s_wait_dscnt 0x0
	v_add_f64_e32 v[2:3], v[2:3], v[4:5]
	v_cndmask_b32_e64 v4, 0, 4, vcc_lo
	v_cmp_gt_u32_e32 vcc_lo, 30, v9
	s_delay_alu instid0(VALU_DEP_2)
	v_add_lshl_u32 v7, v4, v9, 2
	ds_bpermute_b32 v4, v7, v2
	ds_bpermute_b32 v5, v7, v3
	s_wait_dscnt 0x0
	v_add_f64_e32 v[2:3], v[2:3], v[4:5]
	v_cndmask_b32_e64 v4, 0, 2, vcc_lo
	v_cmp_ne_u32_e32 vcc_lo, 31, v9
	s_delay_alu instid0(VALU_DEP_2)
	v_add_lshl_u32 v8, v4, v9, 2
	ds_bpermute_b32 v4, v8, v2
	ds_bpermute_b32 v5, v8, v3
	s_wait_dscnt 0x0
	v_add_f64_e32 v[2:3], v[2:3], v[4:5]
	v_add_co_ci_u32_e64 v4, null, 0, v9, vcc_lo
	s_delay_alu instid0(VALU_DEP_1)
	v_lshlrev_b32_e32 v9, 2, v4
	ds_bpermute_b32 v4, v9, v2
	ds_bpermute_b32 v5, v9, v3
	v_cmpx_eq_u32_e32 0, v10
	s_cbranch_execz .LBB185_6
; %bb.5:
	s_wait_dscnt 0x0
	v_add_f64_e32 v[2:3], v[2:3], v[4:5]
	v_lshrrev_b32_e32 v4, 2, v0
	ds_store_b64 v4, v[2:3]
.LBB185_6:
	s_or_b32 exec_lo, exec_lo, s2
	s_wait_dscnt 0x0
	s_barrier_signal -1
	s_barrier_wait -1
	s_load_b32 s2, s[0:1], 0xc9c
	v_mov_b64_e32 v[2:3], 0
	s_wait_kmcnt 0x0
	s_bfe_u32 s2, s2, 0xb0005
	s_delay_alu instid0(SALU_CYCLE_1)
	v_cmp_gt_u32_e32 vcc_lo, s2, v0
	s_and_saveexec_b32 s2, vcc_lo
; %bb.7:
	v_lshlrev_b32_e32 v2, 3, v10
	ds_load_b64 v[2:3], v2
; %bb.8:
	s_or_b32 exec_lo, exec_lo, s2
	s_delay_alu instid0(SALU_CYCLE_1)
	s_mov_b32 s2, exec_lo
	v_cmpx_gt_u32_e32 32, v0
	s_cbranch_execz .LBB185_10
; %bb.9:
	s_wait_dscnt 0x0
	ds_bpermute_b32 v4, v1, v2
	ds_bpermute_b32 v5, v1, v3
	s_wait_dscnt 0x0
	v_add_f64_e32 v[2:3], v[2:3], v[4:5]
	ds_bpermute_b32 v4, v6, v2
	ds_bpermute_b32 v5, v6, v3
	s_wait_dscnt 0x0
	v_add_f64_e32 v[2:3], v[2:3], v[4:5]
	;; [unrolled: 4-line block ×5, first 2 shown]
.LBB185_10:
	s_or_b32 exec_lo, exec_lo, s2
	s_delay_alu instid0(SALU_CYCLE_1)
	s_mov_b32 s2, exec_lo
	v_cmpx_eq_u32_e32 0, v0
	s_cbranch_execz .LBB185_12
; %bb.11:
	s_load_b64 s[0:1], s[0:1], s8 offset:0x8 scale_offset
	v_mov_b32_e32 v0, 0
	s_wait_dscnt 0x0
	s_wait_kmcnt 0x0
	global_store_b64 v0, v[2:3], s[0:1]
.LBB185_12:
	s_endpgm
	.section	.rodata,"a",@progbits
	.p2align	6, 0x0
	.amdhsa_kernel _ZN2at6native14lpnorm_cleanupIN3c108BFloat16ELNS0_8NormTypeE1EdLb0EdEEvPKT3_NS0_19TensorListAddressesEi
		.amdhsa_group_segment_fixed_size 4096
		.amdhsa_private_segment_fixed_size 0
		.amdhsa_kernarg_size 3472
		.amdhsa_user_sgpr_count 2
		.amdhsa_user_sgpr_dispatch_ptr 0
		.amdhsa_user_sgpr_queue_ptr 0
		.amdhsa_user_sgpr_kernarg_segment_ptr 1
		.amdhsa_user_sgpr_dispatch_id 0
		.amdhsa_user_sgpr_kernarg_preload_length 0
		.amdhsa_user_sgpr_kernarg_preload_offset 0
		.amdhsa_user_sgpr_private_segment_size 0
		.amdhsa_wavefront_size32 1
		.amdhsa_uses_dynamic_stack 0
		.amdhsa_enable_private_segment 0
		.amdhsa_system_sgpr_workgroup_id_x 1
		.amdhsa_system_sgpr_workgroup_id_y 0
		.amdhsa_system_sgpr_workgroup_id_z 0
		.amdhsa_system_sgpr_workgroup_info 0
		.amdhsa_system_vgpr_workitem_id 0
		.amdhsa_next_free_vgpr 11
		.amdhsa_next_free_sgpr 12
		.amdhsa_named_barrier_count 0
		.amdhsa_reserve_vcc 1
		.amdhsa_float_round_mode_32 0
		.amdhsa_float_round_mode_16_64 0
		.amdhsa_float_denorm_mode_32 3
		.amdhsa_float_denorm_mode_16_64 3
		.amdhsa_fp16_overflow 0
		.amdhsa_memory_ordered 1
		.amdhsa_forward_progress 1
		.amdhsa_inst_pref_size 6
		.amdhsa_round_robin_scheduling 0
		.amdhsa_exception_fp_ieee_invalid_op 0
		.amdhsa_exception_fp_denorm_src 0
		.amdhsa_exception_fp_ieee_div_zero 0
		.amdhsa_exception_fp_ieee_overflow 0
		.amdhsa_exception_fp_ieee_underflow 0
		.amdhsa_exception_fp_ieee_inexact 0
		.amdhsa_exception_int_div_zero 0
	.end_amdhsa_kernel
	.section	.text._ZN2at6native14lpnorm_cleanupIN3c108BFloat16ELNS0_8NormTypeE1EdLb0EdEEvPKT3_NS0_19TensorListAddressesEi,"axG",@progbits,_ZN2at6native14lpnorm_cleanupIN3c108BFloat16ELNS0_8NormTypeE1EdLb0EdEEvPKT3_NS0_19TensorListAddressesEi,comdat
.Lfunc_end185:
	.size	_ZN2at6native14lpnorm_cleanupIN3c108BFloat16ELNS0_8NormTypeE1EdLb0EdEEvPKT3_NS0_19TensorListAddressesEi, .Lfunc_end185-_ZN2at6native14lpnorm_cleanupIN3c108BFloat16ELNS0_8NormTypeE1EdLb0EdEEvPKT3_NS0_19TensorListAddressesEi
                                        ; -- End function
	.set _ZN2at6native14lpnorm_cleanupIN3c108BFloat16ELNS0_8NormTypeE1EdLb0EdEEvPKT3_NS0_19TensorListAddressesEi.num_vgpr, 11
	.set _ZN2at6native14lpnorm_cleanupIN3c108BFloat16ELNS0_8NormTypeE1EdLb0EdEEvPKT3_NS0_19TensorListAddressesEi.num_agpr, 0
	.set _ZN2at6native14lpnorm_cleanupIN3c108BFloat16ELNS0_8NormTypeE1EdLb0EdEEvPKT3_NS0_19TensorListAddressesEi.numbered_sgpr, 12
	.set _ZN2at6native14lpnorm_cleanupIN3c108BFloat16ELNS0_8NormTypeE1EdLb0EdEEvPKT3_NS0_19TensorListAddressesEi.num_named_barrier, 0
	.set _ZN2at6native14lpnorm_cleanupIN3c108BFloat16ELNS0_8NormTypeE1EdLb0EdEEvPKT3_NS0_19TensorListAddressesEi.private_seg_size, 0
	.set _ZN2at6native14lpnorm_cleanupIN3c108BFloat16ELNS0_8NormTypeE1EdLb0EdEEvPKT3_NS0_19TensorListAddressesEi.uses_vcc, 1
	.set _ZN2at6native14lpnorm_cleanupIN3c108BFloat16ELNS0_8NormTypeE1EdLb0EdEEvPKT3_NS0_19TensorListAddressesEi.uses_flat_scratch, 0
	.set _ZN2at6native14lpnorm_cleanupIN3c108BFloat16ELNS0_8NormTypeE1EdLb0EdEEvPKT3_NS0_19TensorListAddressesEi.has_dyn_sized_stack, 0
	.set _ZN2at6native14lpnorm_cleanupIN3c108BFloat16ELNS0_8NormTypeE1EdLb0EdEEvPKT3_NS0_19TensorListAddressesEi.has_recursion, 0
	.set _ZN2at6native14lpnorm_cleanupIN3c108BFloat16ELNS0_8NormTypeE1EdLb0EdEEvPKT3_NS0_19TensorListAddressesEi.has_indirect_call, 0
	.section	.AMDGPU.csdata,"",@progbits
; Kernel info:
; codeLenInByte = 756
; TotalNumSgprs: 14
; NumVgprs: 11
; ScratchSize: 0
; MemoryBound: 0
; FloatMode: 240
; IeeeMode: 1
; LDSByteSize: 4096 bytes/workgroup (compile time only)
; SGPRBlocks: 0
; VGPRBlocks: 0
; NumSGPRsForWavesPerEU: 14
; NumVGPRsForWavesPerEU: 11
; NamedBarCnt: 0
; Occupancy: 16
; WaveLimiterHint : 0
; COMPUTE_PGM_RSRC2:SCRATCH_EN: 0
; COMPUTE_PGM_RSRC2:USER_SGPR: 2
; COMPUTE_PGM_RSRC2:TRAP_HANDLER: 0
; COMPUTE_PGM_RSRC2:TGID_X_EN: 1
; COMPUTE_PGM_RSRC2:TGID_Y_EN: 0
; COMPUTE_PGM_RSRC2:TGID_Z_EN: 0
; COMPUTE_PGM_RSRC2:TIDIG_COMP_CNT: 0
	.section	.text._ZN2at6native14lpnorm_cleanupIN3c108BFloat16ELNS0_8NormTypeE2EdLb0EdEEvPKT3_NS0_19TensorListAddressesEi,"axG",@progbits,_ZN2at6native14lpnorm_cleanupIN3c108BFloat16ELNS0_8NormTypeE2EdLb0EdEEvPKT3_NS0_19TensorListAddressesEi,comdat
	.protected	_ZN2at6native14lpnorm_cleanupIN3c108BFloat16ELNS0_8NormTypeE2EdLb0EdEEvPKT3_NS0_19TensorListAddressesEi ; -- Begin function _ZN2at6native14lpnorm_cleanupIN3c108BFloat16ELNS0_8NormTypeE2EdLb0EdEEvPKT3_NS0_19TensorListAddressesEi
	.globl	_ZN2at6native14lpnorm_cleanupIN3c108BFloat16ELNS0_8NormTypeE2EdLb0EdEEvPKT3_NS0_19TensorListAddressesEi
	.p2align	8
	.type	_ZN2at6native14lpnorm_cleanupIN3c108BFloat16ELNS0_8NormTypeE2EdLb0EdEEvPKT3_NS0_19TensorListAddressesEi,@function
_ZN2at6native14lpnorm_cleanupIN3c108BFloat16ELNS0_8NormTypeE2EdLb0EdEEvPKT3_NS0_19TensorListAddressesEi: ; @_ZN2at6native14lpnorm_cleanupIN3c108BFloat16ELNS0_8NormTypeE2EdLb0EdEEvPKT3_NS0_19TensorListAddressesEi
; %bb.0:
	s_load_b32 s2, s[0:1], 0xc88
	s_bfe_u32 s3, ttmp6, 0x4000c
	s_and_b32 s4, ttmp6, 15
	s_add_co_i32 s3, s3, 1
	v_mov_b64_e32 v[2:3], 0
	s_mul_i32 s3, ttmp9, s3
	s_mov_b32 s5, 0
	s_add_co_i32 s4, s4, s3
	s_getreg_b32 s3, hwreg(HW_REG_IB_STS2, 6, 4)
	s_mov_b32 s9, exec_lo
	s_cmp_eq_u32 s3, 0
	s_cselect_b32 s8, ttmp9, s4
	s_wait_kmcnt 0x0
	v_cmpx_gt_u32_e64 s2, v0
	s_cbranch_execz .LBB186_4
; %bb.1:
	s_clause 0x1
	s_load_b64 s[6:7], s[0:1], 0x0
	s_load_b32 s4, s[0:1], 0xc9c
	v_dual_mov_b32 v1, 0 :: v_dual_lshlrev_b32 v2, 3, v0
	s_mul_i32 s10, s2, s8
	s_mov_b32 s11, s5
	s_ashr_i32 s3, s2, 31
	s_delay_alu instid0(VALU_DEP_1)
	v_mov_b32_e32 v3, v1
	s_lshl_b64 s[10:11], s[10:11], 3
	v_mov_b64_e32 v[6:7], v[0:1]
	s_wait_kmcnt 0x0
	s_add_nc_u64 s[6:7], s[6:7], s[10:11]
	s_and_b32 s4, s4, 0xffff
	v_add_nc_u64_e32 v[4:5], s[6:7], v[2:3]
	v_mov_b64_e32 v[2:3], 0
	s_lshl_b32 s6, s4, 3
	s_mov_b32 s7, s5
	s_mov_b32 s10, s5
.LBB186_2:                              ; =>This Inner Loop Header: Depth=1
	global_load_b64 v[8:9], v[4:5], off
	v_add_nc_u64_e32 v[6:7], s[4:5], v[6:7]
	s_wait_xcnt 0x0
	v_add_nc_u64_e32 v[4:5], s[6:7], v[4:5]
	s_delay_alu instid0(VALU_DEP_2)
	v_cmp_le_u64_e32 vcc_lo, s[2:3], v[6:7]
	s_or_b32 s10, vcc_lo, s10
	s_wait_loadcnt 0x0
	v_add_f64_e32 v[2:3], v[2:3], v[8:9]
	s_and_not1_b32 exec_lo, exec_lo, s10
	s_cbranch_execnz .LBB186_2
; %bb.3:
	s_or_b32 exec_lo, exec_lo, s10
.LBB186_4:
	s_delay_alu instid0(SALU_CYCLE_1) | instskip(SKIP_4) | instid1(VALU_DEP_2)
	s_or_b32 exec_lo, exec_lo, s9
	v_mbcnt_lo_u32_b32 v9, -1, 0
	v_and_b32_e32 v10, 31, v0
	s_mov_b32 s2, exec_lo
	s_barrier_signal -1
	v_lshl_or_b32 v1, v9, 2, 64
	v_cmp_gt_u32_e32 vcc_lo, 24, v9
	s_barrier_wait -1
	ds_bpermute_b32 v4, v1, v2
	ds_bpermute_b32 v5, v1, v3
	s_wait_dscnt 0x0
	v_add_f64_e32 v[2:3], v[2:3], v[4:5]
	v_cndmask_b32_e64 v4, 0, 8, vcc_lo
	v_cmp_gt_u32_e32 vcc_lo, 28, v9
	s_delay_alu instid0(VALU_DEP_2)
	v_add_lshl_u32 v6, v4, v9, 2
	ds_bpermute_b32 v4, v6, v2
	ds_bpermute_b32 v5, v6, v3
	s_wait_dscnt 0x0
	v_add_f64_e32 v[2:3], v[2:3], v[4:5]
	v_cndmask_b32_e64 v4, 0, 4, vcc_lo
	v_cmp_gt_u32_e32 vcc_lo, 30, v9
	s_delay_alu instid0(VALU_DEP_2)
	v_add_lshl_u32 v7, v4, v9, 2
	ds_bpermute_b32 v4, v7, v2
	ds_bpermute_b32 v5, v7, v3
	s_wait_dscnt 0x0
	v_add_f64_e32 v[2:3], v[2:3], v[4:5]
	v_cndmask_b32_e64 v4, 0, 2, vcc_lo
	v_cmp_ne_u32_e32 vcc_lo, 31, v9
	s_delay_alu instid0(VALU_DEP_2)
	v_add_lshl_u32 v8, v4, v9, 2
	ds_bpermute_b32 v4, v8, v2
	ds_bpermute_b32 v5, v8, v3
	s_wait_dscnt 0x0
	v_add_f64_e32 v[2:3], v[2:3], v[4:5]
	v_add_co_ci_u32_e64 v4, null, 0, v9, vcc_lo
	s_delay_alu instid0(VALU_DEP_1)
	v_lshlrev_b32_e32 v9, 2, v4
	ds_bpermute_b32 v4, v9, v2
	ds_bpermute_b32 v5, v9, v3
	v_cmpx_eq_u32_e32 0, v10
	s_cbranch_execz .LBB186_6
; %bb.5:
	s_wait_dscnt 0x0
	v_add_f64_e32 v[2:3], v[2:3], v[4:5]
	v_lshrrev_b32_e32 v4, 2, v0
	ds_store_b64 v4, v[2:3]
.LBB186_6:
	s_or_b32 exec_lo, exec_lo, s2
	s_wait_dscnt 0x0
	s_barrier_signal -1
	s_barrier_wait -1
	s_load_b32 s2, s[0:1], 0xc9c
	v_mov_b64_e32 v[2:3], 0
	s_wait_kmcnt 0x0
	s_bfe_u32 s2, s2, 0xb0005
	s_delay_alu instid0(SALU_CYCLE_1)
	v_cmp_gt_u32_e32 vcc_lo, s2, v0
	s_and_saveexec_b32 s2, vcc_lo
; %bb.7:
	v_lshlrev_b32_e32 v2, 3, v10
	ds_load_b64 v[2:3], v2
; %bb.8:
	s_or_b32 exec_lo, exec_lo, s2
	s_delay_alu instid0(SALU_CYCLE_1)
	s_mov_b32 s2, exec_lo
	v_cmpx_gt_u32_e32 32, v0
	s_cbranch_execz .LBB186_10
; %bb.9:
	s_wait_dscnt 0x0
	ds_bpermute_b32 v4, v1, v2
	ds_bpermute_b32 v5, v1, v3
	s_wait_dscnt 0x0
	v_add_f64_e32 v[2:3], v[2:3], v[4:5]
	ds_bpermute_b32 v4, v6, v2
	ds_bpermute_b32 v5, v6, v3
	s_wait_dscnt 0x0
	v_add_f64_e32 v[2:3], v[2:3], v[4:5]
	;; [unrolled: 4-line block ×5, first 2 shown]
.LBB186_10:
	s_or_b32 exec_lo, exec_lo, s2
	s_delay_alu instid0(SALU_CYCLE_1)
	s_mov_b32 s2, exec_lo
	v_cmpx_eq_u32_e32 0, v0
	s_cbranch_execz .LBB186_12
; %bb.11:
	s_load_b64 s[0:1], s[0:1], s8 offset:0x8 scale_offset
	v_mov_b32_e32 v0, 0
	s_wait_dscnt 0x0
	s_wait_kmcnt 0x0
	global_store_b64 v0, v[2:3], s[0:1]
.LBB186_12:
	s_endpgm
	.section	.rodata,"a",@progbits
	.p2align	6, 0x0
	.amdhsa_kernel _ZN2at6native14lpnorm_cleanupIN3c108BFloat16ELNS0_8NormTypeE2EdLb0EdEEvPKT3_NS0_19TensorListAddressesEi
		.amdhsa_group_segment_fixed_size 4096
		.amdhsa_private_segment_fixed_size 0
		.amdhsa_kernarg_size 3472
		.amdhsa_user_sgpr_count 2
		.amdhsa_user_sgpr_dispatch_ptr 0
		.amdhsa_user_sgpr_queue_ptr 0
		.amdhsa_user_sgpr_kernarg_segment_ptr 1
		.amdhsa_user_sgpr_dispatch_id 0
		.amdhsa_user_sgpr_kernarg_preload_length 0
		.amdhsa_user_sgpr_kernarg_preload_offset 0
		.amdhsa_user_sgpr_private_segment_size 0
		.amdhsa_wavefront_size32 1
		.amdhsa_uses_dynamic_stack 0
		.amdhsa_enable_private_segment 0
		.amdhsa_system_sgpr_workgroup_id_x 1
		.amdhsa_system_sgpr_workgroup_id_y 0
		.amdhsa_system_sgpr_workgroup_id_z 0
		.amdhsa_system_sgpr_workgroup_info 0
		.amdhsa_system_vgpr_workitem_id 0
		.amdhsa_next_free_vgpr 11
		.amdhsa_next_free_sgpr 12
		.amdhsa_named_barrier_count 0
		.amdhsa_reserve_vcc 1
		.amdhsa_float_round_mode_32 0
		.amdhsa_float_round_mode_16_64 0
		.amdhsa_float_denorm_mode_32 3
		.amdhsa_float_denorm_mode_16_64 3
		.amdhsa_fp16_overflow 0
		.amdhsa_memory_ordered 1
		.amdhsa_forward_progress 1
		.amdhsa_inst_pref_size 6
		.amdhsa_round_robin_scheduling 0
		.amdhsa_exception_fp_ieee_invalid_op 0
		.amdhsa_exception_fp_denorm_src 0
		.amdhsa_exception_fp_ieee_div_zero 0
		.amdhsa_exception_fp_ieee_overflow 0
		.amdhsa_exception_fp_ieee_underflow 0
		.amdhsa_exception_fp_ieee_inexact 0
		.amdhsa_exception_int_div_zero 0
	.end_amdhsa_kernel
	.section	.text._ZN2at6native14lpnorm_cleanupIN3c108BFloat16ELNS0_8NormTypeE2EdLb0EdEEvPKT3_NS0_19TensorListAddressesEi,"axG",@progbits,_ZN2at6native14lpnorm_cleanupIN3c108BFloat16ELNS0_8NormTypeE2EdLb0EdEEvPKT3_NS0_19TensorListAddressesEi,comdat
.Lfunc_end186:
	.size	_ZN2at6native14lpnorm_cleanupIN3c108BFloat16ELNS0_8NormTypeE2EdLb0EdEEvPKT3_NS0_19TensorListAddressesEi, .Lfunc_end186-_ZN2at6native14lpnorm_cleanupIN3c108BFloat16ELNS0_8NormTypeE2EdLb0EdEEvPKT3_NS0_19TensorListAddressesEi
                                        ; -- End function
	.set _ZN2at6native14lpnorm_cleanupIN3c108BFloat16ELNS0_8NormTypeE2EdLb0EdEEvPKT3_NS0_19TensorListAddressesEi.num_vgpr, 11
	.set _ZN2at6native14lpnorm_cleanupIN3c108BFloat16ELNS0_8NormTypeE2EdLb0EdEEvPKT3_NS0_19TensorListAddressesEi.num_agpr, 0
	.set _ZN2at6native14lpnorm_cleanupIN3c108BFloat16ELNS0_8NormTypeE2EdLb0EdEEvPKT3_NS0_19TensorListAddressesEi.numbered_sgpr, 12
	.set _ZN2at6native14lpnorm_cleanupIN3c108BFloat16ELNS0_8NormTypeE2EdLb0EdEEvPKT3_NS0_19TensorListAddressesEi.num_named_barrier, 0
	.set _ZN2at6native14lpnorm_cleanupIN3c108BFloat16ELNS0_8NormTypeE2EdLb0EdEEvPKT3_NS0_19TensorListAddressesEi.private_seg_size, 0
	.set _ZN2at6native14lpnorm_cleanupIN3c108BFloat16ELNS0_8NormTypeE2EdLb0EdEEvPKT3_NS0_19TensorListAddressesEi.uses_vcc, 1
	.set _ZN2at6native14lpnorm_cleanupIN3c108BFloat16ELNS0_8NormTypeE2EdLb0EdEEvPKT3_NS0_19TensorListAddressesEi.uses_flat_scratch, 0
	.set _ZN2at6native14lpnorm_cleanupIN3c108BFloat16ELNS0_8NormTypeE2EdLb0EdEEvPKT3_NS0_19TensorListAddressesEi.has_dyn_sized_stack, 0
	.set _ZN2at6native14lpnorm_cleanupIN3c108BFloat16ELNS0_8NormTypeE2EdLb0EdEEvPKT3_NS0_19TensorListAddressesEi.has_recursion, 0
	.set _ZN2at6native14lpnorm_cleanupIN3c108BFloat16ELNS0_8NormTypeE2EdLb0EdEEvPKT3_NS0_19TensorListAddressesEi.has_indirect_call, 0
	.section	.AMDGPU.csdata,"",@progbits
; Kernel info:
; codeLenInByte = 756
; TotalNumSgprs: 14
; NumVgprs: 11
; ScratchSize: 0
; MemoryBound: 0
; FloatMode: 240
; IeeeMode: 1
; LDSByteSize: 4096 bytes/workgroup (compile time only)
; SGPRBlocks: 0
; VGPRBlocks: 0
; NumSGPRsForWavesPerEU: 14
; NumVGPRsForWavesPerEU: 11
; NamedBarCnt: 0
; Occupancy: 16
; WaveLimiterHint : 0
; COMPUTE_PGM_RSRC2:SCRATCH_EN: 0
; COMPUTE_PGM_RSRC2:USER_SGPR: 2
; COMPUTE_PGM_RSRC2:TRAP_HANDLER: 0
; COMPUTE_PGM_RSRC2:TGID_X_EN: 1
; COMPUTE_PGM_RSRC2:TGID_Y_EN: 0
; COMPUTE_PGM_RSRC2:TGID_Z_EN: 0
; COMPUTE_PGM_RSRC2:TIDIG_COMP_CNT: 0
	.section	.text._ZN2at6native14lpnorm_cleanupIN3c108BFloat16ELNS0_8NormTypeE0EfLb0EfEEvPKT3_NS0_19TensorListAddressesEi,"axG",@progbits,_ZN2at6native14lpnorm_cleanupIN3c108BFloat16ELNS0_8NormTypeE0EfLb0EfEEvPKT3_NS0_19TensorListAddressesEi,comdat
	.protected	_ZN2at6native14lpnorm_cleanupIN3c108BFloat16ELNS0_8NormTypeE0EfLb0EfEEvPKT3_NS0_19TensorListAddressesEi ; -- Begin function _ZN2at6native14lpnorm_cleanupIN3c108BFloat16ELNS0_8NormTypeE0EfLb0EfEEvPKT3_NS0_19TensorListAddressesEi
	.globl	_ZN2at6native14lpnorm_cleanupIN3c108BFloat16ELNS0_8NormTypeE0EfLb0EfEEvPKT3_NS0_19TensorListAddressesEi
	.p2align	8
	.type	_ZN2at6native14lpnorm_cleanupIN3c108BFloat16ELNS0_8NormTypeE0EfLb0EfEEvPKT3_NS0_19TensorListAddressesEi,@function
_ZN2at6native14lpnorm_cleanupIN3c108BFloat16ELNS0_8NormTypeE0EfLb0EfEEvPKT3_NS0_19TensorListAddressesEi: ; @_ZN2at6native14lpnorm_cleanupIN3c108BFloat16ELNS0_8NormTypeE0EfLb0EfEEvPKT3_NS0_19TensorListAddressesEi
; %bb.0:
	s_load_b32 s2, s[0:1], 0xc88
	s_bfe_u32 s3, ttmp6, 0x4000c
	s_and_b32 s4, ttmp6, 15
	s_add_co_i32 s3, s3, 1
	s_getreg_b32 s5, hwreg(HW_REG_IB_STS2, 6, 4)
	s_mul_i32 s3, ttmp9, s3
	v_mov_b32_e32 v1, 0
	s_add_co_i32 s4, s4, s3
	s_cmp_eq_u32 s5, 0
	s_mov_b32 s5, 0
	s_cselect_b32 s8, ttmp9, s4
	s_mov_b32 s9, exec_lo
	s_wait_kmcnt 0x0
	v_cmpx_gt_u32_e64 s2, v0
	s_cbranch_execz .LBB187_4
; %bb.1:
	s_clause 0x1
	s_load_b64 s[6:7], s[0:1], 0x0
	s_load_b32 s4, s[0:1], 0xc9c
	v_dual_mov_b32 v1, 0 :: v_dual_lshlrev_b32 v2, 2, v0
	s_mul_i32 s10, s2, s8
	s_mov_b32 s11, s5
	s_ashr_i32 s3, s2, 31
	s_delay_alu instid0(VALU_DEP_1)
	v_mov_b32_e32 v3, v1
	s_lshl_b64 s[10:11], s[10:11], 2
	v_mov_b64_e32 v[4:5], v[0:1]
	s_wait_kmcnt 0x0
	s_add_nc_u64 s[6:7], s[6:7], s[10:11]
	s_and_b32 s4, s4, 0xffff
	v_add_nc_u64_e32 v[2:3], s[6:7], v[2:3]
	s_lshl_b32 s6, s4, 2
	s_mov_b32 s7, s5
	s_mov_b32 s10, s5
.LBB187_2:                              ; =>This Inner Loop Header: Depth=1
	global_load_b32 v6, v[2:3], off
	v_add_nc_u64_e32 v[4:5], s[4:5], v[4:5]
	s_wait_xcnt 0x0
	v_add_nc_u64_e32 v[2:3], s[6:7], v[2:3]
	s_delay_alu instid0(VALU_DEP_2)
	v_cmp_le_u64_e32 vcc_lo, s[2:3], v[4:5]
	s_or_b32 s10, vcc_lo, s10
	s_wait_loadcnt 0x0
	v_add_f32_e32 v1, v1, v6
	s_and_not1_b32 exec_lo, exec_lo, s10
	s_cbranch_execnz .LBB187_2
; %bb.3:
	s_or_b32 exec_lo, exec_lo, s10
.LBB187_4:
	s_delay_alu instid0(SALU_CYCLE_1) | instskip(SKIP_4) | instid1(VALU_DEP_1)
	s_or_b32 exec_lo, exec_lo, s9
	v_mbcnt_lo_u32_b32 v5, -1, 0
	s_mov_b32 s2, exec_lo
	s_barrier_signal -1
	s_barrier_wait -1
	v_lshl_or_b32 v2, v5, 2, 64
	v_cmp_gt_u32_e32 vcc_lo, 24, v5
	ds_bpermute_b32 v4, v2, v1
	v_cndmask_b32_e64 v3, 0, 8, vcc_lo
	v_cmp_gt_u32_e32 vcc_lo, 28, v5
	s_delay_alu instid0(VALU_DEP_2)
	v_add_lshl_u32 v3, v3, v5, 2
	s_wait_dscnt 0x0
	v_add_f32_e32 v4, v1, v4
	v_cndmask_b32_e64 v1, 0, 4, vcc_lo
	v_cmp_gt_u32_e32 vcc_lo, 30, v5
	ds_bpermute_b32 v6, v3, v4
	v_add_lshl_u32 v1, v1, v5, 2
	s_wait_dscnt 0x0
	v_add_f32_e32 v6, v4, v6
	v_cndmask_b32_e64 v4, 0, 2, vcc_lo
	v_cmp_ne_u32_e32 vcc_lo, 31, v5
	s_delay_alu instid0(VALU_DEP_2) | instskip(SKIP_1) | instid1(VALU_DEP_1)
	v_add_lshl_u32 v4, v4, v5, 2
	v_add_co_ci_u32_e64 v5, null, 0, v5, vcc_lo
	v_lshlrev_b32_e32 v5, 2, v5
	ds_bpermute_b32 v7, v1, v6
	s_wait_dscnt 0x0
	v_add_f32_e32 v6, v6, v7
	ds_bpermute_b32 v7, v4, v6
	s_wait_dscnt 0x0
	v_dual_add_f32 v7, v6, v7 :: v_dual_bitop2_b32 v6, 31, v0 bitop3:0x40
	ds_bpermute_b32 v8, v5, v7
	v_cmpx_eq_u32_e32 0, v6
	s_cbranch_execz .LBB187_6
; %bb.5:
	s_wait_dscnt 0x0
	v_add_f32_e32 v7, v7, v8
	v_lshrrev_b32_e32 v8, 3, v0
	ds_store_b32 v8, v7
.LBB187_6:
	s_or_b32 exec_lo, exec_lo, s2
	s_wait_dscnt 0x0
	s_barrier_signal -1
	s_barrier_wait -1
	s_load_b32 s2, s[0:1], 0xc9c
	v_mov_b32_e32 v7, 0
	s_wait_kmcnt 0x0
	s_bfe_u32 s2, s2, 0xb0005
	s_delay_alu instid0(SALU_CYCLE_1)
	v_cmp_gt_u32_e32 vcc_lo, s2, v0
	s_and_saveexec_b32 s2, vcc_lo
; %bb.7:
	v_lshlrev_b32_e32 v6, 2, v6
	ds_load_b32 v7, v6
; %bb.8:
	s_or_b32 exec_lo, exec_lo, s2
	s_delay_alu instid0(SALU_CYCLE_1)
	s_mov_b32 s2, exec_lo
	v_cmpx_gt_u32_e32 32, v0
	s_cbranch_execz .LBB187_10
; %bb.9:
	s_wait_dscnt 0x0
	ds_bpermute_b32 v2, v2, v7
	s_wait_dscnt 0x0
	v_add_f32_e32 v2, v7, v2
	ds_bpermute_b32 v3, v3, v2
	s_wait_dscnt 0x0
	v_add_f32_e32 v2, v2, v3
	ds_bpermute_b32 v1, v1, v2
	s_wait_dscnt 0x0
	v_add_f32_e32 v1, v2, v1
	ds_bpermute_b32 v2, v4, v1
	s_wait_dscnt 0x0
	v_add_f32_e32 v1, v1, v2
	ds_bpermute_b32 v2, v5, v1
	s_wait_dscnt 0x0
	v_add_f32_e32 v7, v1, v2
.LBB187_10:
	s_or_b32 exec_lo, exec_lo, s2
	s_delay_alu instid0(SALU_CYCLE_1)
	s_mov_b32 s2, exec_lo
	v_cmpx_eq_u32_e32 0, v0
	s_cbranch_execz .LBB187_12
; %bb.11:
	s_load_b64 s[0:1], s[0:1], s8 offset:0x8 scale_offset
	v_mov_b32_e32 v0, 0
	s_wait_dscnt 0x0
	s_wait_kmcnt 0x0
	global_store_b32 v0, v7, s[0:1]
.LBB187_12:
	s_endpgm
	.section	.rodata,"a",@progbits
	.p2align	6, 0x0
	.amdhsa_kernel _ZN2at6native14lpnorm_cleanupIN3c108BFloat16ELNS0_8NormTypeE0EfLb0EfEEvPKT3_NS0_19TensorListAddressesEi
		.amdhsa_group_segment_fixed_size 2048
		.amdhsa_private_segment_fixed_size 0
		.amdhsa_kernarg_size 3472
		.amdhsa_user_sgpr_count 2
		.amdhsa_user_sgpr_dispatch_ptr 0
		.amdhsa_user_sgpr_queue_ptr 0
		.amdhsa_user_sgpr_kernarg_segment_ptr 1
		.amdhsa_user_sgpr_dispatch_id 0
		.amdhsa_user_sgpr_kernarg_preload_length 0
		.amdhsa_user_sgpr_kernarg_preload_offset 0
		.amdhsa_user_sgpr_private_segment_size 0
		.amdhsa_wavefront_size32 1
		.amdhsa_uses_dynamic_stack 0
		.amdhsa_enable_private_segment 0
		.amdhsa_system_sgpr_workgroup_id_x 1
		.amdhsa_system_sgpr_workgroup_id_y 0
		.amdhsa_system_sgpr_workgroup_id_z 0
		.amdhsa_system_sgpr_workgroup_info 0
		.amdhsa_system_vgpr_workitem_id 0
		.amdhsa_next_free_vgpr 9
		.amdhsa_next_free_sgpr 12
		.amdhsa_named_barrier_count 0
		.amdhsa_reserve_vcc 1
		.amdhsa_float_round_mode_32 0
		.amdhsa_float_round_mode_16_64 0
		.amdhsa_float_denorm_mode_32 3
		.amdhsa_float_denorm_mode_16_64 3
		.amdhsa_fp16_overflow 0
		.amdhsa_memory_ordered 1
		.amdhsa_forward_progress 1
		.amdhsa_inst_pref_size 6
		.amdhsa_round_robin_scheduling 0
		.amdhsa_exception_fp_ieee_invalid_op 0
		.amdhsa_exception_fp_denorm_src 0
		.amdhsa_exception_fp_ieee_div_zero 0
		.amdhsa_exception_fp_ieee_overflow 0
		.amdhsa_exception_fp_ieee_underflow 0
		.amdhsa_exception_fp_ieee_inexact 0
		.amdhsa_exception_int_div_zero 0
	.end_amdhsa_kernel
	.section	.text._ZN2at6native14lpnorm_cleanupIN3c108BFloat16ELNS0_8NormTypeE0EfLb0EfEEvPKT3_NS0_19TensorListAddressesEi,"axG",@progbits,_ZN2at6native14lpnorm_cleanupIN3c108BFloat16ELNS0_8NormTypeE0EfLb0EfEEvPKT3_NS0_19TensorListAddressesEi,comdat
.Lfunc_end187:
	.size	_ZN2at6native14lpnorm_cleanupIN3c108BFloat16ELNS0_8NormTypeE0EfLb0EfEEvPKT3_NS0_19TensorListAddressesEi, .Lfunc_end187-_ZN2at6native14lpnorm_cleanupIN3c108BFloat16ELNS0_8NormTypeE0EfLb0EfEEvPKT3_NS0_19TensorListAddressesEi
                                        ; -- End function
	.set _ZN2at6native14lpnorm_cleanupIN3c108BFloat16ELNS0_8NormTypeE0EfLb0EfEEvPKT3_NS0_19TensorListAddressesEi.num_vgpr, 9
	.set _ZN2at6native14lpnorm_cleanupIN3c108BFloat16ELNS0_8NormTypeE0EfLb0EfEEvPKT3_NS0_19TensorListAddressesEi.num_agpr, 0
	.set _ZN2at6native14lpnorm_cleanupIN3c108BFloat16ELNS0_8NormTypeE0EfLb0EfEEvPKT3_NS0_19TensorListAddressesEi.numbered_sgpr, 12
	.set _ZN2at6native14lpnorm_cleanupIN3c108BFloat16ELNS0_8NormTypeE0EfLb0EfEEvPKT3_NS0_19TensorListAddressesEi.num_named_barrier, 0
	.set _ZN2at6native14lpnorm_cleanupIN3c108BFloat16ELNS0_8NormTypeE0EfLb0EfEEvPKT3_NS0_19TensorListAddressesEi.private_seg_size, 0
	.set _ZN2at6native14lpnorm_cleanupIN3c108BFloat16ELNS0_8NormTypeE0EfLb0EfEEvPKT3_NS0_19TensorListAddressesEi.uses_vcc, 1
	.set _ZN2at6native14lpnorm_cleanupIN3c108BFloat16ELNS0_8NormTypeE0EfLb0EfEEvPKT3_NS0_19TensorListAddressesEi.uses_flat_scratch, 0
	.set _ZN2at6native14lpnorm_cleanupIN3c108BFloat16ELNS0_8NormTypeE0EfLb0EfEEvPKT3_NS0_19TensorListAddressesEi.has_dyn_sized_stack, 0
	.set _ZN2at6native14lpnorm_cleanupIN3c108BFloat16ELNS0_8NormTypeE0EfLb0EfEEvPKT3_NS0_19TensorListAddressesEi.has_recursion, 0
	.set _ZN2at6native14lpnorm_cleanupIN3c108BFloat16ELNS0_8NormTypeE0EfLb0EfEEvPKT3_NS0_19TensorListAddressesEi.has_indirect_call, 0
	.section	.AMDGPU.csdata,"",@progbits
; Kernel info:
; codeLenInByte = 668
; TotalNumSgprs: 14
; NumVgprs: 9
; ScratchSize: 0
; MemoryBound: 0
; FloatMode: 240
; IeeeMode: 1
; LDSByteSize: 2048 bytes/workgroup (compile time only)
; SGPRBlocks: 0
; VGPRBlocks: 0
; NumSGPRsForWavesPerEU: 14
; NumVGPRsForWavesPerEU: 9
; NamedBarCnt: 0
; Occupancy: 16
; WaveLimiterHint : 0
; COMPUTE_PGM_RSRC2:SCRATCH_EN: 0
; COMPUTE_PGM_RSRC2:USER_SGPR: 2
; COMPUTE_PGM_RSRC2:TRAP_HANDLER: 0
; COMPUTE_PGM_RSRC2:TGID_X_EN: 1
; COMPUTE_PGM_RSRC2:TGID_Y_EN: 0
; COMPUTE_PGM_RSRC2:TGID_Z_EN: 0
; COMPUTE_PGM_RSRC2:TIDIG_COMP_CNT: 0
	.section	.text._ZN2at6native14lpnorm_cleanupIN3c108BFloat16ELNS0_8NormTypeE1EfLb0EfEEvPKT3_NS0_19TensorListAddressesEi,"axG",@progbits,_ZN2at6native14lpnorm_cleanupIN3c108BFloat16ELNS0_8NormTypeE1EfLb0EfEEvPKT3_NS0_19TensorListAddressesEi,comdat
	.protected	_ZN2at6native14lpnorm_cleanupIN3c108BFloat16ELNS0_8NormTypeE1EfLb0EfEEvPKT3_NS0_19TensorListAddressesEi ; -- Begin function _ZN2at6native14lpnorm_cleanupIN3c108BFloat16ELNS0_8NormTypeE1EfLb0EfEEvPKT3_NS0_19TensorListAddressesEi
	.globl	_ZN2at6native14lpnorm_cleanupIN3c108BFloat16ELNS0_8NormTypeE1EfLb0EfEEvPKT3_NS0_19TensorListAddressesEi
	.p2align	8
	.type	_ZN2at6native14lpnorm_cleanupIN3c108BFloat16ELNS0_8NormTypeE1EfLb0EfEEvPKT3_NS0_19TensorListAddressesEi,@function
_ZN2at6native14lpnorm_cleanupIN3c108BFloat16ELNS0_8NormTypeE1EfLb0EfEEvPKT3_NS0_19TensorListAddressesEi: ; @_ZN2at6native14lpnorm_cleanupIN3c108BFloat16ELNS0_8NormTypeE1EfLb0EfEEvPKT3_NS0_19TensorListAddressesEi
; %bb.0:
	s_load_b32 s2, s[0:1], 0xc88
	s_bfe_u32 s3, ttmp6, 0x4000c
	s_and_b32 s4, ttmp6, 15
	s_add_co_i32 s3, s3, 1
	s_getreg_b32 s5, hwreg(HW_REG_IB_STS2, 6, 4)
	s_mul_i32 s3, ttmp9, s3
	v_mov_b32_e32 v1, 0
	s_add_co_i32 s4, s4, s3
	s_cmp_eq_u32 s5, 0
	s_mov_b32 s5, 0
	s_cselect_b32 s8, ttmp9, s4
	s_mov_b32 s9, exec_lo
	s_wait_kmcnt 0x0
	v_cmpx_gt_u32_e64 s2, v0
	s_cbranch_execz .LBB188_4
; %bb.1:
	s_clause 0x1
	s_load_b64 s[6:7], s[0:1], 0x0
	s_load_b32 s4, s[0:1], 0xc9c
	v_dual_mov_b32 v1, 0 :: v_dual_lshlrev_b32 v2, 2, v0
	s_mul_i32 s10, s2, s8
	s_mov_b32 s11, s5
	s_ashr_i32 s3, s2, 31
	s_delay_alu instid0(VALU_DEP_1)
	v_mov_b32_e32 v3, v1
	s_lshl_b64 s[10:11], s[10:11], 2
	v_mov_b64_e32 v[4:5], v[0:1]
	s_wait_kmcnt 0x0
	s_add_nc_u64 s[6:7], s[6:7], s[10:11]
	s_and_b32 s4, s4, 0xffff
	v_add_nc_u64_e32 v[2:3], s[6:7], v[2:3]
	s_lshl_b32 s6, s4, 2
	s_mov_b32 s7, s5
	s_mov_b32 s10, s5
.LBB188_2:                              ; =>This Inner Loop Header: Depth=1
	global_load_b32 v6, v[2:3], off
	v_add_nc_u64_e32 v[4:5], s[4:5], v[4:5]
	s_wait_xcnt 0x0
	v_add_nc_u64_e32 v[2:3], s[6:7], v[2:3]
	s_delay_alu instid0(VALU_DEP_2)
	v_cmp_le_u64_e32 vcc_lo, s[2:3], v[4:5]
	s_or_b32 s10, vcc_lo, s10
	s_wait_loadcnt 0x0
	v_add_f32_e32 v1, v1, v6
	s_and_not1_b32 exec_lo, exec_lo, s10
	s_cbranch_execnz .LBB188_2
; %bb.3:
	s_or_b32 exec_lo, exec_lo, s10
.LBB188_4:
	s_delay_alu instid0(SALU_CYCLE_1) | instskip(SKIP_4) | instid1(VALU_DEP_1)
	s_or_b32 exec_lo, exec_lo, s9
	v_mbcnt_lo_u32_b32 v5, -1, 0
	s_mov_b32 s2, exec_lo
	s_barrier_signal -1
	s_barrier_wait -1
	v_lshl_or_b32 v2, v5, 2, 64
	v_cmp_gt_u32_e32 vcc_lo, 24, v5
	ds_bpermute_b32 v4, v2, v1
	v_cndmask_b32_e64 v3, 0, 8, vcc_lo
	v_cmp_gt_u32_e32 vcc_lo, 28, v5
	s_delay_alu instid0(VALU_DEP_2)
	v_add_lshl_u32 v3, v3, v5, 2
	s_wait_dscnt 0x0
	v_add_f32_e32 v4, v1, v4
	v_cndmask_b32_e64 v1, 0, 4, vcc_lo
	v_cmp_gt_u32_e32 vcc_lo, 30, v5
	ds_bpermute_b32 v6, v3, v4
	v_add_lshl_u32 v1, v1, v5, 2
	s_wait_dscnt 0x0
	v_add_f32_e32 v6, v4, v6
	v_cndmask_b32_e64 v4, 0, 2, vcc_lo
	v_cmp_ne_u32_e32 vcc_lo, 31, v5
	s_delay_alu instid0(VALU_DEP_2) | instskip(SKIP_1) | instid1(VALU_DEP_1)
	v_add_lshl_u32 v4, v4, v5, 2
	v_add_co_ci_u32_e64 v5, null, 0, v5, vcc_lo
	v_lshlrev_b32_e32 v5, 2, v5
	ds_bpermute_b32 v7, v1, v6
	s_wait_dscnt 0x0
	v_add_f32_e32 v6, v6, v7
	ds_bpermute_b32 v7, v4, v6
	s_wait_dscnt 0x0
	v_dual_add_f32 v7, v6, v7 :: v_dual_bitop2_b32 v6, 31, v0 bitop3:0x40
	ds_bpermute_b32 v8, v5, v7
	v_cmpx_eq_u32_e32 0, v6
	s_cbranch_execz .LBB188_6
; %bb.5:
	s_wait_dscnt 0x0
	v_add_f32_e32 v7, v7, v8
	v_lshrrev_b32_e32 v8, 3, v0
	ds_store_b32 v8, v7
.LBB188_6:
	s_or_b32 exec_lo, exec_lo, s2
	s_wait_dscnt 0x0
	s_barrier_signal -1
	s_barrier_wait -1
	s_load_b32 s2, s[0:1], 0xc9c
	v_mov_b32_e32 v7, 0
	s_wait_kmcnt 0x0
	s_bfe_u32 s2, s2, 0xb0005
	s_delay_alu instid0(SALU_CYCLE_1)
	v_cmp_gt_u32_e32 vcc_lo, s2, v0
	s_and_saveexec_b32 s2, vcc_lo
; %bb.7:
	v_lshlrev_b32_e32 v6, 2, v6
	ds_load_b32 v7, v6
; %bb.8:
	s_or_b32 exec_lo, exec_lo, s2
	s_delay_alu instid0(SALU_CYCLE_1)
	s_mov_b32 s2, exec_lo
	v_cmpx_gt_u32_e32 32, v0
	s_cbranch_execz .LBB188_10
; %bb.9:
	s_wait_dscnt 0x0
	ds_bpermute_b32 v2, v2, v7
	s_wait_dscnt 0x0
	v_add_f32_e32 v2, v7, v2
	ds_bpermute_b32 v3, v3, v2
	s_wait_dscnt 0x0
	v_add_f32_e32 v2, v2, v3
	;; [unrolled: 3-line block ×5, first 2 shown]
.LBB188_10:
	s_or_b32 exec_lo, exec_lo, s2
	s_delay_alu instid0(SALU_CYCLE_1)
	s_mov_b32 s2, exec_lo
	v_cmpx_eq_u32_e32 0, v0
	s_cbranch_execz .LBB188_12
; %bb.11:
	s_load_b64 s[0:1], s[0:1], s8 offset:0x8 scale_offset
	v_mov_b32_e32 v0, 0
	s_wait_dscnt 0x0
	s_wait_kmcnt 0x0
	global_store_b32 v0, v7, s[0:1]
.LBB188_12:
	s_endpgm
	.section	.rodata,"a",@progbits
	.p2align	6, 0x0
	.amdhsa_kernel _ZN2at6native14lpnorm_cleanupIN3c108BFloat16ELNS0_8NormTypeE1EfLb0EfEEvPKT3_NS0_19TensorListAddressesEi
		.amdhsa_group_segment_fixed_size 2048
		.amdhsa_private_segment_fixed_size 0
		.amdhsa_kernarg_size 3472
		.amdhsa_user_sgpr_count 2
		.amdhsa_user_sgpr_dispatch_ptr 0
		.amdhsa_user_sgpr_queue_ptr 0
		.amdhsa_user_sgpr_kernarg_segment_ptr 1
		.amdhsa_user_sgpr_dispatch_id 0
		.amdhsa_user_sgpr_kernarg_preload_length 0
		.amdhsa_user_sgpr_kernarg_preload_offset 0
		.amdhsa_user_sgpr_private_segment_size 0
		.amdhsa_wavefront_size32 1
		.amdhsa_uses_dynamic_stack 0
		.amdhsa_enable_private_segment 0
		.amdhsa_system_sgpr_workgroup_id_x 1
		.amdhsa_system_sgpr_workgroup_id_y 0
		.amdhsa_system_sgpr_workgroup_id_z 0
		.amdhsa_system_sgpr_workgroup_info 0
		.amdhsa_system_vgpr_workitem_id 0
		.amdhsa_next_free_vgpr 9
		.amdhsa_next_free_sgpr 12
		.amdhsa_named_barrier_count 0
		.amdhsa_reserve_vcc 1
		.amdhsa_float_round_mode_32 0
		.amdhsa_float_round_mode_16_64 0
		.amdhsa_float_denorm_mode_32 3
		.amdhsa_float_denorm_mode_16_64 3
		.amdhsa_fp16_overflow 0
		.amdhsa_memory_ordered 1
		.amdhsa_forward_progress 1
		.amdhsa_inst_pref_size 6
		.amdhsa_round_robin_scheduling 0
		.amdhsa_exception_fp_ieee_invalid_op 0
		.amdhsa_exception_fp_denorm_src 0
		.amdhsa_exception_fp_ieee_div_zero 0
		.amdhsa_exception_fp_ieee_overflow 0
		.amdhsa_exception_fp_ieee_underflow 0
		.amdhsa_exception_fp_ieee_inexact 0
		.amdhsa_exception_int_div_zero 0
	.end_amdhsa_kernel
	.section	.text._ZN2at6native14lpnorm_cleanupIN3c108BFloat16ELNS0_8NormTypeE1EfLb0EfEEvPKT3_NS0_19TensorListAddressesEi,"axG",@progbits,_ZN2at6native14lpnorm_cleanupIN3c108BFloat16ELNS0_8NormTypeE1EfLb0EfEEvPKT3_NS0_19TensorListAddressesEi,comdat
.Lfunc_end188:
	.size	_ZN2at6native14lpnorm_cleanupIN3c108BFloat16ELNS0_8NormTypeE1EfLb0EfEEvPKT3_NS0_19TensorListAddressesEi, .Lfunc_end188-_ZN2at6native14lpnorm_cleanupIN3c108BFloat16ELNS0_8NormTypeE1EfLb0EfEEvPKT3_NS0_19TensorListAddressesEi
                                        ; -- End function
	.set _ZN2at6native14lpnorm_cleanupIN3c108BFloat16ELNS0_8NormTypeE1EfLb0EfEEvPKT3_NS0_19TensorListAddressesEi.num_vgpr, 9
	.set _ZN2at6native14lpnorm_cleanupIN3c108BFloat16ELNS0_8NormTypeE1EfLb0EfEEvPKT3_NS0_19TensorListAddressesEi.num_agpr, 0
	.set _ZN2at6native14lpnorm_cleanupIN3c108BFloat16ELNS0_8NormTypeE1EfLb0EfEEvPKT3_NS0_19TensorListAddressesEi.numbered_sgpr, 12
	.set _ZN2at6native14lpnorm_cleanupIN3c108BFloat16ELNS0_8NormTypeE1EfLb0EfEEvPKT3_NS0_19TensorListAddressesEi.num_named_barrier, 0
	.set _ZN2at6native14lpnorm_cleanupIN3c108BFloat16ELNS0_8NormTypeE1EfLb0EfEEvPKT3_NS0_19TensorListAddressesEi.private_seg_size, 0
	.set _ZN2at6native14lpnorm_cleanupIN3c108BFloat16ELNS0_8NormTypeE1EfLb0EfEEvPKT3_NS0_19TensorListAddressesEi.uses_vcc, 1
	.set _ZN2at6native14lpnorm_cleanupIN3c108BFloat16ELNS0_8NormTypeE1EfLb0EfEEvPKT3_NS0_19TensorListAddressesEi.uses_flat_scratch, 0
	.set _ZN2at6native14lpnorm_cleanupIN3c108BFloat16ELNS0_8NormTypeE1EfLb0EfEEvPKT3_NS0_19TensorListAddressesEi.has_dyn_sized_stack, 0
	.set _ZN2at6native14lpnorm_cleanupIN3c108BFloat16ELNS0_8NormTypeE1EfLb0EfEEvPKT3_NS0_19TensorListAddressesEi.has_recursion, 0
	.set _ZN2at6native14lpnorm_cleanupIN3c108BFloat16ELNS0_8NormTypeE1EfLb0EfEEvPKT3_NS0_19TensorListAddressesEi.has_indirect_call, 0
	.section	.AMDGPU.csdata,"",@progbits
; Kernel info:
; codeLenInByte = 668
; TotalNumSgprs: 14
; NumVgprs: 9
; ScratchSize: 0
; MemoryBound: 0
; FloatMode: 240
; IeeeMode: 1
; LDSByteSize: 2048 bytes/workgroup (compile time only)
; SGPRBlocks: 0
; VGPRBlocks: 0
; NumSGPRsForWavesPerEU: 14
; NumVGPRsForWavesPerEU: 9
; NamedBarCnt: 0
; Occupancy: 16
; WaveLimiterHint : 0
; COMPUTE_PGM_RSRC2:SCRATCH_EN: 0
; COMPUTE_PGM_RSRC2:USER_SGPR: 2
; COMPUTE_PGM_RSRC2:TRAP_HANDLER: 0
; COMPUTE_PGM_RSRC2:TGID_X_EN: 1
; COMPUTE_PGM_RSRC2:TGID_Y_EN: 0
; COMPUTE_PGM_RSRC2:TGID_Z_EN: 0
; COMPUTE_PGM_RSRC2:TIDIG_COMP_CNT: 0
	.section	.text._ZN2at6native14lpnorm_cleanupIN3c108BFloat16ELNS0_8NormTypeE2EfLb0EfEEvPKT3_NS0_19TensorListAddressesEi,"axG",@progbits,_ZN2at6native14lpnorm_cleanupIN3c108BFloat16ELNS0_8NormTypeE2EfLb0EfEEvPKT3_NS0_19TensorListAddressesEi,comdat
	.protected	_ZN2at6native14lpnorm_cleanupIN3c108BFloat16ELNS0_8NormTypeE2EfLb0EfEEvPKT3_NS0_19TensorListAddressesEi ; -- Begin function _ZN2at6native14lpnorm_cleanupIN3c108BFloat16ELNS0_8NormTypeE2EfLb0EfEEvPKT3_NS0_19TensorListAddressesEi
	.globl	_ZN2at6native14lpnorm_cleanupIN3c108BFloat16ELNS0_8NormTypeE2EfLb0EfEEvPKT3_NS0_19TensorListAddressesEi
	.p2align	8
	.type	_ZN2at6native14lpnorm_cleanupIN3c108BFloat16ELNS0_8NormTypeE2EfLb0EfEEvPKT3_NS0_19TensorListAddressesEi,@function
_ZN2at6native14lpnorm_cleanupIN3c108BFloat16ELNS0_8NormTypeE2EfLb0EfEEvPKT3_NS0_19TensorListAddressesEi: ; @_ZN2at6native14lpnorm_cleanupIN3c108BFloat16ELNS0_8NormTypeE2EfLb0EfEEvPKT3_NS0_19TensorListAddressesEi
; %bb.0:
	s_load_b32 s2, s[0:1], 0xc88
	s_bfe_u32 s3, ttmp6, 0x4000c
	s_and_b32 s4, ttmp6, 15
	s_add_co_i32 s3, s3, 1
	s_getreg_b32 s5, hwreg(HW_REG_IB_STS2, 6, 4)
	s_mul_i32 s3, ttmp9, s3
	v_mov_b32_e32 v1, 0
	s_add_co_i32 s4, s4, s3
	s_cmp_eq_u32 s5, 0
	s_mov_b32 s5, 0
	s_cselect_b32 s8, ttmp9, s4
	s_mov_b32 s9, exec_lo
	s_wait_kmcnt 0x0
	v_cmpx_gt_u32_e64 s2, v0
	s_cbranch_execz .LBB189_4
; %bb.1:
	s_clause 0x1
	s_load_b64 s[6:7], s[0:1], 0x0
	s_load_b32 s4, s[0:1], 0xc9c
	v_dual_mov_b32 v1, 0 :: v_dual_lshlrev_b32 v2, 2, v0
	s_mul_i32 s10, s2, s8
	s_mov_b32 s11, s5
	s_ashr_i32 s3, s2, 31
	s_delay_alu instid0(VALU_DEP_1)
	v_mov_b32_e32 v3, v1
	s_lshl_b64 s[10:11], s[10:11], 2
	v_mov_b64_e32 v[4:5], v[0:1]
	s_wait_kmcnt 0x0
	s_add_nc_u64 s[6:7], s[6:7], s[10:11]
	s_and_b32 s4, s4, 0xffff
	v_add_nc_u64_e32 v[2:3], s[6:7], v[2:3]
	s_lshl_b32 s6, s4, 2
	s_mov_b32 s7, s5
	s_mov_b32 s10, s5
.LBB189_2:                              ; =>This Inner Loop Header: Depth=1
	global_load_b32 v6, v[2:3], off
	v_add_nc_u64_e32 v[4:5], s[4:5], v[4:5]
	s_wait_xcnt 0x0
	v_add_nc_u64_e32 v[2:3], s[6:7], v[2:3]
	s_delay_alu instid0(VALU_DEP_2)
	v_cmp_le_u64_e32 vcc_lo, s[2:3], v[4:5]
	s_or_b32 s10, vcc_lo, s10
	s_wait_loadcnt 0x0
	v_add_f32_e32 v1, v1, v6
	s_and_not1_b32 exec_lo, exec_lo, s10
	s_cbranch_execnz .LBB189_2
; %bb.3:
	s_or_b32 exec_lo, exec_lo, s10
.LBB189_4:
	s_delay_alu instid0(SALU_CYCLE_1) | instskip(SKIP_4) | instid1(VALU_DEP_1)
	s_or_b32 exec_lo, exec_lo, s9
	v_mbcnt_lo_u32_b32 v5, -1, 0
	s_mov_b32 s2, exec_lo
	s_barrier_signal -1
	s_barrier_wait -1
	v_lshl_or_b32 v2, v5, 2, 64
	v_cmp_gt_u32_e32 vcc_lo, 24, v5
	ds_bpermute_b32 v4, v2, v1
	v_cndmask_b32_e64 v3, 0, 8, vcc_lo
	v_cmp_gt_u32_e32 vcc_lo, 28, v5
	s_delay_alu instid0(VALU_DEP_2)
	v_add_lshl_u32 v3, v3, v5, 2
	s_wait_dscnt 0x0
	v_add_f32_e32 v4, v1, v4
	v_cndmask_b32_e64 v1, 0, 4, vcc_lo
	v_cmp_gt_u32_e32 vcc_lo, 30, v5
	ds_bpermute_b32 v6, v3, v4
	v_add_lshl_u32 v1, v1, v5, 2
	s_wait_dscnt 0x0
	v_add_f32_e32 v6, v4, v6
	v_cndmask_b32_e64 v4, 0, 2, vcc_lo
	v_cmp_ne_u32_e32 vcc_lo, 31, v5
	s_delay_alu instid0(VALU_DEP_2) | instskip(SKIP_1) | instid1(VALU_DEP_1)
	v_add_lshl_u32 v4, v4, v5, 2
	v_add_co_ci_u32_e64 v5, null, 0, v5, vcc_lo
	v_lshlrev_b32_e32 v5, 2, v5
	ds_bpermute_b32 v7, v1, v6
	s_wait_dscnt 0x0
	v_add_f32_e32 v6, v6, v7
	ds_bpermute_b32 v7, v4, v6
	s_wait_dscnt 0x0
	v_dual_add_f32 v7, v6, v7 :: v_dual_bitop2_b32 v6, 31, v0 bitop3:0x40
	ds_bpermute_b32 v8, v5, v7
	v_cmpx_eq_u32_e32 0, v6
	s_cbranch_execz .LBB189_6
; %bb.5:
	s_wait_dscnt 0x0
	v_add_f32_e32 v7, v7, v8
	v_lshrrev_b32_e32 v8, 3, v0
	ds_store_b32 v8, v7
.LBB189_6:
	s_or_b32 exec_lo, exec_lo, s2
	s_wait_dscnt 0x0
	s_barrier_signal -1
	s_barrier_wait -1
	s_load_b32 s2, s[0:1], 0xc9c
	v_mov_b32_e32 v7, 0
	s_wait_kmcnt 0x0
	s_bfe_u32 s2, s2, 0xb0005
	s_delay_alu instid0(SALU_CYCLE_1)
	v_cmp_gt_u32_e32 vcc_lo, s2, v0
	s_and_saveexec_b32 s2, vcc_lo
; %bb.7:
	v_lshlrev_b32_e32 v6, 2, v6
	ds_load_b32 v7, v6
; %bb.8:
	s_or_b32 exec_lo, exec_lo, s2
	s_delay_alu instid0(SALU_CYCLE_1)
	s_mov_b32 s2, exec_lo
	v_cmpx_gt_u32_e32 32, v0
	s_cbranch_execz .LBB189_10
; %bb.9:
	s_wait_dscnt 0x0
	ds_bpermute_b32 v2, v2, v7
	s_wait_dscnt 0x0
	v_add_f32_e32 v2, v7, v2
	ds_bpermute_b32 v3, v3, v2
	s_wait_dscnt 0x0
	v_add_f32_e32 v2, v2, v3
	;; [unrolled: 3-line block ×5, first 2 shown]
.LBB189_10:
	s_or_b32 exec_lo, exec_lo, s2
	s_delay_alu instid0(SALU_CYCLE_1)
	s_mov_b32 s2, exec_lo
	v_cmpx_eq_u32_e32 0, v0
	s_cbranch_execz .LBB189_12
; %bb.11:
	s_load_b64 s[0:1], s[0:1], s8 offset:0x8 scale_offset
	v_mov_b32_e32 v0, 0
	s_wait_dscnt 0x0
	s_wait_kmcnt 0x0
	global_store_b32 v0, v7, s[0:1]
.LBB189_12:
	s_endpgm
	.section	.rodata,"a",@progbits
	.p2align	6, 0x0
	.amdhsa_kernel _ZN2at6native14lpnorm_cleanupIN3c108BFloat16ELNS0_8NormTypeE2EfLb0EfEEvPKT3_NS0_19TensorListAddressesEi
		.amdhsa_group_segment_fixed_size 2048
		.amdhsa_private_segment_fixed_size 0
		.amdhsa_kernarg_size 3472
		.amdhsa_user_sgpr_count 2
		.amdhsa_user_sgpr_dispatch_ptr 0
		.amdhsa_user_sgpr_queue_ptr 0
		.amdhsa_user_sgpr_kernarg_segment_ptr 1
		.amdhsa_user_sgpr_dispatch_id 0
		.amdhsa_user_sgpr_kernarg_preload_length 0
		.amdhsa_user_sgpr_kernarg_preload_offset 0
		.amdhsa_user_sgpr_private_segment_size 0
		.amdhsa_wavefront_size32 1
		.amdhsa_uses_dynamic_stack 0
		.amdhsa_enable_private_segment 0
		.amdhsa_system_sgpr_workgroup_id_x 1
		.amdhsa_system_sgpr_workgroup_id_y 0
		.amdhsa_system_sgpr_workgroup_id_z 0
		.amdhsa_system_sgpr_workgroup_info 0
		.amdhsa_system_vgpr_workitem_id 0
		.amdhsa_next_free_vgpr 9
		.amdhsa_next_free_sgpr 12
		.amdhsa_named_barrier_count 0
		.amdhsa_reserve_vcc 1
		.amdhsa_float_round_mode_32 0
		.amdhsa_float_round_mode_16_64 0
		.amdhsa_float_denorm_mode_32 3
		.amdhsa_float_denorm_mode_16_64 3
		.amdhsa_fp16_overflow 0
		.amdhsa_memory_ordered 1
		.amdhsa_forward_progress 1
		.amdhsa_inst_pref_size 6
		.amdhsa_round_robin_scheduling 0
		.amdhsa_exception_fp_ieee_invalid_op 0
		.amdhsa_exception_fp_denorm_src 0
		.amdhsa_exception_fp_ieee_div_zero 0
		.amdhsa_exception_fp_ieee_overflow 0
		.amdhsa_exception_fp_ieee_underflow 0
		.amdhsa_exception_fp_ieee_inexact 0
		.amdhsa_exception_int_div_zero 0
	.end_amdhsa_kernel
	.section	.text._ZN2at6native14lpnorm_cleanupIN3c108BFloat16ELNS0_8NormTypeE2EfLb0EfEEvPKT3_NS0_19TensorListAddressesEi,"axG",@progbits,_ZN2at6native14lpnorm_cleanupIN3c108BFloat16ELNS0_8NormTypeE2EfLb0EfEEvPKT3_NS0_19TensorListAddressesEi,comdat
.Lfunc_end189:
	.size	_ZN2at6native14lpnorm_cleanupIN3c108BFloat16ELNS0_8NormTypeE2EfLb0EfEEvPKT3_NS0_19TensorListAddressesEi, .Lfunc_end189-_ZN2at6native14lpnorm_cleanupIN3c108BFloat16ELNS0_8NormTypeE2EfLb0EfEEvPKT3_NS0_19TensorListAddressesEi
                                        ; -- End function
	.set _ZN2at6native14lpnorm_cleanupIN3c108BFloat16ELNS0_8NormTypeE2EfLb0EfEEvPKT3_NS0_19TensorListAddressesEi.num_vgpr, 9
	.set _ZN2at6native14lpnorm_cleanupIN3c108BFloat16ELNS0_8NormTypeE2EfLb0EfEEvPKT3_NS0_19TensorListAddressesEi.num_agpr, 0
	.set _ZN2at6native14lpnorm_cleanupIN3c108BFloat16ELNS0_8NormTypeE2EfLb0EfEEvPKT3_NS0_19TensorListAddressesEi.numbered_sgpr, 12
	.set _ZN2at6native14lpnorm_cleanupIN3c108BFloat16ELNS0_8NormTypeE2EfLb0EfEEvPKT3_NS0_19TensorListAddressesEi.num_named_barrier, 0
	.set _ZN2at6native14lpnorm_cleanupIN3c108BFloat16ELNS0_8NormTypeE2EfLb0EfEEvPKT3_NS0_19TensorListAddressesEi.private_seg_size, 0
	.set _ZN2at6native14lpnorm_cleanupIN3c108BFloat16ELNS0_8NormTypeE2EfLb0EfEEvPKT3_NS0_19TensorListAddressesEi.uses_vcc, 1
	.set _ZN2at6native14lpnorm_cleanupIN3c108BFloat16ELNS0_8NormTypeE2EfLb0EfEEvPKT3_NS0_19TensorListAddressesEi.uses_flat_scratch, 0
	.set _ZN2at6native14lpnorm_cleanupIN3c108BFloat16ELNS0_8NormTypeE2EfLb0EfEEvPKT3_NS0_19TensorListAddressesEi.has_dyn_sized_stack, 0
	.set _ZN2at6native14lpnorm_cleanupIN3c108BFloat16ELNS0_8NormTypeE2EfLb0EfEEvPKT3_NS0_19TensorListAddressesEi.has_recursion, 0
	.set _ZN2at6native14lpnorm_cleanupIN3c108BFloat16ELNS0_8NormTypeE2EfLb0EfEEvPKT3_NS0_19TensorListAddressesEi.has_indirect_call, 0
	.section	.AMDGPU.csdata,"",@progbits
; Kernel info:
; codeLenInByte = 668
; TotalNumSgprs: 14
; NumVgprs: 9
; ScratchSize: 0
; MemoryBound: 0
; FloatMode: 240
; IeeeMode: 1
; LDSByteSize: 2048 bytes/workgroup (compile time only)
; SGPRBlocks: 0
; VGPRBlocks: 0
; NumSGPRsForWavesPerEU: 14
; NumVGPRsForWavesPerEU: 9
; NamedBarCnt: 0
; Occupancy: 16
; WaveLimiterHint : 0
; COMPUTE_PGM_RSRC2:SCRATCH_EN: 0
; COMPUTE_PGM_RSRC2:USER_SGPR: 2
; COMPUTE_PGM_RSRC2:TRAP_HANDLER: 0
; COMPUTE_PGM_RSRC2:TGID_X_EN: 1
; COMPUTE_PGM_RSRC2:TGID_Y_EN: 0
; COMPUTE_PGM_RSRC2:TGID_Z_EN: 0
; COMPUTE_PGM_RSRC2:TIDIG_COMP_CNT: 0
	.section	.text._ZN2at6native14lpnorm_cleanupIN3c108BFloat16ELNS0_8NormTypeE0ENS2_4HalfELb0EfEEvPKT3_NS0_19TensorListAddressesEi,"axG",@progbits,_ZN2at6native14lpnorm_cleanupIN3c108BFloat16ELNS0_8NormTypeE0ENS2_4HalfELb0EfEEvPKT3_NS0_19TensorListAddressesEi,comdat
	.protected	_ZN2at6native14lpnorm_cleanupIN3c108BFloat16ELNS0_8NormTypeE0ENS2_4HalfELb0EfEEvPKT3_NS0_19TensorListAddressesEi ; -- Begin function _ZN2at6native14lpnorm_cleanupIN3c108BFloat16ELNS0_8NormTypeE0ENS2_4HalfELb0EfEEvPKT3_NS0_19TensorListAddressesEi
	.globl	_ZN2at6native14lpnorm_cleanupIN3c108BFloat16ELNS0_8NormTypeE0ENS2_4HalfELb0EfEEvPKT3_NS0_19TensorListAddressesEi
	.p2align	8
	.type	_ZN2at6native14lpnorm_cleanupIN3c108BFloat16ELNS0_8NormTypeE0ENS2_4HalfELb0EfEEvPKT3_NS0_19TensorListAddressesEi,@function
_ZN2at6native14lpnorm_cleanupIN3c108BFloat16ELNS0_8NormTypeE0ENS2_4HalfELb0EfEEvPKT3_NS0_19TensorListAddressesEi: ; @_ZN2at6native14lpnorm_cleanupIN3c108BFloat16ELNS0_8NormTypeE0ENS2_4HalfELb0EfEEvPKT3_NS0_19TensorListAddressesEi
; %bb.0:
	s_load_b32 s2, s[0:1], 0xc88
	s_bfe_u32 s3, ttmp6, 0x4000c
	s_and_b32 s4, ttmp6, 15
	s_add_co_i32 s3, s3, 1
	s_getreg_b32 s5, hwreg(HW_REG_IB_STS2, 6, 4)
	s_mul_i32 s3, ttmp9, s3
	v_mov_b32_e32 v1, 0
	s_add_co_i32 s4, s4, s3
	s_cmp_eq_u32 s5, 0
	s_mov_b32 s5, 0
	s_cselect_b32 s8, ttmp9, s4
	s_mov_b32 s9, exec_lo
	s_wait_kmcnt 0x0
	v_cmpx_gt_u32_e64 s2, v0
	s_cbranch_execz .LBB190_4
; %bb.1:
	s_clause 0x1
	s_load_b64 s[6:7], s[0:1], 0x0
	s_load_b32 s4, s[0:1], 0xc9c
	v_dual_mov_b32 v1, 0 :: v_dual_lshlrev_b32 v2, 2, v0
	s_mul_i32 s10, s2, s8
	s_mov_b32 s11, s5
	s_ashr_i32 s3, s2, 31
	s_delay_alu instid0(VALU_DEP_1)
	v_mov_b32_e32 v3, v1
	s_lshl_b64 s[10:11], s[10:11], 2
	v_mov_b64_e32 v[4:5], v[0:1]
	s_wait_kmcnt 0x0
	s_add_nc_u64 s[6:7], s[6:7], s[10:11]
	s_and_b32 s4, s4, 0xffff
	v_add_nc_u64_e32 v[2:3], s[6:7], v[2:3]
	s_lshl_b32 s6, s4, 2
	s_mov_b32 s7, s5
	s_mov_b32 s10, s5
.LBB190_2:                              ; =>This Inner Loop Header: Depth=1
	global_load_b32 v6, v[2:3], off
	v_add_nc_u64_e32 v[4:5], s[4:5], v[4:5]
	s_wait_xcnt 0x0
	v_add_nc_u64_e32 v[2:3], s[6:7], v[2:3]
	s_delay_alu instid0(VALU_DEP_2)
	v_cmp_le_u64_e32 vcc_lo, s[2:3], v[4:5]
	s_or_b32 s10, vcc_lo, s10
	s_wait_loadcnt 0x0
	v_add_f32_e32 v1, v1, v6
	s_and_not1_b32 exec_lo, exec_lo, s10
	s_cbranch_execnz .LBB190_2
; %bb.3:
	s_or_b32 exec_lo, exec_lo, s10
.LBB190_4:
	s_delay_alu instid0(SALU_CYCLE_1) | instskip(SKIP_4) | instid1(VALU_DEP_1)
	s_or_b32 exec_lo, exec_lo, s9
	v_mbcnt_lo_u32_b32 v5, -1, 0
	s_mov_b32 s2, exec_lo
	s_barrier_signal -1
	s_barrier_wait -1
	v_lshl_or_b32 v2, v5, 2, 64
	v_cmp_gt_u32_e32 vcc_lo, 24, v5
	ds_bpermute_b32 v4, v2, v1
	v_cndmask_b32_e64 v3, 0, 8, vcc_lo
	v_cmp_gt_u32_e32 vcc_lo, 28, v5
	s_delay_alu instid0(VALU_DEP_2)
	v_add_lshl_u32 v3, v3, v5, 2
	s_wait_dscnt 0x0
	v_add_f32_e32 v4, v1, v4
	v_cndmask_b32_e64 v1, 0, 4, vcc_lo
	v_cmp_gt_u32_e32 vcc_lo, 30, v5
	ds_bpermute_b32 v6, v3, v4
	v_add_lshl_u32 v1, v1, v5, 2
	s_wait_dscnt 0x0
	v_add_f32_e32 v6, v4, v6
	v_cndmask_b32_e64 v4, 0, 2, vcc_lo
	v_cmp_ne_u32_e32 vcc_lo, 31, v5
	s_delay_alu instid0(VALU_DEP_2) | instskip(SKIP_1) | instid1(VALU_DEP_1)
	v_add_lshl_u32 v4, v4, v5, 2
	v_add_co_ci_u32_e64 v5, null, 0, v5, vcc_lo
	v_lshlrev_b32_e32 v5, 2, v5
	ds_bpermute_b32 v7, v1, v6
	s_wait_dscnt 0x0
	v_add_f32_e32 v6, v6, v7
	ds_bpermute_b32 v7, v4, v6
	s_wait_dscnt 0x0
	v_dual_add_f32 v7, v6, v7 :: v_dual_bitop2_b32 v6, 31, v0 bitop3:0x40
	ds_bpermute_b32 v8, v5, v7
	v_cmpx_eq_u32_e32 0, v6
	s_cbranch_execz .LBB190_6
; %bb.5:
	s_wait_dscnt 0x0
	v_add_f32_e32 v7, v7, v8
	v_lshrrev_b32_e32 v8, 3, v0
	ds_store_b32 v8, v7
.LBB190_6:
	s_or_b32 exec_lo, exec_lo, s2
	s_wait_dscnt 0x0
	s_barrier_signal -1
	s_barrier_wait -1
	s_load_b32 s2, s[0:1], 0xc9c
	v_mov_b32_e32 v7, 0
	s_wait_kmcnt 0x0
	s_bfe_u32 s2, s2, 0xb0005
	s_delay_alu instid0(SALU_CYCLE_1)
	v_cmp_gt_u32_e32 vcc_lo, s2, v0
	s_and_saveexec_b32 s2, vcc_lo
; %bb.7:
	v_lshlrev_b32_e32 v6, 2, v6
	ds_load_b32 v7, v6
; %bb.8:
	s_or_b32 exec_lo, exec_lo, s2
	s_delay_alu instid0(SALU_CYCLE_1)
	s_mov_b32 s2, exec_lo
	v_cmpx_gt_u32_e32 32, v0
	s_cbranch_execz .LBB190_10
; %bb.9:
	s_wait_dscnt 0x0
	ds_bpermute_b32 v2, v2, v7
	s_wait_dscnt 0x0
	v_add_f32_e32 v2, v7, v2
	ds_bpermute_b32 v3, v3, v2
	s_wait_dscnt 0x0
	v_add_f32_e32 v2, v2, v3
	;; [unrolled: 3-line block ×5, first 2 shown]
.LBB190_10:
	s_or_b32 exec_lo, exec_lo, s2
	s_delay_alu instid0(SALU_CYCLE_1)
	s_mov_b32 s2, exec_lo
	v_cmpx_eq_u32_e32 0, v0
	s_cbranch_execz .LBB190_12
; %bb.11:
	s_load_b64 s[0:1], s[0:1], s8 offset:0x8 scale_offset
	s_wait_dscnt 0x0
	v_cvt_f16_f32_e32 v0, v7
	v_mov_b32_e32 v1, 0
	s_wait_kmcnt 0x0
	global_store_b16 v1, v0, s[0:1]
.LBB190_12:
	s_endpgm
	.section	.rodata,"a",@progbits
	.p2align	6, 0x0
	.amdhsa_kernel _ZN2at6native14lpnorm_cleanupIN3c108BFloat16ELNS0_8NormTypeE0ENS2_4HalfELb0EfEEvPKT3_NS0_19TensorListAddressesEi
		.amdhsa_group_segment_fixed_size 2048
		.amdhsa_private_segment_fixed_size 0
		.amdhsa_kernarg_size 3472
		.amdhsa_user_sgpr_count 2
		.amdhsa_user_sgpr_dispatch_ptr 0
		.amdhsa_user_sgpr_queue_ptr 0
		.amdhsa_user_sgpr_kernarg_segment_ptr 1
		.amdhsa_user_sgpr_dispatch_id 0
		.amdhsa_user_sgpr_kernarg_preload_length 0
		.amdhsa_user_sgpr_kernarg_preload_offset 0
		.amdhsa_user_sgpr_private_segment_size 0
		.amdhsa_wavefront_size32 1
		.amdhsa_uses_dynamic_stack 0
		.amdhsa_enable_private_segment 0
		.amdhsa_system_sgpr_workgroup_id_x 1
		.amdhsa_system_sgpr_workgroup_id_y 0
		.amdhsa_system_sgpr_workgroup_id_z 0
		.amdhsa_system_sgpr_workgroup_info 0
		.amdhsa_system_vgpr_workitem_id 0
		.amdhsa_next_free_vgpr 9
		.amdhsa_next_free_sgpr 12
		.amdhsa_named_barrier_count 0
		.amdhsa_reserve_vcc 1
		.amdhsa_float_round_mode_32 0
		.amdhsa_float_round_mode_16_64 0
		.amdhsa_float_denorm_mode_32 3
		.amdhsa_float_denorm_mode_16_64 3
		.amdhsa_fp16_overflow 0
		.amdhsa_memory_ordered 1
		.amdhsa_forward_progress 1
		.amdhsa_inst_pref_size 6
		.amdhsa_round_robin_scheduling 0
		.amdhsa_exception_fp_ieee_invalid_op 0
		.amdhsa_exception_fp_denorm_src 0
		.amdhsa_exception_fp_ieee_div_zero 0
		.amdhsa_exception_fp_ieee_overflow 0
		.amdhsa_exception_fp_ieee_underflow 0
		.amdhsa_exception_fp_ieee_inexact 0
		.amdhsa_exception_int_div_zero 0
	.end_amdhsa_kernel
	.section	.text._ZN2at6native14lpnorm_cleanupIN3c108BFloat16ELNS0_8NormTypeE0ENS2_4HalfELb0EfEEvPKT3_NS0_19TensorListAddressesEi,"axG",@progbits,_ZN2at6native14lpnorm_cleanupIN3c108BFloat16ELNS0_8NormTypeE0ENS2_4HalfELb0EfEEvPKT3_NS0_19TensorListAddressesEi,comdat
.Lfunc_end190:
	.size	_ZN2at6native14lpnorm_cleanupIN3c108BFloat16ELNS0_8NormTypeE0ENS2_4HalfELb0EfEEvPKT3_NS0_19TensorListAddressesEi, .Lfunc_end190-_ZN2at6native14lpnorm_cleanupIN3c108BFloat16ELNS0_8NormTypeE0ENS2_4HalfELb0EfEEvPKT3_NS0_19TensorListAddressesEi
                                        ; -- End function
	.set _ZN2at6native14lpnorm_cleanupIN3c108BFloat16ELNS0_8NormTypeE0ENS2_4HalfELb0EfEEvPKT3_NS0_19TensorListAddressesEi.num_vgpr, 9
	.set _ZN2at6native14lpnorm_cleanupIN3c108BFloat16ELNS0_8NormTypeE0ENS2_4HalfELb0EfEEvPKT3_NS0_19TensorListAddressesEi.num_agpr, 0
	.set _ZN2at6native14lpnorm_cleanupIN3c108BFloat16ELNS0_8NormTypeE0ENS2_4HalfELb0EfEEvPKT3_NS0_19TensorListAddressesEi.numbered_sgpr, 12
	.set _ZN2at6native14lpnorm_cleanupIN3c108BFloat16ELNS0_8NormTypeE0ENS2_4HalfELb0EfEEvPKT3_NS0_19TensorListAddressesEi.num_named_barrier, 0
	.set _ZN2at6native14lpnorm_cleanupIN3c108BFloat16ELNS0_8NormTypeE0ENS2_4HalfELb0EfEEvPKT3_NS0_19TensorListAddressesEi.private_seg_size, 0
	.set _ZN2at6native14lpnorm_cleanupIN3c108BFloat16ELNS0_8NormTypeE0ENS2_4HalfELb0EfEEvPKT3_NS0_19TensorListAddressesEi.uses_vcc, 1
	.set _ZN2at6native14lpnorm_cleanupIN3c108BFloat16ELNS0_8NormTypeE0ENS2_4HalfELb0EfEEvPKT3_NS0_19TensorListAddressesEi.uses_flat_scratch, 0
	.set _ZN2at6native14lpnorm_cleanupIN3c108BFloat16ELNS0_8NormTypeE0ENS2_4HalfELb0EfEEvPKT3_NS0_19TensorListAddressesEi.has_dyn_sized_stack, 0
	.set _ZN2at6native14lpnorm_cleanupIN3c108BFloat16ELNS0_8NormTypeE0ENS2_4HalfELb0EfEEvPKT3_NS0_19TensorListAddressesEi.has_recursion, 0
	.set _ZN2at6native14lpnorm_cleanupIN3c108BFloat16ELNS0_8NormTypeE0ENS2_4HalfELb0EfEEvPKT3_NS0_19TensorListAddressesEi.has_indirect_call, 0
	.section	.AMDGPU.csdata,"",@progbits
; Kernel info:
; codeLenInByte = 672
; TotalNumSgprs: 14
; NumVgprs: 9
; ScratchSize: 0
; MemoryBound: 0
; FloatMode: 240
; IeeeMode: 1
; LDSByteSize: 2048 bytes/workgroup (compile time only)
; SGPRBlocks: 0
; VGPRBlocks: 0
; NumSGPRsForWavesPerEU: 14
; NumVGPRsForWavesPerEU: 9
; NamedBarCnt: 0
; Occupancy: 16
; WaveLimiterHint : 0
; COMPUTE_PGM_RSRC2:SCRATCH_EN: 0
; COMPUTE_PGM_RSRC2:USER_SGPR: 2
; COMPUTE_PGM_RSRC2:TRAP_HANDLER: 0
; COMPUTE_PGM_RSRC2:TGID_X_EN: 1
; COMPUTE_PGM_RSRC2:TGID_Y_EN: 0
; COMPUTE_PGM_RSRC2:TGID_Z_EN: 0
; COMPUTE_PGM_RSRC2:TIDIG_COMP_CNT: 0
	.section	.text._ZN2at6native14lpnorm_cleanupIN3c108BFloat16ELNS0_8NormTypeE1ENS2_4HalfELb0EfEEvPKT3_NS0_19TensorListAddressesEi,"axG",@progbits,_ZN2at6native14lpnorm_cleanupIN3c108BFloat16ELNS0_8NormTypeE1ENS2_4HalfELb0EfEEvPKT3_NS0_19TensorListAddressesEi,comdat
	.protected	_ZN2at6native14lpnorm_cleanupIN3c108BFloat16ELNS0_8NormTypeE1ENS2_4HalfELb0EfEEvPKT3_NS0_19TensorListAddressesEi ; -- Begin function _ZN2at6native14lpnorm_cleanupIN3c108BFloat16ELNS0_8NormTypeE1ENS2_4HalfELb0EfEEvPKT3_NS0_19TensorListAddressesEi
	.globl	_ZN2at6native14lpnorm_cleanupIN3c108BFloat16ELNS0_8NormTypeE1ENS2_4HalfELb0EfEEvPKT3_NS0_19TensorListAddressesEi
	.p2align	8
	.type	_ZN2at6native14lpnorm_cleanupIN3c108BFloat16ELNS0_8NormTypeE1ENS2_4HalfELb0EfEEvPKT3_NS0_19TensorListAddressesEi,@function
_ZN2at6native14lpnorm_cleanupIN3c108BFloat16ELNS0_8NormTypeE1ENS2_4HalfELb0EfEEvPKT3_NS0_19TensorListAddressesEi: ; @_ZN2at6native14lpnorm_cleanupIN3c108BFloat16ELNS0_8NormTypeE1ENS2_4HalfELb0EfEEvPKT3_NS0_19TensorListAddressesEi
; %bb.0:
	s_load_b32 s2, s[0:1], 0xc88
	s_bfe_u32 s3, ttmp6, 0x4000c
	s_and_b32 s4, ttmp6, 15
	s_add_co_i32 s3, s3, 1
	s_getreg_b32 s5, hwreg(HW_REG_IB_STS2, 6, 4)
	s_mul_i32 s3, ttmp9, s3
	v_mov_b32_e32 v1, 0
	s_add_co_i32 s4, s4, s3
	s_cmp_eq_u32 s5, 0
	s_mov_b32 s5, 0
	s_cselect_b32 s8, ttmp9, s4
	s_mov_b32 s9, exec_lo
	s_wait_kmcnt 0x0
	v_cmpx_gt_u32_e64 s2, v0
	s_cbranch_execz .LBB191_4
; %bb.1:
	s_clause 0x1
	s_load_b64 s[6:7], s[0:1], 0x0
	s_load_b32 s4, s[0:1], 0xc9c
	v_dual_mov_b32 v1, 0 :: v_dual_lshlrev_b32 v2, 2, v0
	s_mul_i32 s10, s2, s8
	s_mov_b32 s11, s5
	s_ashr_i32 s3, s2, 31
	s_delay_alu instid0(VALU_DEP_1)
	v_mov_b32_e32 v3, v1
	s_lshl_b64 s[10:11], s[10:11], 2
	v_mov_b64_e32 v[4:5], v[0:1]
	s_wait_kmcnt 0x0
	s_add_nc_u64 s[6:7], s[6:7], s[10:11]
	s_and_b32 s4, s4, 0xffff
	v_add_nc_u64_e32 v[2:3], s[6:7], v[2:3]
	s_lshl_b32 s6, s4, 2
	s_mov_b32 s7, s5
	s_mov_b32 s10, s5
.LBB191_2:                              ; =>This Inner Loop Header: Depth=1
	global_load_b32 v6, v[2:3], off
	v_add_nc_u64_e32 v[4:5], s[4:5], v[4:5]
	s_wait_xcnt 0x0
	v_add_nc_u64_e32 v[2:3], s[6:7], v[2:3]
	s_delay_alu instid0(VALU_DEP_2)
	v_cmp_le_u64_e32 vcc_lo, s[2:3], v[4:5]
	s_or_b32 s10, vcc_lo, s10
	s_wait_loadcnt 0x0
	v_add_f32_e32 v1, v1, v6
	s_and_not1_b32 exec_lo, exec_lo, s10
	s_cbranch_execnz .LBB191_2
; %bb.3:
	s_or_b32 exec_lo, exec_lo, s10
.LBB191_4:
	s_delay_alu instid0(SALU_CYCLE_1) | instskip(SKIP_4) | instid1(VALU_DEP_1)
	s_or_b32 exec_lo, exec_lo, s9
	v_mbcnt_lo_u32_b32 v5, -1, 0
	s_mov_b32 s2, exec_lo
	s_barrier_signal -1
	s_barrier_wait -1
	v_lshl_or_b32 v2, v5, 2, 64
	v_cmp_gt_u32_e32 vcc_lo, 24, v5
	ds_bpermute_b32 v4, v2, v1
	v_cndmask_b32_e64 v3, 0, 8, vcc_lo
	v_cmp_gt_u32_e32 vcc_lo, 28, v5
	s_delay_alu instid0(VALU_DEP_2)
	v_add_lshl_u32 v3, v3, v5, 2
	s_wait_dscnt 0x0
	v_add_f32_e32 v4, v1, v4
	v_cndmask_b32_e64 v1, 0, 4, vcc_lo
	v_cmp_gt_u32_e32 vcc_lo, 30, v5
	ds_bpermute_b32 v6, v3, v4
	v_add_lshl_u32 v1, v1, v5, 2
	s_wait_dscnt 0x0
	v_add_f32_e32 v6, v4, v6
	v_cndmask_b32_e64 v4, 0, 2, vcc_lo
	v_cmp_ne_u32_e32 vcc_lo, 31, v5
	s_delay_alu instid0(VALU_DEP_2) | instskip(SKIP_1) | instid1(VALU_DEP_1)
	v_add_lshl_u32 v4, v4, v5, 2
	v_add_co_ci_u32_e64 v5, null, 0, v5, vcc_lo
	v_lshlrev_b32_e32 v5, 2, v5
	ds_bpermute_b32 v7, v1, v6
	s_wait_dscnt 0x0
	v_add_f32_e32 v6, v6, v7
	ds_bpermute_b32 v7, v4, v6
	s_wait_dscnt 0x0
	v_dual_add_f32 v7, v6, v7 :: v_dual_bitop2_b32 v6, 31, v0 bitop3:0x40
	ds_bpermute_b32 v8, v5, v7
	v_cmpx_eq_u32_e32 0, v6
	s_cbranch_execz .LBB191_6
; %bb.5:
	s_wait_dscnt 0x0
	v_add_f32_e32 v7, v7, v8
	v_lshrrev_b32_e32 v8, 3, v0
	ds_store_b32 v8, v7
.LBB191_6:
	s_or_b32 exec_lo, exec_lo, s2
	s_wait_dscnt 0x0
	s_barrier_signal -1
	s_barrier_wait -1
	s_load_b32 s2, s[0:1], 0xc9c
	v_mov_b32_e32 v7, 0
	s_wait_kmcnt 0x0
	s_bfe_u32 s2, s2, 0xb0005
	s_delay_alu instid0(SALU_CYCLE_1)
	v_cmp_gt_u32_e32 vcc_lo, s2, v0
	s_and_saveexec_b32 s2, vcc_lo
; %bb.7:
	v_lshlrev_b32_e32 v6, 2, v6
	ds_load_b32 v7, v6
; %bb.8:
	s_or_b32 exec_lo, exec_lo, s2
	s_delay_alu instid0(SALU_CYCLE_1)
	s_mov_b32 s2, exec_lo
	v_cmpx_gt_u32_e32 32, v0
	s_cbranch_execz .LBB191_10
; %bb.9:
	s_wait_dscnt 0x0
	ds_bpermute_b32 v2, v2, v7
	s_wait_dscnt 0x0
	v_add_f32_e32 v2, v7, v2
	ds_bpermute_b32 v3, v3, v2
	s_wait_dscnt 0x0
	v_add_f32_e32 v2, v2, v3
	;; [unrolled: 3-line block ×5, first 2 shown]
.LBB191_10:
	s_or_b32 exec_lo, exec_lo, s2
	s_delay_alu instid0(SALU_CYCLE_1)
	s_mov_b32 s2, exec_lo
	v_cmpx_eq_u32_e32 0, v0
	s_cbranch_execz .LBB191_12
; %bb.11:
	s_load_b64 s[0:1], s[0:1], s8 offset:0x8 scale_offset
	s_wait_dscnt 0x0
	v_cvt_f16_f32_e32 v0, v7
	v_mov_b32_e32 v1, 0
	s_wait_kmcnt 0x0
	global_store_b16 v1, v0, s[0:1]
.LBB191_12:
	s_endpgm
	.section	.rodata,"a",@progbits
	.p2align	6, 0x0
	.amdhsa_kernel _ZN2at6native14lpnorm_cleanupIN3c108BFloat16ELNS0_8NormTypeE1ENS2_4HalfELb0EfEEvPKT3_NS0_19TensorListAddressesEi
		.amdhsa_group_segment_fixed_size 2048
		.amdhsa_private_segment_fixed_size 0
		.amdhsa_kernarg_size 3472
		.amdhsa_user_sgpr_count 2
		.amdhsa_user_sgpr_dispatch_ptr 0
		.amdhsa_user_sgpr_queue_ptr 0
		.amdhsa_user_sgpr_kernarg_segment_ptr 1
		.amdhsa_user_sgpr_dispatch_id 0
		.amdhsa_user_sgpr_kernarg_preload_length 0
		.amdhsa_user_sgpr_kernarg_preload_offset 0
		.amdhsa_user_sgpr_private_segment_size 0
		.amdhsa_wavefront_size32 1
		.amdhsa_uses_dynamic_stack 0
		.amdhsa_enable_private_segment 0
		.amdhsa_system_sgpr_workgroup_id_x 1
		.amdhsa_system_sgpr_workgroup_id_y 0
		.amdhsa_system_sgpr_workgroup_id_z 0
		.amdhsa_system_sgpr_workgroup_info 0
		.amdhsa_system_vgpr_workitem_id 0
		.amdhsa_next_free_vgpr 9
		.amdhsa_next_free_sgpr 12
		.amdhsa_named_barrier_count 0
		.amdhsa_reserve_vcc 1
		.amdhsa_float_round_mode_32 0
		.amdhsa_float_round_mode_16_64 0
		.amdhsa_float_denorm_mode_32 3
		.amdhsa_float_denorm_mode_16_64 3
		.amdhsa_fp16_overflow 0
		.amdhsa_memory_ordered 1
		.amdhsa_forward_progress 1
		.amdhsa_inst_pref_size 6
		.amdhsa_round_robin_scheduling 0
		.amdhsa_exception_fp_ieee_invalid_op 0
		.amdhsa_exception_fp_denorm_src 0
		.amdhsa_exception_fp_ieee_div_zero 0
		.amdhsa_exception_fp_ieee_overflow 0
		.amdhsa_exception_fp_ieee_underflow 0
		.amdhsa_exception_fp_ieee_inexact 0
		.amdhsa_exception_int_div_zero 0
	.end_amdhsa_kernel
	.section	.text._ZN2at6native14lpnorm_cleanupIN3c108BFloat16ELNS0_8NormTypeE1ENS2_4HalfELb0EfEEvPKT3_NS0_19TensorListAddressesEi,"axG",@progbits,_ZN2at6native14lpnorm_cleanupIN3c108BFloat16ELNS0_8NormTypeE1ENS2_4HalfELb0EfEEvPKT3_NS0_19TensorListAddressesEi,comdat
.Lfunc_end191:
	.size	_ZN2at6native14lpnorm_cleanupIN3c108BFloat16ELNS0_8NormTypeE1ENS2_4HalfELb0EfEEvPKT3_NS0_19TensorListAddressesEi, .Lfunc_end191-_ZN2at6native14lpnorm_cleanupIN3c108BFloat16ELNS0_8NormTypeE1ENS2_4HalfELb0EfEEvPKT3_NS0_19TensorListAddressesEi
                                        ; -- End function
	.set _ZN2at6native14lpnorm_cleanupIN3c108BFloat16ELNS0_8NormTypeE1ENS2_4HalfELb0EfEEvPKT3_NS0_19TensorListAddressesEi.num_vgpr, 9
	.set _ZN2at6native14lpnorm_cleanupIN3c108BFloat16ELNS0_8NormTypeE1ENS2_4HalfELb0EfEEvPKT3_NS0_19TensorListAddressesEi.num_agpr, 0
	.set _ZN2at6native14lpnorm_cleanupIN3c108BFloat16ELNS0_8NormTypeE1ENS2_4HalfELb0EfEEvPKT3_NS0_19TensorListAddressesEi.numbered_sgpr, 12
	.set _ZN2at6native14lpnorm_cleanupIN3c108BFloat16ELNS0_8NormTypeE1ENS2_4HalfELb0EfEEvPKT3_NS0_19TensorListAddressesEi.num_named_barrier, 0
	.set _ZN2at6native14lpnorm_cleanupIN3c108BFloat16ELNS0_8NormTypeE1ENS2_4HalfELb0EfEEvPKT3_NS0_19TensorListAddressesEi.private_seg_size, 0
	.set _ZN2at6native14lpnorm_cleanupIN3c108BFloat16ELNS0_8NormTypeE1ENS2_4HalfELb0EfEEvPKT3_NS0_19TensorListAddressesEi.uses_vcc, 1
	.set _ZN2at6native14lpnorm_cleanupIN3c108BFloat16ELNS0_8NormTypeE1ENS2_4HalfELb0EfEEvPKT3_NS0_19TensorListAddressesEi.uses_flat_scratch, 0
	.set _ZN2at6native14lpnorm_cleanupIN3c108BFloat16ELNS0_8NormTypeE1ENS2_4HalfELb0EfEEvPKT3_NS0_19TensorListAddressesEi.has_dyn_sized_stack, 0
	.set _ZN2at6native14lpnorm_cleanupIN3c108BFloat16ELNS0_8NormTypeE1ENS2_4HalfELb0EfEEvPKT3_NS0_19TensorListAddressesEi.has_recursion, 0
	.set _ZN2at6native14lpnorm_cleanupIN3c108BFloat16ELNS0_8NormTypeE1ENS2_4HalfELb0EfEEvPKT3_NS0_19TensorListAddressesEi.has_indirect_call, 0
	.section	.AMDGPU.csdata,"",@progbits
; Kernel info:
; codeLenInByte = 672
; TotalNumSgprs: 14
; NumVgprs: 9
; ScratchSize: 0
; MemoryBound: 0
; FloatMode: 240
; IeeeMode: 1
; LDSByteSize: 2048 bytes/workgroup (compile time only)
; SGPRBlocks: 0
; VGPRBlocks: 0
; NumSGPRsForWavesPerEU: 14
; NumVGPRsForWavesPerEU: 9
; NamedBarCnt: 0
; Occupancy: 16
; WaveLimiterHint : 0
; COMPUTE_PGM_RSRC2:SCRATCH_EN: 0
; COMPUTE_PGM_RSRC2:USER_SGPR: 2
; COMPUTE_PGM_RSRC2:TRAP_HANDLER: 0
; COMPUTE_PGM_RSRC2:TGID_X_EN: 1
; COMPUTE_PGM_RSRC2:TGID_Y_EN: 0
; COMPUTE_PGM_RSRC2:TGID_Z_EN: 0
; COMPUTE_PGM_RSRC2:TIDIG_COMP_CNT: 0
	.section	.text._ZN2at6native14lpnorm_cleanupIN3c108BFloat16ELNS0_8NormTypeE2ENS2_4HalfELb0EfEEvPKT3_NS0_19TensorListAddressesEi,"axG",@progbits,_ZN2at6native14lpnorm_cleanupIN3c108BFloat16ELNS0_8NormTypeE2ENS2_4HalfELb0EfEEvPKT3_NS0_19TensorListAddressesEi,comdat
	.protected	_ZN2at6native14lpnorm_cleanupIN3c108BFloat16ELNS0_8NormTypeE2ENS2_4HalfELb0EfEEvPKT3_NS0_19TensorListAddressesEi ; -- Begin function _ZN2at6native14lpnorm_cleanupIN3c108BFloat16ELNS0_8NormTypeE2ENS2_4HalfELb0EfEEvPKT3_NS0_19TensorListAddressesEi
	.globl	_ZN2at6native14lpnorm_cleanupIN3c108BFloat16ELNS0_8NormTypeE2ENS2_4HalfELb0EfEEvPKT3_NS0_19TensorListAddressesEi
	.p2align	8
	.type	_ZN2at6native14lpnorm_cleanupIN3c108BFloat16ELNS0_8NormTypeE2ENS2_4HalfELb0EfEEvPKT3_NS0_19TensorListAddressesEi,@function
_ZN2at6native14lpnorm_cleanupIN3c108BFloat16ELNS0_8NormTypeE2ENS2_4HalfELb0EfEEvPKT3_NS0_19TensorListAddressesEi: ; @_ZN2at6native14lpnorm_cleanupIN3c108BFloat16ELNS0_8NormTypeE2ENS2_4HalfELb0EfEEvPKT3_NS0_19TensorListAddressesEi
; %bb.0:
	s_load_b32 s2, s[0:1], 0xc88
	s_bfe_u32 s3, ttmp6, 0x4000c
	s_and_b32 s4, ttmp6, 15
	s_add_co_i32 s3, s3, 1
	s_getreg_b32 s5, hwreg(HW_REG_IB_STS2, 6, 4)
	s_mul_i32 s3, ttmp9, s3
	v_mov_b32_e32 v1, 0
	s_add_co_i32 s4, s4, s3
	s_cmp_eq_u32 s5, 0
	s_mov_b32 s5, 0
	s_cselect_b32 s8, ttmp9, s4
	s_mov_b32 s9, exec_lo
	s_wait_kmcnt 0x0
	v_cmpx_gt_u32_e64 s2, v0
	s_cbranch_execz .LBB192_4
; %bb.1:
	s_clause 0x1
	s_load_b64 s[6:7], s[0:1], 0x0
	s_load_b32 s4, s[0:1], 0xc9c
	v_dual_mov_b32 v1, 0 :: v_dual_lshlrev_b32 v2, 2, v0
	s_mul_i32 s10, s2, s8
	s_mov_b32 s11, s5
	s_ashr_i32 s3, s2, 31
	s_delay_alu instid0(VALU_DEP_1)
	v_mov_b32_e32 v3, v1
	s_lshl_b64 s[10:11], s[10:11], 2
	v_mov_b64_e32 v[4:5], v[0:1]
	s_wait_kmcnt 0x0
	s_add_nc_u64 s[6:7], s[6:7], s[10:11]
	s_and_b32 s4, s4, 0xffff
	v_add_nc_u64_e32 v[2:3], s[6:7], v[2:3]
	s_lshl_b32 s6, s4, 2
	s_mov_b32 s7, s5
	s_mov_b32 s10, s5
.LBB192_2:                              ; =>This Inner Loop Header: Depth=1
	global_load_b32 v6, v[2:3], off
	v_add_nc_u64_e32 v[4:5], s[4:5], v[4:5]
	s_wait_xcnt 0x0
	v_add_nc_u64_e32 v[2:3], s[6:7], v[2:3]
	s_delay_alu instid0(VALU_DEP_2)
	v_cmp_le_u64_e32 vcc_lo, s[2:3], v[4:5]
	s_or_b32 s10, vcc_lo, s10
	s_wait_loadcnt 0x0
	v_add_f32_e32 v1, v1, v6
	s_and_not1_b32 exec_lo, exec_lo, s10
	s_cbranch_execnz .LBB192_2
; %bb.3:
	s_or_b32 exec_lo, exec_lo, s10
.LBB192_4:
	s_delay_alu instid0(SALU_CYCLE_1) | instskip(SKIP_4) | instid1(VALU_DEP_1)
	s_or_b32 exec_lo, exec_lo, s9
	v_mbcnt_lo_u32_b32 v5, -1, 0
	s_mov_b32 s2, exec_lo
	s_barrier_signal -1
	s_barrier_wait -1
	v_lshl_or_b32 v2, v5, 2, 64
	v_cmp_gt_u32_e32 vcc_lo, 24, v5
	ds_bpermute_b32 v4, v2, v1
	v_cndmask_b32_e64 v3, 0, 8, vcc_lo
	v_cmp_gt_u32_e32 vcc_lo, 28, v5
	s_delay_alu instid0(VALU_DEP_2)
	v_add_lshl_u32 v3, v3, v5, 2
	s_wait_dscnt 0x0
	v_add_f32_e32 v4, v1, v4
	v_cndmask_b32_e64 v1, 0, 4, vcc_lo
	v_cmp_gt_u32_e32 vcc_lo, 30, v5
	ds_bpermute_b32 v6, v3, v4
	v_add_lshl_u32 v1, v1, v5, 2
	s_wait_dscnt 0x0
	v_add_f32_e32 v6, v4, v6
	v_cndmask_b32_e64 v4, 0, 2, vcc_lo
	v_cmp_ne_u32_e32 vcc_lo, 31, v5
	s_delay_alu instid0(VALU_DEP_2) | instskip(SKIP_1) | instid1(VALU_DEP_1)
	v_add_lshl_u32 v4, v4, v5, 2
	v_add_co_ci_u32_e64 v5, null, 0, v5, vcc_lo
	v_lshlrev_b32_e32 v5, 2, v5
	ds_bpermute_b32 v7, v1, v6
	s_wait_dscnt 0x0
	v_add_f32_e32 v6, v6, v7
	ds_bpermute_b32 v7, v4, v6
	s_wait_dscnt 0x0
	v_dual_add_f32 v7, v6, v7 :: v_dual_bitop2_b32 v6, 31, v0 bitop3:0x40
	ds_bpermute_b32 v8, v5, v7
	v_cmpx_eq_u32_e32 0, v6
	s_cbranch_execz .LBB192_6
; %bb.5:
	s_wait_dscnt 0x0
	v_add_f32_e32 v7, v7, v8
	v_lshrrev_b32_e32 v8, 3, v0
	ds_store_b32 v8, v7
.LBB192_6:
	s_or_b32 exec_lo, exec_lo, s2
	s_wait_dscnt 0x0
	s_barrier_signal -1
	s_barrier_wait -1
	s_load_b32 s2, s[0:1], 0xc9c
	v_mov_b32_e32 v7, 0
	s_wait_kmcnt 0x0
	s_bfe_u32 s2, s2, 0xb0005
	s_delay_alu instid0(SALU_CYCLE_1)
	v_cmp_gt_u32_e32 vcc_lo, s2, v0
	s_and_saveexec_b32 s2, vcc_lo
; %bb.7:
	v_lshlrev_b32_e32 v6, 2, v6
	ds_load_b32 v7, v6
; %bb.8:
	s_or_b32 exec_lo, exec_lo, s2
	s_delay_alu instid0(SALU_CYCLE_1)
	s_mov_b32 s2, exec_lo
	v_cmpx_gt_u32_e32 32, v0
	s_cbranch_execz .LBB192_10
; %bb.9:
	s_wait_dscnt 0x0
	ds_bpermute_b32 v2, v2, v7
	s_wait_dscnt 0x0
	v_add_f32_e32 v2, v7, v2
	ds_bpermute_b32 v3, v3, v2
	s_wait_dscnt 0x0
	v_add_f32_e32 v2, v2, v3
	;; [unrolled: 3-line block ×5, first 2 shown]
.LBB192_10:
	s_or_b32 exec_lo, exec_lo, s2
	s_delay_alu instid0(SALU_CYCLE_1)
	s_mov_b32 s2, exec_lo
	v_cmpx_eq_u32_e32 0, v0
	s_cbranch_execz .LBB192_12
; %bb.11:
	s_load_b64 s[0:1], s[0:1], s8 offset:0x8 scale_offset
	s_wait_dscnt 0x0
	v_cvt_f16_f32_e32 v0, v7
	v_mov_b32_e32 v1, 0
	s_wait_kmcnt 0x0
	global_store_b16 v1, v0, s[0:1]
.LBB192_12:
	s_endpgm
	.section	.rodata,"a",@progbits
	.p2align	6, 0x0
	.amdhsa_kernel _ZN2at6native14lpnorm_cleanupIN3c108BFloat16ELNS0_8NormTypeE2ENS2_4HalfELb0EfEEvPKT3_NS0_19TensorListAddressesEi
		.amdhsa_group_segment_fixed_size 2048
		.amdhsa_private_segment_fixed_size 0
		.amdhsa_kernarg_size 3472
		.amdhsa_user_sgpr_count 2
		.amdhsa_user_sgpr_dispatch_ptr 0
		.amdhsa_user_sgpr_queue_ptr 0
		.amdhsa_user_sgpr_kernarg_segment_ptr 1
		.amdhsa_user_sgpr_dispatch_id 0
		.amdhsa_user_sgpr_kernarg_preload_length 0
		.amdhsa_user_sgpr_kernarg_preload_offset 0
		.amdhsa_user_sgpr_private_segment_size 0
		.amdhsa_wavefront_size32 1
		.amdhsa_uses_dynamic_stack 0
		.amdhsa_enable_private_segment 0
		.amdhsa_system_sgpr_workgroup_id_x 1
		.amdhsa_system_sgpr_workgroup_id_y 0
		.amdhsa_system_sgpr_workgroup_id_z 0
		.amdhsa_system_sgpr_workgroup_info 0
		.amdhsa_system_vgpr_workitem_id 0
		.amdhsa_next_free_vgpr 9
		.amdhsa_next_free_sgpr 12
		.amdhsa_named_barrier_count 0
		.amdhsa_reserve_vcc 1
		.amdhsa_float_round_mode_32 0
		.amdhsa_float_round_mode_16_64 0
		.amdhsa_float_denorm_mode_32 3
		.amdhsa_float_denorm_mode_16_64 3
		.amdhsa_fp16_overflow 0
		.amdhsa_memory_ordered 1
		.amdhsa_forward_progress 1
		.amdhsa_inst_pref_size 6
		.amdhsa_round_robin_scheduling 0
		.amdhsa_exception_fp_ieee_invalid_op 0
		.amdhsa_exception_fp_denorm_src 0
		.amdhsa_exception_fp_ieee_div_zero 0
		.amdhsa_exception_fp_ieee_overflow 0
		.amdhsa_exception_fp_ieee_underflow 0
		.amdhsa_exception_fp_ieee_inexact 0
		.amdhsa_exception_int_div_zero 0
	.end_amdhsa_kernel
	.section	.text._ZN2at6native14lpnorm_cleanupIN3c108BFloat16ELNS0_8NormTypeE2ENS2_4HalfELb0EfEEvPKT3_NS0_19TensorListAddressesEi,"axG",@progbits,_ZN2at6native14lpnorm_cleanupIN3c108BFloat16ELNS0_8NormTypeE2ENS2_4HalfELb0EfEEvPKT3_NS0_19TensorListAddressesEi,comdat
.Lfunc_end192:
	.size	_ZN2at6native14lpnorm_cleanupIN3c108BFloat16ELNS0_8NormTypeE2ENS2_4HalfELb0EfEEvPKT3_NS0_19TensorListAddressesEi, .Lfunc_end192-_ZN2at6native14lpnorm_cleanupIN3c108BFloat16ELNS0_8NormTypeE2ENS2_4HalfELb0EfEEvPKT3_NS0_19TensorListAddressesEi
                                        ; -- End function
	.set _ZN2at6native14lpnorm_cleanupIN3c108BFloat16ELNS0_8NormTypeE2ENS2_4HalfELb0EfEEvPKT3_NS0_19TensorListAddressesEi.num_vgpr, 9
	.set _ZN2at6native14lpnorm_cleanupIN3c108BFloat16ELNS0_8NormTypeE2ENS2_4HalfELb0EfEEvPKT3_NS0_19TensorListAddressesEi.num_agpr, 0
	.set _ZN2at6native14lpnorm_cleanupIN3c108BFloat16ELNS0_8NormTypeE2ENS2_4HalfELb0EfEEvPKT3_NS0_19TensorListAddressesEi.numbered_sgpr, 12
	.set _ZN2at6native14lpnorm_cleanupIN3c108BFloat16ELNS0_8NormTypeE2ENS2_4HalfELb0EfEEvPKT3_NS0_19TensorListAddressesEi.num_named_barrier, 0
	.set _ZN2at6native14lpnorm_cleanupIN3c108BFloat16ELNS0_8NormTypeE2ENS2_4HalfELb0EfEEvPKT3_NS0_19TensorListAddressesEi.private_seg_size, 0
	.set _ZN2at6native14lpnorm_cleanupIN3c108BFloat16ELNS0_8NormTypeE2ENS2_4HalfELb0EfEEvPKT3_NS0_19TensorListAddressesEi.uses_vcc, 1
	.set _ZN2at6native14lpnorm_cleanupIN3c108BFloat16ELNS0_8NormTypeE2ENS2_4HalfELb0EfEEvPKT3_NS0_19TensorListAddressesEi.uses_flat_scratch, 0
	.set _ZN2at6native14lpnorm_cleanupIN3c108BFloat16ELNS0_8NormTypeE2ENS2_4HalfELb0EfEEvPKT3_NS0_19TensorListAddressesEi.has_dyn_sized_stack, 0
	.set _ZN2at6native14lpnorm_cleanupIN3c108BFloat16ELNS0_8NormTypeE2ENS2_4HalfELb0EfEEvPKT3_NS0_19TensorListAddressesEi.has_recursion, 0
	.set _ZN2at6native14lpnorm_cleanupIN3c108BFloat16ELNS0_8NormTypeE2ENS2_4HalfELb0EfEEvPKT3_NS0_19TensorListAddressesEi.has_indirect_call, 0
	.section	.AMDGPU.csdata,"",@progbits
; Kernel info:
; codeLenInByte = 672
; TotalNumSgprs: 14
; NumVgprs: 9
; ScratchSize: 0
; MemoryBound: 0
; FloatMode: 240
; IeeeMode: 1
; LDSByteSize: 2048 bytes/workgroup (compile time only)
; SGPRBlocks: 0
; VGPRBlocks: 0
; NumSGPRsForWavesPerEU: 14
; NumVGPRsForWavesPerEU: 9
; NamedBarCnt: 0
; Occupancy: 16
; WaveLimiterHint : 0
; COMPUTE_PGM_RSRC2:SCRATCH_EN: 0
; COMPUTE_PGM_RSRC2:USER_SGPR: 2
; COMPUTE_PGM_RSRC2:TRAP_HANDLER: 0
; COMPUTE_PGM_RSRC2:TGID_X_EN: 1
; COMPUTE_PGM_RSRC2:TGID_Y_EN: 0
; COMPUTE_PGM_RSRC2:TGID_Z_EN: 0
; COMPUTE_PGM_RSRC2:TIDIG_COMP_CNT: 0
	.section	.text._ZN2at6native14lpnorm_cleanupIN3c108BFloat16ELNS0_8NormTypeE0ES3_Lb0EfEEvPKT3_NS0_19TensorListAddressesEi,"axG",@progbits,_ZN2at6native14lpnorm_cleanupIN3c108BFloat16ELNS0_8NormTypeE0ES3_Lb0EfEEvPKT3_NS0_19TensorListAddressesEi,comdat
	.protected	_ZN2at6native14lpnorm_cleanupIN3c108BFloat16ELNS0_8NormTypeE0ES3_Lb0EfEEvPKT3_NS0_19TensorListAddressesEi ; -- Begin function _ZN2at6native14lpnorm_cleanupIN3c108BFloat16ELNS0_8NormTypeE0ES3_Lb0EfEEvPKT3_NS0_19TensorListAddressesEi
	.globl	_ZN2at6native14lpnorm_cleanupIN3c108BFloat16ELNS0_8NormTypeE0ES3_Lb0EfEEvPKT3_NS0_19TensorListAddressesEi
	.p2align	8
	.type	_ZN2at6native14lpnorm_cleanupIN3c108BFloat16ELNS0_8NormTypeE0ES3_Lb0EfEEvPKT3_NS0_19TensorListAddressesEi,@function
_ZN2at6native14lpnorm_cleanupIN3c108BFloat16ELNS0_8NormTypeE0ES3_Lb0EfEEvPKT3_NS0_19TensorListAddressesEi: ; @_ZN2at6native14lpnorm_cleanupIN3c108BFloat16ELNS0_8NormTypeE0ES3_Lb0EfEEvPKT3_NS0_19TensorListAddressesEi
; %bb.0:
	s_load_b32 s2, s[0:1], 0xc88
	s_bfe_u32 s3, ttmp6, 0x4000c
	s_and_b32 s4, ttmp6, 15
	s_add_co_i32 s3, s3, 1
	s_getreg_b32 s5, hwreg(HW_REG_IB_STS2, 6, 4)
	s_mul_i32 s3, ttmp9, s3
	v_mov_b32_e32 v1, 0
	s_add_co_i32 s4, s4, s3
	s_cmp_eq_u32 s5, 0
	s_mov_b32 s5, 0
	s_cselect_b32 s8, ttmp9, s4
	s_mov_b32 s9, exec_lo
	s_wait_kmcnt 0x0
	v_cmpx_gt_u32_e64 s2, v0
	s_cbranch_execz .LBB193_4
; %bb.1:
	s_clause 0x1
	s_load_b64 s[6:7], s[0:1], 0x0
	s_load_b32 s4, s[0:1], 0xc9c
	v_dual_mov_b32 v1, 0 :: v_dual_lshlrev_b32 v2, 2, v0
	s_mul_i32 s10, s2, s8
	s_mov_b32 s11, s5
	s_ashr_i32 s3, s2, 31
	s_delay_alu instid0(VALU_DEP_1)
	v_mov_b32_e32 v3, v1
	s_lshl_b64 s[10:11], s[10:11], 2
	v_mov_b64_e32 v[4:5], v[0:1]
	s_wait_kmcnt 0x0
	s_add_nc_u64 s[6:7], s[6:7], s[10:11]
	s_and_b32 s4, s4, 0xffff
	v_add_nc_u64_e32 v[2:3], s[6:7], v[2:3]
	s_lshl_b32 s6, s4, 2
	s_mov_b32 s7, s5
	s_mov_b32 s10, s5
.LBB193_2:                              ; =>This Inner Loop Header: Depth=1
	global_load_b32 v6, v[2:3], off
	v_add_nc_u64_e32 v[4:5], s[4:5], v[4:5]
	s_wait_xcnt 0x0
	v_add_nc_u64_e32 v[2:3], s[6:7], v[2:3]
	s_delay_alu instid0(VALU_DEP_2)
	v_cmp_le_u64_e32 vcc_lo, s[2:3], v[4:5]
	s_or_b32 s10, vcc_lo, s10
	s_wait_loadcnt 0x0
	v_add_f32_e32 v1, v1, v6
	s_and_not1_b32 exec_lo, exec_lo, s10
	s_cbranch_execnz .LBB193_2
; %bb.3:
	s_or_b32 exec_lo, exec_lo, s10
.LBB193_4:
	s_delay_alu instid0(SALU_CYCLE_1) | instskip(SKIP_4) | instid1(VALU_DEP_1)
	s_or_b32 exec_lo, exec_lo, s9
	v_mbcnt_lo_u32_b32 v5, -1, 0
	s_mov_b32 s2, exec_lo
	s_barrier_signal -1
	s_barrier_wait -1
	v_lshl_or_b32 v2, v5, 2, 64
	v_cmp_gt_u32_e32 vcc_lo, 24, v5
	ds_bpermute_b32 v4, v2, v1
	v_cndmask_b32_e64 v3, 0, 8, vcc_lo
	v_cmp_gt_u32_e32 vcc_lo, 28, v5
	s_delay_alu instid0(VALU_DEP_2)
	v_add_lshl_u32 v3, v3, v5, 2
	s_wait_dscnt 0x0
	v_add_f32_e32 v4, v1, v4
	v_cndmask_b32_e64 v1, 0, 4, vcc_lo
	v_cmp_gt_u32_e32 vcc_lo, 30, v5
	ds_bpermute_b32 v6, v3, v4
	v_add_lshl_u32 v1, v1, v5, 2
	s_wait_dscnt 0x0
	v_add_f32_e32 v6, v4, v6
	v_cndmask_b32_e64 v4, 0, 2, vcc_lo
	v_cmp_ne_u32_e32 vcc_lo, 31, v5
	s_delay_alu instid0(VALU_DEP_2) | instskip(SKIP_1) | instid1(VALU_DEP_1)
	v_add_lshl_u32 v4, v4, v5, 2
	v_add_co_ci_u32_e64 v5, null, 0, v5, vcc_lo
	v_lshlrev_b32_e32 v5, 2, v5
	ds_bpermute_b32 v7, v1, v6
	s_wait_dscnt 0x0
	v_add_f32_e32 v6, v6, v7
	ds_bpermute_b32 v7, v4, v6
	s_wait_dscnt 0x0
	v_dual_add_f32 v6, v6, v7 :: v_dual_bitop2_b32 v7, 31, v0 bitop3:0x40
	ds_bpermute_b32 v8, v5, v6
	v_cmpx_eq_u32_e32 0, v7
	s_cbranch_execz .LBB193_6
; %bb.5:
	s_wait_dscnt 0x0
	v_add_f32_e32 v6, v6, v8
	v_lshrrev_b32_e32 v8, 3, v0
	ds_store_b32 v8, v6
.LBB193_6:
	s_or_b32 exec_lo, exec_lo, s2
	s_wait_dscnt 0x0
	s_barrier_signal -1
	s_barrier_wait -1
	s_load_b32 s2, s[0:1], 0xc9c
	v_mov_b32_e32 v6, 0
	s_wait_kmcnt 0x0
	s_bfe_u32 s2, s2, 0xb0005
	s_delay_alu instid0(SALU_CYCLE_1)
	v_cmp_gt_u32_e32 vcc_lo, s2, v0
	s_and_saveexec_b32 s2, vcc_lo
; %bb.7:
	v_lshlrev_b32_e32 v6, 2, v7
	ds_load_b32 v6, v6
; %bb.8:
	s_or_b32 exec_lo, exec_lo, s2
	s_delay_alu instid0(SALU_CYCLE_1)
	s_mov_b32 s2, exec_lo
	v_cmpx_gt_u32_e32 32, v0
	s_cbranch_execz .LBB193_10
; %bb.9:
	s_wait_dscnt 0x0
	ds_bpermute_b32 v2, v2, v6
	s_wait_dscnt 0x0
	v_add_f32_e32 v2, v6, v2
	ds_bpermute_b32 v3, v3, v2
	s_wait_dscnt 0x0
	v_add_f32_e32 v2, v2, v3
	;; [unrolled: 3-line block ×5, first 2 shown]
.LBB193_10:
	s_or_b32 exec_lo, exec_lo, s2
	s_delay_alu instid0(SALU_CYCLE_1)
	s_mov_b32 s2, exec_lo
	v_cmpx_eq_u32_e32 0, v0
	s_cbranch_execz .LBB193_12
; %bb.11:
	s_wait_dscnt 0x0
	v_bfe_u32 v0, v6, 16, 1
	s_load_b64 s[0:1], s[0:1], s8 offset:0x8 scale_offset
	v_cmp_o_f32_e32 vcc_lo, v6, v6
	v_mov_b32_e32 v1, 0
	s_delay_alu instid0(VALU_DEP_3) | instskip(NEXT) | instid1(VALU_DEP_1)
	v_add3_u32 v0, v6, v0, 0x7fff
	v_lshrrev_b32_e32 v0, 16, v0
	s_delay_alu instid0(VALU_DEP_1)
	v_cndmask_b32_e32 v0, 0x7fc0, v0, vcc_lo
	s_wait_kmcnt 0x0
	global_store_b16 v1, v0, s[0:1]
.LBB193_12:
	s_endpgm
	.section	.rodata,"a",@progbits
	.p2align	6, 0x0
	.amdhsa_kernel _ZN2at6native14lpnorm_cleanupIN3c108BFloat16ELNS0_8NormTypeE0ES3_Lb0EfEEvPKT3_NS0_19TensorListAddressesEi
		.amdhsa_group_segment_fixed_size 2048
		.amdhsa_private_segment_fixed_size 0
		.amdhsa_kernarg_size 3472
		.amdhsa_user_sgpr_count 2
		.amdhsa_user_sgpr_dispatch_ptr 0
		.amdhsa_user_sgpr_queue_ptr 0
		.amdhsa_user_sgpr_kernarg_segment_ptr 1
		.amdhsa_user_sgpr_dispatch_id 0
		.amdhsa_user_sgpr_kernarg_preload_length 0
		.amdhsa_user_sgpr_kernarg_preload_offset 0
		.amdhsa_user_sgpr_private_segment_size 0
		.amdhsa_wavefront_size32 1
		.amdhsa_uses_dynamic_stack 0
		.amdhsa_enable_private_segment 0
		.amdhsa_system_sgpr_workgroup_id_x 1
		.amdhsa_system_sgpr_workgroup_id_y 0
		.amdhsa_system_sgpr_workgroup_id_z 0
		.amdhsa_system_sgpr_workgroup_info 0
		.amdhsa_system_vgpr_workitem_id 0
		.amdhsa_next_free_vgpr 9
		.amdhsa_next_free_sgpr 12
		.amdhsa_named_barrier_count 0
		.amdhsa_reserve_vcc 1
		.amdhsa_float_round_mode_32 0
		.amdhsa_float_round_mode_16_64 0
		.amdhsa_float_denorm_mode_32 3
		.amdhsa_float_denorm_mode_16_64 3
		.amdhsa_fp16_overflow 0
		.amdhsa_memory_ordered 1
		.amdhsa_forward_progress 1
		.amdhsa_inst_pref_size 6
		.amdhsa_round_robin_scheduling 0
		.amdhsa_exception_fp_ieee_invalid_op 0
		.amdhsa_exception_fp_denorm_src 0
		.amdhsa_exception_fp_ieee_div_zero 0
		.amdhsa_exception_fp_ieee_overflow 0
		.amdhsa_exception_fp_ieee_underflow 0
		.amdhsa_exception_fp_ieee_inexact 0
		.amdhsa_exception_int_div_zero 0
	.end_amdhsa_kernel
	.section	.text._ZN2at6native14lpnorm_cleanupIN3c108BFloat16ELNS0_8NormTypeE0ES3_Lb0EfEEvPKT3_NS0_19TensorListAddressesEi,"axG",@progbits,_ZN2at6native14lpnorm_cleanupIN3c108BFloat16ELNS0_8NormTypeE0ES3_Lb0EfEEvPKT3_NS0_19TensorListAddressesEi,comdat
.Lfunc_end193:
	.size	_ZN2at6native14lpnorm_cleanupIN3c108BFloat16ELNS0_8NormTypeE0ES3_Lb0EfEEvPKT3_NS0_19TensorListAddressesEi, .Lfunc_end193-_ZN2at6native14lpnorm_cleanupIN3c108BFloat16ELNS0_8NormTypeE0ES3_Lb0EfEEvPKT3_NS0_19TensorListAddressesEi
                                        ; -- End function
	.set _ZN2at6native14lpnorm_cleanupIN3c108BFloat16ELNS0_8NormTypeE0ES3_Lb0EfEEvPKT3_NS0_19TensorListAddressesEi.num_vgpr, 9
	.set _ZN2at6native14lpnorm_cleanupIN3c108BFloat16ELNS0_8NormTypeE0ES3_Lb0EfEEvPKT3_NS0_19TensorListAddressesEi.num_agpr, 0
	.set _ZN2at6native14lpnorm_cleanupIN3c108BFloat16ELNS0_8NormTypeE0ES3_Lb0EfEEvPKT3_NS0_19TensorListAddressesEi.numbered_sgpr, 12
	.set _ZN2at6native14lpnorm_cleanupIN3c108BFloat16ELNS0_8NormTypeE0ES3_Lb0EfEEvPKT3_NS0_19TensorListAddressesEi.num_named_barrier, 0
	.set _ZN2at6native14lpnorm_cleanupIN3c108BFloat16ELNS0_8NormTypeE0ES3_Lb0EfEEvPKT3_NS0_19TensorListAddressesEi.private_seg_size, 0
	.set _ZN2at6native14lpnorm_cleanupIN3c108BFloat16ELNS0_8NormTypeE0ES3_Lb0EfEEvPKT3_NS0_19TensorListAddressesEi.uses_vcc, 1
	.set _ZN2at6native14lpnorm_cleanupIN3c108BFloat16ELNS0_8NormTypeE0ES3_Lb0EfEEvPKT3_NS0_19TensorListAddressesEi.uses_flat_scratch, 0
	.set _ZN2at6native14lpnorm_cleanupIN3c108BFloat16ELNS0_8NormTypeE0ES3_Lb0EfEEvPKT3_NS0_19TensorListAddressesEi.has_dyn_sized_stack, 0
	.set _ZN2at6native14lpnorm_cleanupIN3c108BFloat16ELNS0_8NormTypeE0ES3_Lb0EfEEvPKT3_NS0_19TensorListAddressesEi.has_recursion, 0
	.set _ZN2at6native14lpnorm_cleanupIN3c108BFloat16ELNS0_8NormTypeE0ES3_Lb0EfEEvPKT3_NS0_19TensorListAddressesEi.has_indirect_call, 0
	.section	.AMDGPU.csdata,"",@progbits
; Kernel info:
; codeLenInByte = 712
; TotalNumSgprs: 14
; NumVgprs: 9
; ScratchSize: 0
; MemoryBound: 0
; FloatMode: 240
; IeeeMode: 1
; LDSByteSize: 2048 bytes/workgroup (compile time only)
; SGPRBlocks: 0
; VGPRBlocks: 0
; NumSGPRsForWavesPerEU: 14
; NumVGPRsForWavesPerEU: 9
; NamedBarCnt: 0
; Occupancy: 16
; WaveLimiterHint : 0
; COMPUTE_PGM_RSRC2:SCRATCH_EN: 0
; COMPUTE_PGM_RSRC2:USER_SGPR: 2
; COMPUTE_PGM_RSRC2:TRAP_HANDLER: 0
; COMPUTE_PGM_RSRC2:TGID_X_EN: 1
; COMPUTE_PGM_RSRC2:TGID_Y_EN: 0
; COMPUTE_PGM_RSRC2:TGID_Z_EN: 0
; COMPUTE_PGM_RSRC2:TIDIG_COMP_CNT: 0
	.section	.text._ZN2at6native14lpnorm_cleanupIN3c108BFloat16ELNS0_8NormTypeE1ES3_Lb0EfEEvPKT3_NS0_19TensorListAddressesEi,"axG",@progbits,_ZN2at6native14lpnorm_cleanupIN3c108BFloat16ELNS0_8NormTypeE1ES3_Lb0EfEEvPKT3_NS0_19TensorListAddressesEi,comdat
	.protected	_ZN2at6native14lpnorm_cleanupIN3c108BFloat16ELNS0_8NormTypeE1ES3_Lb0EfEEvPKT3_NS0_19TensorListAddressesEi ; -- Begin function _ZN2at6native14lpnorm_cleanupIN3c108BFloat16ELNS0_8NormTypeE1ES3_Lb0EfEEvPKT3_NS0_19TensorListAddressesEi
	.globl	_ZN2at6native14lpnorm_cleanupIN3c108BFloat16ELNS0_8NormTypeE1ES3_Lb0EfEEvPKT3_NS0_19TensorListAddressesEi
	.p2align	8
	.type	_ZN2at6native14lpnorm_cleanupIN3c108BFloat16ELNS0_8NormTypeE1ES3_Lb0EfEEvPKT3_NS0_19TensorListAddressesEi,@function
_ZN2at6native14lpnorm_cleanupIN3c108BFloat16ELNS0_8NormTypeE1ES3_Lb0EfEEvPKT3_NS0_19TensorListAddressesEi: ; @_ZN2at6native14lpnorm_cleanupIN3c108BFloat16ELNS0_8NormTypeE1ES3_Lb0EfEEvPKT3_NS0_19TensorListAddressesEi
; %bb.0:
	s_load_b32 s2, s[0:1], 0xc88
	s_bfe_u32 s3, ttmp6, 0x4000c
	s_and_b32 s4, ttmp6, 15
	s_add_co_i32 s3, s3, 1
	s_getreg_b32 s5, hwreg(HW_REG_IB_STS2, 6, 4)
	s_mul_i32 s3, ttmp9, s3
	v_mov_b32_e32 v1, 0
	s_add_co_i32 s4, s4, s3
	s_cmp_eq_u32 s5, 0
	s_mov_b32 s5, 0
	s_cselect_b32 s8, ttmp9, s4
	s_mov_b32 s9, exec_lo
	s_wait_kmcnt 0x0
	v_cmpx_gt_u32_e64 s2, v0
	s_cbranch_execz .LBB194_4
; %bb.1:
	s_clause 0x1
	s_load_b64 s[6:7], s[0:1], 0x0
	s_load_b32 s4, s[0:1], 0xc9c
	v_dual_mov_b32 v1, 0 :: v_dual_lshlrev_b32 v2, 2, v0
	s_mul_i32 s10, s2, s8
	s_mov_b32 s11, s5
	s_ashr_i32 s3, s2, 31
	s_delay_alu instid0(VALU_DEP_1)
	v_mov_b32_e32 v3, v1
	s_lshl_b64 s[10:11], s[10:11], 2
	v_mov_b64_e32 v[4:5], v[0:1]
	s_wait_kmcnt 0x0
	s_add_nc_u64 s[6:7], s[6:7], s[10:11]
	s_and_b32 s4, s4, 0xffff
	v_add_nc_u64_e32 v[2:3], s[6:7], v[2:3]
	s_lshl_b32 s6, s4, 2
	s_mov_b32 s7, s5
	s_mov_b32 s10, s5
.LBB194_2:                              ; =>This Inner Loop Header: Depth=1
	global_load_b32 v6, v[2:3], off
	v_add_nc_u64_e32 v[4:5], s[4:5], v[4:5]
	s_wait_xcnt 0x0
	v_add_nc_u64_e32 v[2:3], s[6:7], v[2:3]
	s_delay_alu instid0(VALU_DEP_2)
	v_cmp_le_u64_e32 vcc_lo, s[2:3], v[4:5]
	s_or_b32 s10, vcc_lo, s10
	s_wait_loadcnt 0x0
	v_add_f32_e32 v1, v1, v6
	s_and_not1_b32 exec_lo, exec_lo, s10
	s_cbranch_execnz .LBB194_2
; %bb.3:
	s_or_b32 exec_lo, exec_lo, s10
.LBB194_4:
	s_delay_alu instid0(SALU_CYCLE_1) | instskip(SKIP_4) | instid1(VALU_DEP_1)
	s_or_b32 exec_lo, exec_lo, s9
	v_mbcnt_lo_u32_b32 v5, -1, 0
	s_mov_b32 s2, exec_lo
	s_barrier_signal -1
	s_barrier_wait -1
	v_lshl_or_b32 v2, v5, 2, 64
	v_cmp_gt_u32_e32 vcc_lo, 24, v5
	ds_bpermute_b32 v4, v2, v1
	v_cndmask_b32_e64 v3, 0, 8, vcc_lo
	v_cmp_gt_u32_e32 vcc_lo, 28, v5
	s_delay_alu instid0(VALU_DEP_2)
	v_add_lshl_u32 v3, v3, v5, 2
	s_wait_dscnt 0x0
	v_add_f32_e32 v4, v1, v4
	v_cndmask_b32_e64 v1, 0, 4, vcc_lo
	v_cmp_gt_u32_e32 vcc_lo, 30, v5
	ds_bpermute_b32 v6, v3, v4
	v_add_lshl_u32 v1, v1, v5, 2
	s_wait_dscnt 0x0
	v_add_f32_e32 v6, v4, v6
	v_cndmask_b32_e64 v4, 0, 2, vcc_lo
	v_cmp_ne_u32_e32 vcc_lo, 31, v5
	s_delay_alu instid0(VALU_DEP_2) | instskip(SKIP_1) | instid1(VALU_DEP_1)
	v_add_lshl_u32 v4, v4, v5, 2
	v_add_co_ci_u32_e64 v5, null, 0, v5, vcc_lo
	v_lshlrev_b32_e32 v5, 2, v5
	ds_bpermute_b32 v7, v1, v6
	s_wait_dscnt 0x0
	v_add_f32_e32 v6, v6, v7
	ds_bpermute_b32 v7, v4, v6
	s_wait_dscnt 0x0
	v_dual_add_f32 v6, v6, v7 :: v_dual_bitop2_b32 v7, 31, v0 bitop3:0x40
	ds_bpermute_b32 v8, v5, v6
	v_cmpx_eq_u32_e32 0, v7
	s_cbranch_execz .LBB194_6
; %bb.5:
	s_wait_dscnt 0x0
	v_add_f32_e32 v6, v6, v8
	v_lshrrev_b32_e32 v8, 3, v0
	ds_store_b32 v8, v6
.LBB194_6:
	s_or_b32 exec_lo, exec_lo, s2
	s_wait_dscnt 0x0
	s_barrier_signal -1
	s_barrier_wait -1
	s_load_b32 s2, s[0:1], 0xc9c
	v_mov_b32_e32 v6, 0
	s_wait_kmcnt 0x0
	s_bfe_u32 s2, s2, 0xb0005
	s_delay_alu instid0(SALU_CYCLE_1)
	v_cmp_gt_u32_e32 vcc_lo, s2, v0
	s_and_saveexec_b32 s2, vcc_lo
; %bb.7:
	v_lshlrev_b32_e32 v6, 2, v7
	ds_load_b32 v6, v6
; %bb.8:
	s_or_b32 exec_lo, exec_lo, s2
	s_delay_alu instid0(SALU_CYCLE_1)
	s_mov_b32 s2, exec_lo
	v_cmpx_gt_u32_e32 32, v0
	s_cbranch_execz .LBB194_10
; %bb.9:
	s_wait_dscnt 0x0
	ds_bpermute_b32 v2, v2, v6
	s_wait_dscnt 0x0
	v_add_f32_e32 v2, v6, v2
	ds_bpermute_b32 v3, v3, v2
	s_wait_dscnt 0x0
	v_add_f32_e32 v2, v2, v3
	;; [unrolled: 3-line block ×5, first 2 shown]
.LBB194_10:
	s_or_b32 exec_lo, exec_lo, s2
	s_delay_alu instid0(SALU_CYCLE_1)
	s_mov_b32 s2, exec_lo
	v_cmpx_eq_u32_e32 0, v0
	s_cbranch_execz .LBB194_12
; %bb.11:
	s_wait_dscnt 0x0
	v_bfe_u32 v0, v6, 16, 1
	s_load_b64 s[0:1], s[0:1], s8 offset:0x8 scale_offset
	v_cmp_o_f32_e32 vcc_lo, v6, v6
	v_mov_b32_e32 v1, 0
	s_delay_alu instid0(VALU_DEP_3) | instskip(NEXT) | instid1(VALU_DEP_1)
	v_add3_u32 v0, v6, v0, 0x7fff
	v_lshrrev_b32_e32 v0, 16, v0
	s_delay_alu instid0(VALU_DEP_1)
	v_cndmask_b32_e32 v0, 0x7fc0, v0, vcc_lo
	s_wait_kmcnt 0x0
	global_store_b16 v1, v0, s[0:1]
.LBB194_12:
	s_endpgm
	.section	.rodata,"a",@progbits
	.p2align	6, 0x0
	.amdhsa_kernel _ZN2at6native14lpnorm_cleanupIN3c108BFloat16ELNS0_8NormTypeE1ES3_Lb0EfEEvPKT3_NS0_19TensorListAddressesEi
		.amdhsa_group_segment_fixed_size 2048
		.amdhsa_private_segment_fixed_size 0
		.amdhsa_kernarg_size 3472
		.amdhsa_user_sgpr_count 2
		.amdhsa_user_sgpr_dispatch_ptr 0
		.amdhsa_user_sgpr_queue_ptr 0
		.amdhsa_user_sgpr_kernarg_segment_ptr 1
		.amdhsa_user_sgpr_dispatch_id 0
		.amdhsa_user_sgpr_kernarg_preload_length 0
		.amdhsa_user_sgpr_kernarg_preload_offset 0
		.amdhsa_user_sgpr_private_segment_size 0
		.amdhsa_wavefront_size32 1
		.amdhsa_uses_dynamic_stack 0
		.amdhsa_enable_private_segment 0
		.amdhsa_system_sgpr_workgroup_id_x 1
		.amdhsa_system_sgpr_workgroup_id_y 0
		.amdhsa_system_sgpr_workgroup_id_z 0
		.amdhsa_system_sgpr_workgroup_info 0
		.amdhsa_system_vgpr_workitem_id 0
		.amdhsa_next_free_vgpr 9
		.amdhsa_next_free_sgpr 12
		.amdhsa_named_barrier_count 0
		.amdhsa_reserve_vcc 1
		.amdhsa_float_round_mode_32 0
		.amdhsa_float_round_mode_16_64 0
		.amdhsa_float_denorm_mode_32 3
		.amdhsa_float_denorm_mode_16_64 3
		.amdhsa_fp16_overflow 0
		.amdhsa_memory_ordered 1
		.amdhsa_forward_progress 1
		.amdhsa_inst_pref_size 6
		.amdhsa_round_robin_scheduling 0
		.amdhsa_exception_fp_ieee_invalid_op 0
		.amdhsa_exception_fp_denorm_src 0
		.amdhsa_exception_fp_ieee_div_zero 0
		.amdhsa_exception_fp_ieee_overflow 0
		.amdhsa_exception_fp_ieee_underflow 0
		.amdhsa_exception_fp_ieee_inexact 0
		.amdhsa_exception_int_div_zero 0
	.end_amdhsa_kernel
	.section	.text._ZN2at6native14lpnorm_cleanupIN3c108BFloat16ELNS0_8NormTypeE1ES3_Lb0EfEEvPKT3_NS0_19TensorListAddressesEi,"axG",@progbits,_ZN2at6native14lpnorm_cleanupIN3c108BFloat16ELNS0_8NormTypeE1ES3_Lb0EfEEvPKT3_NS0_19TensorListAddressesEi,comdat
.Lfunc_end194:
	.size	_ZN2at6native14lpnorm_cleanupIN3c108BFloat16ELNS0_8NormTypeE1ES3_Lb0EfEEvPKT3_NS0_19TensorListAddressesEi, .Lfunc_end194-_ZN2at6native14lpnorm_cleanupIN3c108BFloat16ELNS0_8NormTypeE1ES3_Lb0EfEEvPKT3_NS0_19TensorListAddressesEi
                                        ; -- End function
	.set _ZN2at6native14lpnorm_cleanupIN3c108BFloat16ELNS0_8NormTypeE1ES3_Lb0EfEEvPKT3_NS0_19TensorListAddressesEi.num_vgpr, 9
	.set _ZN2at6native14lpnorm_cleanupIN3c108BFloat16ELNS0_8NormTypeE1ES3_Lb0EfEEvPKT3_NS0_19TensorListAddressesEi.num_agpr, 0
	.set _ZN2at6native14lpnorm_cleanupIN3c108BFloat16ELNS0_8NormTypeE1ES3_Lb0EfEEvPKT3_NS0_19TensorListAddressesEi.numbered_sgpr, 12
	.set _ZN2at6native14lpnorm_cleanupIN3c108BFloat16ELNS0_8NormTypeE1ES3_Lb0EfEEvPKT3_NS0_19TensorListAddressesEi.num_named_barrier, 0
	.set _ZN2at6native14lpnorm_cleanupIN3c108BFloat16ELNS0_8NormTypeE1ES3_Lb0EfEEvPKT3_NS0_19TensorListAddressesEi.private_seg_size, 0
	.set _ZN2at6native14lpnorm_cleanupIN3c108BFloat16ELNS0_8NormTypeE1ES3_Lb0EfEEvPKT3_NS0_19TensorListAddressesEi.uses_vcc, 1
	.set _ZN2at6native14lpnorm_cleanupIN3c108BFloat16ELNS0_8NormTypeE1ES3_Lb0EfEEvPKT3_NS0_19TensorListAddressesEi.uses_flat_scratch, 0
	.set _ZN2at6native14lpnorm_cleanupIN3c108BFloat16ELNS0_8NormTypeE1ES3_Lb0EfEEvPKT3_NS0_19TensorListAddressesEi.has_dyn_sized_stack, 0
	.set _ZN2at6native14lpnorm_cleanupIN3c108BFloat16ELNS0_8NormTypeE1ES3_Lb0EfEEvPKT3_NS0_19TensorListAddressesEi.has_recursion, 0
	.set _ZN2at6native14lpnorm_cleanupIN3c108BFloat16ELNS0_8NormTypeE1ES3_Lb0EfEEvPKT3_NS0_19TensorListAddressesEi.has_indirect_call, 0
	.section	.AMDGPU.csdata,"",@progbits
; Kernel info:
; codeLenInByte = 712
; TotalNumSgprs: 14
; NumVgprs: 9
; ScratchSize: 0
; MemoryBound: 0
; FloatMode: 240
; IeeeMode: 1
; LDSByteSize: 2048 bytes/workgroup (compile time only)
; SGPRBlocks: 0
; VGPRBlocks: 0
; NumSGPRsForWavesPerEU: 14
; NumVGPRsForWavesPerEU: 9
; NamedBarCnt: 0
; Occupancy: 16
; WaveLimiterHint : 0
; COMPUTE_PGM_RSRC2:SCRATCH_EN: 0
; COMPUTE_PGM_RSRC2:USER_SGPR: 2
; COMPUTE_PGM_RSRC2:TRAP_HANDLER: 0
; COMPUTE_PGM_RSRC2:TGID_X_EN: 1
; COMPUTE_PGM_RSRC2:TGID_Y_EN: 0
; COMPUTE_PGM_RSRC2:TGID_Z_EN: 0
; COMPUTE_PGM_RSRC2:TIDIG_COMP_CNT: 0
	.section	.text._ZN2at6native14lpnorm_cleanupIN3c108BFloat16ELNS0_8NormTypeE2ES3_Lb0EfEEvPKT3_NS0_19TensorListAddressesEi,"axG",@progbits,_ZN2at6native14lpnorm_cleanupIN3c108BFloat16ELNS0_8NormTypeE2ES3_Lb0EfEEvPKT3_NS0_19TensorListAddressesEi,comdat
	.protected	_ZN2at6native14lpnorm_cleanupIN3c108BFloat16ELNS0_8NormTypeE2ES3_Lb0EfEEvPKT3_NS0_19TensorListAddressesEi ; -- Begin function _ZN2at6native14lpnorm_cleanupIN3c108BFloat16ELNS0_8NormTypeE2ES3_Lb0EfEEvPKT3_NS0_19TensorListAddressesEi
	.globl	_ZN2at6native14lpnorm_cleanupIN3c108BFloat16ELNS0_8NormTypeE2ES3_Lb0EfEEvPKT3_NS0_19TensorListAddressesEi
	.p2align	8
	.type	_ZN2at6native14lpnorm_cleanupIN3c108BFloat16ELNS0_8NormTypeE2ES3_Lb0EfEEvPKT3_NS0_19TensorListAddressesEi,@function
_ZN2at6native14lpnorm_cleanupIN3c108BFloat16ELNS0_8NormTypeE2ES3_Lb0EfEEvPKT3_NS0_19TensorListAddressesEi: ; @_ZN2at6native14lpnorm_cleanupIN3c108BFloat16ELNS0_8NormTypeE2ES3_Lb0EfEEvPKT3_NS0_19TensorListAddressesEi
; %bb.0:
	s_load_b32 s2, s[0:1], 0xc88
	s_bfe_u32 s3, ttmp6, 0x4000c
	s_and_b32 s4, ttmp6, 15
	s_add_co_i32 s3, s3, 1
	s_getreg_b32 s5, hwreg(HW_REG_IB_STS2, 6, 4)
	s_mul_i32 s3, ttmp9, s3
	v_mov_b32_e32 v1, 0
	s_add_co_i32 s4, s4, s3
	s_cmp_eq_u32 s5, 0
	s_mov_b32 s5, 0
	s_cselect_b32 s8, ttmp9, s4
	s_mov_b32 s9, exec_lo
	s_wait_kmcnt 0x0
	v_cmpx_gt_u32_e64 s2, v0
	s_cbranch_execz .LBB195_4
; %bb.1:
	s_clause 0x1
	s_load_b64 s[6:7], s[0:1], 0x0
	s_load_b32 s4, s[0:1], 0xc9c
	v_dual_mov_b32 v1, 0 :: v_dual_lshlrev_b32 v2, 2, v0
	s_mul_i32 s10, s2, s8
	s_mov_b32 s11, s5
	s_ashr_i32 s3, s2, 31
	s_delay_alu instid0(VALU_DEP_1)
	v_mov_b32_e32 v3, v1
	s_lshl_b64 s[10:11], s[10:11], 2
	v_mov_b64_e32 v[4:5], v[0:1]
	s_wait_kmcnt 0x0
	s_add_nc_u64 s[6:7], s[6:7], s[10:11]
	s_and_b32 s4, s4, 0xffff
	v_add_nc_u64_e32 v[2:3], s[6:7], v[2:3]
	s_lshl_b32 s6, s4, 2
	s_mov_b32 s7, s5
	s_mov_b32 s10, s5
.LBB195_2:                              ; =>This Inner Loop Header: Depth=1
	global_load_b32 v6, v[2:3], off
	v_add_nc_u64_e32 v[4:5], s[4:5], v[4:5]
	s_wait_xcnt 0x0
	v_add_nc_u64_e32 v[2:3], s[6:7], v[2:3]
	s_delay_alu instid0(VALU_DEP_2)
	v_cmp_le_u64_e32 vcc_lo, s[2:3], v[4:5]
	s_or_b32 s10, vcc_lo, s10
	s_wait_loadcnt 0x0
	v_add_f32_e32 v1, v1, v6
	s_and_not1_b32 exec_lo, exec_lo, s10
	s_cbranch_execnz .LBB195_2
; %bb.3:
	s_or_b32 exec_lo, exec_lo, s10
.LBB195_4:
	s_delay_alu instid0(SALU_CYCLE_1) | instskip(SKIP_4) | instid1(VALU_DEP_1)
	s_or_b32 exec_lo, exec_lo, s9
	v_mbcnt_lo_u32_b32 v5, -1, 0
	s_mov_b32 s2, exec_lo
	s_barrier_signal -1
	s_barrier_wait -1
	v_lshl_or_b32 v2, v5, 2, 64
	v_cmp_gt_u32_e32 vcc_lo, 24, v5
	ds_bpermute_b32 v4, v2, v1
	v_cndmask_b32_e64 v3, 0, 8, vcc_lo
	v_cmp_gt_u32_e32 vcc_lo, 28, v5
	s_delay_alu instid0(VALU_DEP_2)
	v_add_lshl_u32 v3, v3, v5, 2
	s_wait_dscnt 0x0
	v_add_f32_e32 v4, v1, v4
	v_cndmask_b32_e64 v1, 0, 4, vcc_lo
	v_cmp_gt_u32_e32 vcc_lo, 30, v5
	ds_bpermute_b32 v6, v3, v4
	v_add_lshl_u32 v1, v1, v5, 2
	s_wait_dscnt 0x0
	v_add_f32_e32 v6, v4, v6
	v_cndmask_b32_e64 v4, 0, 2, vcc_lo
	v_cmp_ne_u32_e32 vcc_lo, 31, v5
	s_delay_alu instid0(VALU_DEP_2) | instskip(SKIP_1) | instid1(VALU_DEP_1)
	v_add_lshl_u32 v4, v4, v5, 2
	v_add_co_ci_u32_e64 v5, null, 0, v5, vcc_lo
	v_lshlrev_b32_e32 v5, 2, v5
	ds_bpermute_b32 v7, v1, v6
	s_wait_dscnt 0x0
	v_add_f32_e32 v6, v6, v7
	ds_bpermute_b32 v7, v4, v6
	s_wait_dscnt 0x0
	v_dual_add_f32 v6, v6, v7 :: v_dual_bitop2_b32 v7, 31, v0 bitop3:0x40
	ds_bpermute_b32 v8, v5, v6
	v_cmpx_eq_u32_e32 0, v7
	s_cbranch_execz .LBB195_6
; %bb.5:
	s_wait_dscnt 0x0
	v_add_f32_e32 v6, v6, v8
	v_lshrrev_b32_e32 v8, 3, v0
	ds_store_b32 v8, v6
.LBB195_6:
	s_or_b32 exec_lo, exec_lo, s2
	s_wait_dscnt 0x0
	s_barrier_signal -1
	s_barrier_wait -1
	s_load_b32 s2, s[0:1], 0xc9c
	v_mov_b32_e32 v6, 0
	s_wait_kmcnt 0x0
	s_bfe_u32 s2, s2, 0xb0005
	s_delay_alu instid0(SALU_CYCLE_1)
	v_cmp_gt_u32_e32 vcc_lo, s2, v0
	s_and_saveexec_b32 s2, vcc_lo
; %bb.7:
	v_lshlrev_b32_e32 v6, 2, v7
	ds_load_b32 v6, v6
; %bb.8:
	s_or_b32 exec_lo, exec_lo, s2
	s_delay_alu instid0(SALU_CYCLE_1)
	s_mov_b32 s2, exec_lo
	v_cmpx_gt_u32_e32 32, v0
	s_cbranch_execz .LBB195_10
; %bb.9:
	s_wait_dscnt 0x0
	ds_bpermute_b32 v2, v2, v6
	s_wait_dscnt 0x0
	v_add_f32_e32 v2, v6, v2
	ds_bpermute_b32 v3, v3, v2
	s_wait_dscnt 0x0
	v_add_f32_e32 v2, v2, v3
	;; [unrolled: 3-line block ×5, first 2 shown]
.LBB195_10:
	s_or_b32 exec_lo, exec_lo, s2
	s_delay_alu instid0(SALU_CYCLE_1)
	s_mov_b32 s2, exec_lo
	v_cmpx_eq_u32_e32 0, v0
	s_cbranch_execz .LBB195_12
; %bb.11:
	s_wait_dscnt 0x0
	v_bfe_u32 v0, v6, 16, 1
	s_load_b64 s[0:1], s[0:1], s8 offset:0x8 scale_offset
	v_cmp_o_f32_e32 vcc_lo, v6, v6
	v_mov_b32_e32 v1, 0
	s_delay_alu instid0(VALU_DEP_3) | instskip(NEXT) | instid1(VALU_DEP_1)
	v_add3_u32 v0, v6, v0, 0x7fff
	v_lshrrev_b32_e32 v0, 16, v0
	s_delay_alu instid0(VALU_DEP_1)
	v_cndmask_b32_e32 v0, 0x7fc0, v0, vcc_lo
	s_wait_kmcnt 0x0
	global_store_b16 v1, v0, s[0:1]
.LBB195_12:
	s_endpgm
	.section	.rodata,"a",@progbits
	.p2align	6, 0x0
	.amdhsa_kernel _ZN2at6native14lpnorm_cleanupIN3c108BFloat16ELNS0_8NormTypeE2ES3_Lb0EfEEvPKT3_NS0_19TensorListAddressesEi
		.amdhsa_group_segment_fixed_size 2048
		.amdhsa_private_segment_fixed_size 0
		.amdhsa_kernarg_size 3472
		.amdhsa_user_sgpr_count 2
		.amdhsa_user_sgpr_dispatch_ptr 0
		.amdhsa_user_sgpr_queue_ptr 0
		.amdhsa_user_sgpr_kernarg_segment_ptr 1
		.amdhsa_user_sgpr_dispatch_id 0
		.amdhsa_user_sgpr_kernarg_preload_length 0
		.amdhsa_user_sgpr_kernarg_preload_offset 0
		.amdhsa_user_sgpr_private_segment_size 0
		.amdhsa_wavefront_size32 1
		.amdhsa_uses_dynamic_stack 0
		.amdhsa_enable_private_segment 0
		.amdhsa_system_sgpr_workgroup_id_x 1
		.amdhsa_system_sgpr_workgroup_id_y 0
		.amdhsa_system_sgpr_workgroup_id_z 0
		.amdhsa_system_sgpr_workgroup_info 0
		.amdhsa_system_vgpr_workitem_id 0
		.amdhsa_next_free_vgpr 9
		.amdhsa_next_free_sgpr 12
		.amdhsa_named_barrier_count 0
		.amdhsa_reserve_vcc 1
		.amdhsa_float_round_mode_32 0
		.amdhsa_float_round_mode_16_64 0
		.amdhsa_float_denorm_mode_32 3
		.amdhsa_float_denorm_mode_16_64 3
		.amdhsa_fp16_overflow 0
		.amdhsa_memory_ordered 1
		.amdhsa_forward_progress 1
		.amdhsa_inst_pref_size 6
		.amdhsa_round_robin_scheduling 0
		.amdhsa_exception_fp_ieee_invalid_op 0
		.amdhsa_exception_fp_denorm_src 0
		.amdhsa_exception_fp_ieee_div_zero 0
		.amdhsa_exception_fp_ieee_overflow 0
		.amdhsa_exception_fp_ieee_underflow 0
		.amdhsa_exception_fp_ieee_inexact 0
		.amdhsa_exception_int_div_zero 0
	.end_amdhsa_kernel
	.section	.text._ZN2at6native14lpnorm_cleanupIN3c108BFloat16ELNS0_8NormTypeE2ES3_Lb0EfEEvPKT3_NS0_19TensorListAddressesEi,"axG",@progbits,_ZN2at6native14lpnorm_cleanupIN3c108BFloat16ELNS0_8NormTypeE2ES3_Lb0EfEEvPKT3_NS0_19TensorListAddressesEi,comdat
.Lfunc_end195:
	.size	_ZN2at6native14lpnorm_cleanupIN3c108BFloat16ELNS0_8NormTypeE2ES3_Lb0EfEEvPKT3_NS0_19TensorListAddressesEi, .Lfunc_end195-_ZN2at6native14lpnorm_cleanupIN3c108BFloat16ELNS0_8NormTypeE2ES3_Lb0EfEEvPKT3_NS0_19TensorListAddressesEi
                                        ; -- End function
	.set _ZN2at6native14lpnorm_cleanupIN3c108BFloat16ELNS0_8NormTypeE2ES3_Lb0EfEEvPKT3_NS0_19TensorListAddressesEi.num_vgpr, 9
	.set _ZN2at6native14lpnorm_cleanupIN3c108BFloat16ELNS0_8NormTypeE2ES3_Lb0EfEEvPKT3_NS0_19TensorListAddressesEi.num_agpr, 0
	.set _ZN2at6native14lpnorm_cleanupIN3c108BFloat16ELNS0_8NormTypeE2ES3_Lb0EfEEvPKT3_NS0_19TensorListAddressesEi.numbered_sgpr, 12
	.set _ZN2at6native14lpnorm_cleanupIN3c108BFloat16ELNS0_8NormTypeE2ES3_Lb0EfEEvPKT3_NS0_19TensorListAddressesEi.num_named_barrier, 0
	.set _ZN2at6native14lpnorm_cleanupIN3c108BFloat16ELNS0_8NormTypeE2ES3_Lb0EfEEvPKT3_NS0_19TensorListAddressesEi.private_seg_size, 0
	.set _ZN2at6native14lpnorm_cleanupIN3c108BFloat16ELNS0_8NormTypeE2ES3_Lb0EfEEvPKT3_NS0_19TensorListAddressesEi.uses_vcc, 1
	.set _ZN2at6native14lpnorm_cleanupIN3c108BFloat16ELNS0_8NormTypeE2ES3_Lb0EfEEvPKT3_NS0_19TensorListAddressesEi.uses_flat_scratch, 0
	.set _ZN2at6native14lpnorm_cleanupIN3c108BFloat16ELNS0_8NormTypeE2ES3_Lb0EfEEvPKT3_NS0_19TensorListAddressesEi.has_dyn_sized_stack, 0
	.set _ZN2at6native14lpnorm_cleanupIN3c108BFloat16ELNS0_8NormTypeE2ES3_Lb0EfEEvPKT3_NS0_19TensorListAddressesEi.has_recursion, 0
	.set _ZN2at6native14lpnorm_cleanupIN3c108BFloat16ELNS0_8NormTypeE2ES3_Lb0EfEEvPKT3_NS0_19TensorListAddressesEi.has_indirect_call, 0
	.section	.AMDGPU.csdata,"",@progbits
; Kernel info:
; codeLenInByte = 712
; TotalNumSgprs: 14
; NumVgprs: 9
; ScratchSize: 0
; MemoryBound: 0
; FloatMode: 240
; IeeeMode: 1
; LDSByteSize: 2048 bytes/workgroup (compile time only)
; SGPRBlocks: 0
; VGPRBlocks: 0
; NumSGPRsForWavesPerEU: 14
; NumVGPRsForWavesPerEU: 9
; NamedBarCnt: 0
; Occupancy: 16
; WaveLimiterHint : 0
; COMPUTE_PGM_RSRC2:SCRATCH_EN: 0
; COMPUTE_PGM_RSRC2:USER_SGPR: 2
; COMPUTE_PGM_RSRC2:TRAP_HANDLER: 0
; COMPUTE_PGM_RSRC2:TGID_X_EN: 1
; COMPUTE_PGM_RSRC2:TGID_Y_EN: 0
; COMPUTE_PGM_RSRC2:TGID_Z_EN: 0
; COMPUTE_PGM_RSRC2:TIDIG_COMP_CNT: 0
	.section	.AMDGPU.gpr_maximums,"",@progbits
	.set amdgpu.max_num_vgpr, 0
	.set amdgpu.max_num_agpr, 0
	.set amdgpu.max_num_sgpr, 0
	.section	.AMDGPU.csdata,"",@progbits
	.type	__hip_cuid_f1c7d778dd585dbf,@object ; @__hip_cuid_f1c7d778dd585dbf
	.section	.bss,"aw",@nobits
	.globl	__hip_cuid_f1c7d778dd585dbf
__hip_cuid_f1c7d778dd585dbf:
	.byte	0                               ; 0x0
	.size	__hip_cuid_f1c7d778dd585dbf, 1

	.ident	"AMD clang version 22.0.0git (https://github.com/RadeonOpenCompute/llvm-project roc-7.2.4 26084 f58b06dce1f9c15707c5f808fd002e18c2accf7e)"
	.section	".note.GNU-stack","",@progbits
	.addrsig
	.addrsig_sym __hip_cuid_f1c7d778dd585dbf
	.amdgpu_metadata
---
amdhsa.kernels:
  - .args:
      - .offset:         0
        .size:           3368
        .value_kind:     by_value
      - .offset:         3368
        .size:           1
        .value_kind:     by_value
      - .address_space:  global
        .offset:         3376
        .size:           8
        .value_kind:     global_buffer
      - .offset:         3384
        .size:           4
        .value_kind:     by_value
      - .offset:         3392
        .size:           4
        .value_kind:     hidden_block_count_x
      - .offset:         3396
        .size:           4
        .value_kind:     hidden_block_count_y
      - .offset:         3400
        .size:           4
        .value_kind:     hidden_block_count_z
      - .offset:         3404
        .size:           2
        .value_kind:     hidden_group_size_x
      - .offset:         3406
        .size:           2
        .value_kind:     hidden_group_size_y
      - .offset:         3408
        .size:           2
        .value_kind:     hidden_group_size_z
      - .offset:         3410
        .size:           2
        .value_kind:     hidden_remainder_x
      - .offset:         3412
        .size:           2
        .value_kind:     hidden_remainder_y
      - .offset:         3414
        .size:           2
        .value_kind:     hidden_remainder_z
      - .offset:         3432
        .size:           8
        .value_kind:     hidden_global_offset_x
      - .offset:         3440
        .size:           8
        .value_kind:     hidden_global_offset_y
      - .offset:         3448
        .size:           8
        .value_kind:     hidden_global_offset_z
      - .offset:         3456
        .size:           2
        .value_kind:     hidden_grid_dims
    .group_segment_fixed_size: 512
    .kernarg_segment_align: 8
    .kernarg_segment_size: 3648
    .language:       OpenCL C
    .language_version:
      - 2
      - 0
    .max_flat_workgroup_size: 512
    .name:           _ZN2at6native12_GLOBAL__N_125multi_tensor_apply_kernelINS1_18TensorListMetadataILi1EEENS0_12LpMaxFunctorIhLi1ELi1ELi0EEEJPhiEEEvT_T0_DpT1_
    .private_segment_fixed_size: 0
    .sgpr_count:     16
    .sgpr_spill_count: 0
    .symbol:         _ZN2at6native12_GLOBAL__N_125multi_tensor_apply_kernelINS1_18TensorListMetadataILi1EEENS0_12LpMaxFunctorIhLi1ELi1ELi0EEEJPhiEEEvT_T0_DpT1_.kd
    .uniform_work_group_size: 1
    .uses_dynamic_stack: false
    .vgpr_count:     16
    .vgpr_spill_count: 0
    .wavefront_size: 32
  - .args:
      - .address_space:  global
        .offset:         0
        .size:           8
        .value_kind:     global_buffer
      - .offset:         8
        .size:           3200
        .value_kind:     by_value
      - .offset:         3208
        .size:           4
        .value_kind:     by_value
      - .offset:         3216
        .size:           4
        .value_kind:     hidden_block_count_x
      - .offset:         3220
        .size:           4
        .value_kind:     hidden_block_count_y
      - .offset:         3224
        .size:           4
        .value_kind:     hidden_block_count_z
      - .offset:         3228
        .size:           2
        .value_kind:     hidden_group_size_x
      - .offset:         3230
        .size:           2
        .value_kind:     hidden_group_size_y
      - .offset:         3232
        .size:           2
        .value_kind:     hidden_group_size_z
      - .offset:         3234
        .size:           2
        .value_kind:     hidden_remainder_x
      - .offset:         3236
        .size:           2
        .value_kind:     hidden_remainder_y
      - .offset:         3238
        .size:           2
        .value_kind:     hidden_remainder_z
      - .offset:         3256
        .size:           8
        .value_kind:     hidden_global_offset_x
      - .offset:         3264
        .size:           8
        .value_kind:     hidden_global_offset_y
      - .offset:         3272
        .size:           8
        .value_kind:     hidden_global_offset_z
      - .offset:         3280
        .size:           2
        .value_kind:     hidden_grid_dims
    .group_segment_fixed_size: 512
    .kernarg_segment_align: 8
    .kernarg_segment_size: 3472
    .language:       OpenCL C
    .language_version:
      - 2
      - 0
    .max_flat_workgroup_size: 1024
    .name:           _ZN2at6native13lpmax_cleanupIhEEvPKT_NS0_19TensorListAddressesEi
    .private_segment_fixed_size: 0
    .sgpr_count:     13
    .sgpr_spill_count: 0
    .symbol:         _ZN2at6native13lpmax_cleanupIhEEvPKT_NS0_19TensorListAddressesEi.kd
    .uniform_work_group_size: 1
    .uses_dynamic_stack: false
    .vgpr_count:     9
    .vgpr_spill_count: 0
    .wavefront_size: 32
  - .args:
      - .offset:         0
        .size:           3368
        .value_kind:     by_value
      - .offset:         3368
        .size:           1
        .value_kind:     by_value
      - .address_space:  global
        .offset:         3376
        .size:           8
        .value_kind:     global_buffer
      - .offset:         3384
        .size:           4
        .value_kind:     by_value
      - .offset:         3392
        .size:           4
        .value_kind:     hidden_block_count_x
      - .offset:         3396
        .size:           4
        .value_kind:     hidden_block_count_y
      - .offset:         3400
        .size:           4
        .value_kind:     hidden_block_count_z
      - .offset:         3404
        .size:           2
        .value_kind:     hidden_group_size_x
      - .offset:         3406
        .size:           2
        .value_kind:     hidden_group_size_y
      - .offset:         3408
        .size:           2
        .value_kind:     hidden_group_size_z
      - .offset:         3410
        .size:           2
        .value_kind:     hidden_remainder_x
      - .offset:         3412
        .size:           2
        .value_kind:     hidden_remainder_y
      - .offset:         3414
        .size:           2
        .value_kind:     hidden_remainder_z
      - .offset:         3432
        .size:           8
        .value_kind:     hidden_global_offset_x
      - .offset:         3440
        .size:           8
        .value_kind:     hidden_global_offset_y
      - .offset:         3448
        .size:           8
        .value_kind:     hidden_global_offset_z
      - .offset:         3456
        .size:           2
        .value_kind:     hidden_grid_dims
    .group_segment_fixed_size: 512
    .kernarg_segment_align: 8
    .kernarg_segment_size: 3648
    .language:       OpenCL C
    .language_version:
      - 2
      - 0
    .max_flat_workgroup_size: 512
    .name:           _ZN2at6native12_GLOBAL__N_125multi_tensor_apply_kernelINS1_18TensorListMetadataILi1EEENS0_12LpMaxFunctorIaLi1ELi1ELi0EEEJPaiEEEvT_T0_DpT1_
    .private_segment_fixed_size: 0
    .sgpr_count:     16
    .sgpr_spill_count: 0
    .symbol:         _ZN2at6native12_GLOBAL__N_125multi_tensor_apply_kernelINS1_18TensorListMetadataILi1EEENS0_12LpMaxFunctorIaLi1ELi1ELi0EEEJPaiEEEvT_T0_DpT1_.kd
    .uniform_work_group_size: 1
    .uses_dynamic_stack: false
    .vgpr_count:     18
    .vgpr_spill_count: 0
    .wavefront_size: 32
  - .args:
      - .address_space:  global
        .offset:         0
        .size:           8
        .value_kind:     global_buffer
      - .offset:         8
        .size:           3200
        .value_kind:     by_value
      - .offset:         3208
        .size:           4
        .value_kind:     by_value
      - .offset:         3216
        .size:           4
        .value_kind:     hidden_block_count_x
      - .offset:         3220
        .size:           4
        .value_kind:     hidden_block_count_y
      - .offset:         3224
        .size:           4
        .value_kind:     hidden_block_count_z
      - .offset:         3228
        .size:           2
        .value_kind:     hidden_group_size_x
      - .offset:         3230
        .size:           2
        .value_kind:     hidden_group_size_y
      - .offset:         3232
        .size:           2
        .value_kind:     hidden_group_size_z
      - .offset:         3234
        .size:           2
        .value_kind:     hidden_remainder_x
      - .offset:         3236
        .size:           2
        .value_kind:     hidden_remainder_y
      - .offset:         3238
        .size:           2
        .value_kind:     hidden_remainder_z
      - .offset:         3256
        .size:           8
        .value_kind:     hidden_global_offset_x
      - .offset:         3264
        .size:           8
        .value_kind:     hidden_global_offset_y
      - .offset:         3272
        .size:           8
        .value_kind:     hidden_global_offset_z
      - .offset:         3280
        .size:           2
        .value_kind:     hidden_grid_dims
    .group_segment_fixed_size: 512
    .kernarg_segment_align: 8
    .kernarg_segment_size: 3472
    .language:       OpenCL C
    .language_version:
      - 2
      - 0
    .max_flat_workgroup_size: 1024
    .name:           _ZN2at6native13lpmax_cleanupIaEEvPKT_NS0_19TensorListAddressesEi
    .private_segment_fixed_size: 0
    .sgpr_count:     13
    .sgpr_spill_count: 0
    .symbol:         _ZN2at6native13lpmax_cleanupIaEEvPKT_NS0_19TensorListAddressesEi.kd
    .uniform_work_group_size: 1
    .uses_dynamic_stack: false
    .vgpr_count:     9
    .vgpr_spill_count: 0
    .wavefront_size: 32
  - .args:
      - .offset:         0
        .size:           3368
        .value_kind:     by_value
      - .offset:         3368
        .size:           1
        .value_kind:     by_value
      - .address_space:  global
        .offset:         3376
        .size:           8
        .value_kind:     global_buffer
      - .offset:         3384
        .size:           4
        .value_kind:     by_value
      - .offset:         3392
        .size:           4
        .value_kind:     hidden_block_count_x
      - .offset:         3396
        .size:           4
        .value_kind:     hidden_block_count_y
      - .offset:         3400
        .size:           4
        .value_kind:     hidden_block_count_z
      - .offset:         3404
        .size:           2
        .value_kind:     hidden_group_size_x
      - .offset:         3406
        .size:           2
        .value_kind:     hidden_group_size_y
      - .offset:         3408
        .size:           2
        .value_kind:     hidden_group_size_z
      - .offset:         3410
        .size:           2
        .value_kind:     hidden_remainder_x
      - .offset:         3412
        .size:           2
        .value_kind:     hidden_remainder_y
      - .offset:         3414
        .size:           2
        .value_kind:     hidden_remainder_z
      - .offset:         3432
        .size:           8
        .value_kind:     hidden_global_offset_x
      - .offset:         3440
        .size:           8
        .value_kind:     hidden_global_offset_y
      - .offset:         3448
        .size:           8
        .value_kind:     hidden_global_offset_z
      - .offset:         3456
        .size:           2
        .value_kind:     hidden_grid_dims
    .group_segment_fixed_size: 2048
    .kernarg_segment_align: 8
    .kernarg_segment_size: 3648
    .language:       OpenCL C
    .language_version:
      - 2
      - 0
    .max_flat_workgroup_size: 512
    .name:           _ZN2at6native12_GLOBAL__N_125multi_tensor_apply_kernelINS1_18TensorListMetadataILi1EEENS0_12LpMaxFunctorIiLi1ELi1ELi0EEEJPiiEEEvT_T0_DpT1_
    .private_segment_fixed_size: 0
    .sgpr_count:     16
    .sgpr_spill_count: 0
    .symbol:         _ZN2at6native12_GLOBAL__N_125multi_tensor_apply_kernelINS1_18TensorListMetadataILi1EEENS0_12LpMaxFunctorIiLi1ELi1ELi0EEEJPiiEEEvT_T0_DpT1_.kd
    .uniform_work_group_size: 1
    .uses_dynamic_stack: false
    .vgpr_count:     20
    .vgpr_spill_count: 0
    .wavefront_size: 32
  - .args:
      - .address_space:  global
        .offset:         0
        .size:           8
        .value_kind:     global_buffer
      - .offset:         8
        .size:           3200
        .value_kind:     by_value
      - .offset:         3208
        .size:           4
        .value_kind:     by_value
      - .offset:         3216
        .size:           4
        .value_kind:     hidden_block_count_x
      - .offset:         3220
        .size:           4
        .value_kind:     hidden_block_count_y
      - .offset:         3224
        .size:           4
        .value_kind:     hidden_block_count_z
      - .offset:         3228
        .size:           2
        .value_kind:     hidden_group_size_x
      - .offset:         3230
        .size:           2
        .value_kind:     hidden_group_size_y
      - .offset:         3232
        .size:           2
        .value_kind:     hidden_group_size_z
      - .offset:         3234
        .size:           2
        .value_kind:     hidden_remainder_x
      - .offset:         3236
        .size:           2
        .value_kind:     hidden_remainder_y
      - .offset:         3238
        .size:           2
        .value_kind:     hidden_remainder_z
      - .offset:         3256
        .size:           8
        .value_kind:     hidden_global_offset_x
      - .offset:         3264
        .size:           8
        .value_kind:     hidden_global_offset_y
      - .offset:         3272
        .size:           8
        .value_kind:     hidden_global_offset_z
      - .offset:         3280
        .size:           2
        .value_kind:     hidden_grid_dims
    .group_segment_fixed_size: 2048
    .kernarg_segment_align: 8
    .kernarg_segment_size: 3472
    .language:       OpenCL C
    .language_version:
      - 2
      - 0
    .max_flat_workgroup_size: 1024
    .name:           _ZN2at6native13lpmax_cleanupIiEEvPKT_NS0_19TensorListAddressesEi
    .private_segment_fixed_size: 0
    .sgpr_count:     14
    .sgpr_spill_count: 0
    .symbol:         _ZN2at6native13lpmax_cleanupIiEEvPKT_NS0_19TensorListAddressesEi.kd
    .uniform_work_group_size: 1
    .uses_dynamic_stack: false
    .vgpr_count:     9
    .vgpr_spill_count: 0
    .wavefront_size: 32
  - .args:
      - .offset:         0
        .size:           3368
        .value_kind:     by_value
      - .offset:         3368
        .size:           1
        .value_kind:     by_value
      - .address_space:  global
        .offset:         3376
        .size:           8
        .value_kind:     global_buffer
      - .offset:         3384
        .size:           4
        .value_kind:     by_value
      - .offset:         3392
        .size:           4
        .value_kind:     hidden_block_count_x
      - .offset:         3396
        .size:           4
        .value_kind:     hidden_block_count_y
      - .offset:         3400
        .size:           4
        .value_kind:     hidden_block_count_z
      - .offset:         3404
        .size:           2
        .value_kind:     hidden_group_size_x
      - .offset:         3406
        .size:           2
        .value_kind:     hidden_group_size_y
      - .offset:         3408
        .size:           2
        .value_kind:     hidden_group_size_z
      - .offset:         3410
        .size:           2
        .value_kind:     hidden_remainder_x
      - .offset:         3412
        .size:           2
        .value_kind:     hidden_remainder_y
      - .offset:         3414
        .size:           2
        .value_kind:     hidden_remainder_z
      - .offset:         3432
        .size:           8
        .value_kind:     hidden_global_offset_x
      - .offset:         3440
        .size:           8
        .value_kind:     hidden_global_offset_y
      - .offset:         3448
        .size:           8
        .value_kind:     hidden_global_offset_z
      - .offset:         3456
        .size:           2
        .value_kind:     hidden_grid_dims
    .group_segment_fixed_size: 4096
    .kernarg_segment_align: 8
    .kernarg_segment_size: 3648
    .language:       OpenCL C
    .language_version:
      - 2
      - 0
    .max_flat_workgroup_size: 512
    .name:           _ZN2at6native12_GLOBAL__N_125multi_tensor_apply_kernelINS1_18TensorListMetadataILi1EEENS0_12LpMaxFunctorIlLi1ELi1ELi0EEEJPliEEEvT_T0_DpT1_
    .private_segment_fixed_size: 0
    .sgpr_count:     16
    .sgpr_spill_count: 0
    .symbol:         _ZN2at6native12_GLOBAL__N_125multi_tensor_apply_kernelINS1_18TensorListMetadataILi1EEENS0_12LpMaxFunctorIlLi1ELi1ELi0EEEJPliEEEvT_T0_DpT1_.kd
    .uniform_work_group_size: 1
    .uses_dynamic_stack: false
    .vgpr_count:     26
    .vgpr_spill_count: 0
    .wavefront_size: 32
  - .args:
      - .address_space:  global
        .offset:         0
        .size:           8
        .value_kind:     global_buffer
      - .offset:         8
        .size:           3200
        .value_kind:     by_value
      - .offset:         3208
        .size:           4
        .value_kind:     by_value
      - .offset:         3216
        .size:           4
        .value_kind:     hidden_block_count_x
      - .offset:         3220
        .size:           4
        .value_kind:     hidden_block_count_y
      - .offset:         3224
        .size:           4
        .value_kind:     hidden_block_count_z
      - .offset:         3228
        .size:           2
        .value_kind:     hidden_group_size_x
      - .offset:         3230
        .size:           2
        .value_kind:     hidden_group_size_y
      - .offset:         3232
        .size:           2
        .value_kind:     hidden_group_size_z
      - .offset:         3234
        .size:           2
        .value_kind:     hidden_remainder_x
      - .offset:         3236
        .size:           2
        .value_kind:     hidden_remainder_y
      - .offset:         3238
        .size:           2
        .value_kind:     hidden_remainder_z
      - .offset:         3256
        .size:           8
        .value_kind:     hidden_global_offset_x
      - .offset:         3264
        .size:           8
        .value_kind:     hidden_global_offset_y
      - .offset:         3272
        .size:           8
        .value_kind:     hidden_global_offset_z
      - .offset:         3280
        .size:           2
        .value_kind:     hidden_grid_dims
    .group_segment_fixed_size: 4096
    .kernarg_segment_align: 8
    .kernarg_segment_size: 3472
    .language:       OpenCL C
    .language_version:
      - 2
      - 0
    .max_flat_workgroup_size: 1024
    .name:           _ZN2at6native13lpmax_cleanupIlEEvPKT_NS0_19TensorListAddressesEi
    .private_segment_fixed_size: 0
    .sgpr_count:     14
    .sgpr_spill_count: 0
    .symbol:         _ZN2at6native13lpmax_cleanupIlEEvPKT_NS0_19TensorListAddressesEi.kd
    .uniform_work_group_size: 1
    .uses_dynamic_stack: false
    .vgpr_count:     11
    .vgpr_spill_count: 0
    .wavefront_size: 32
  - .args:
      - .offset:         0
        .size:           3368
        .value_kind:     by_value
      - .offset:         3368
        .size:           1
        .value_kind:     by_value
      - .address_space:  global
        .offset:         3376
        .size:           8
        .value_kind:     global_buffer
      - .offset:         3384
        .size:           4
        .value_kind:     by_value
      - .offset:         3392
        .size:           4
        .value_kind:     hidden_block_count_x
      - .offset:         3396
        .size:           4
        .value_kind:     hidden_block_count_y
      - .offset:         3400
        .size:           4
        .value_kind:     hidden_block_count_z
      - .offset:         3404
        .size:           2
        .value_kind:     hidden_group_size_x
      - .offset:         3406
        .size:           2
        .value_kind:     hidden_group_size_y
      - .offset:         3408
        .size:           2
        .value_kind:     hidden_group_size_z
      - .offset:         3410
        .size:           2
        .value_kind:     hidden_remainder_x
      - .offset:         3412
        .size:           2
        .value_kind:     hidden_remainder_y
      - .offset:         3414
        .size:           2
        .value_kind:     hidden_remainder_z
      - .offset:         3432
        .size:           8
        .value_kind:     hidden_global_offset_x
      - .offset:         3440
        .size:           8
        .value_kind:     hidden_global_offset_y
      - .offset:         3448
        .size:           8
        .value_kind:     hidden_global_offset_z
      - .offset:         3456
        .size:           2
        .value_kind:     hidden_grid_dims
    .group_segment_fixed_size: 1024
    .kernarg_segment_align: 8
    .kernarg_segment_size: 3648
    .language:       OpenCL C
    .language_version:
      - 2
      - 0
    .max_flat_workgroup_size: 512
    .name:           _ZN2at6native12_GLOBAL__N_125multi_tensor_apply_kernelINS1_18TensorListMetadataILi1EEENS0_12LpMaxFunctorIsLi1ELi1ELi0EEEJPsiEEEvT_T0_DpT1_
    .private_segment_fixed_size: 0
    .sgpr_count:     16
    .sgpr_spill_count: 0
    .symbol:         _ZN2at6native12_GLOBAL__N_125multi_tensor_apply_kernelINS1_18TensorListMetadataILi1EEENS0_12LpMaxFunctorIsLi1ELi1ELi0EEEJPsiEEEvT_T0_DpT1_.kd
    .uniform_work_group_size: 1
    .uses_dynamic_stack: false
    .vgpr_count:     16
    .vgpr_spill_count: 0
    .wavefront_size: 32
  - .args:
      - .address_space:  global
        .offset:         0
        .size:           8
        .value_kind:     global_buffer
      - .offset:         8
        .size:           3200
        .value_kind:     by_value
      - .offset:         3208
        .size:           4
        .value_kind:     by_value
      - .offset:         3216
        .size:           4
        .value_kind:     hidden_block_count_x
      - .offset:         3220
        .size:           4
        .value_kind:     hidden_block_count_y
      - .offset:         3224
        .size:           4
        .value_kind:     hidden_block_count_z
      - .offset:         3228
        .size:           2
        .value_kind:     hidden_group_size_x
      - .offset:         3230
        .size:           2
        .value_kind:     hidden_group_size_y
      - .offset:         3232
        .size:           2
        .value_kind:     hidden_group_size_z
      - .offset:         3234
        .size:           2
        .value_kind:     hidden_remainder_x
      - .offset:         3236
        .size:           2
        .value_kind:     hidden_remainder_y
      - .offset:         3238
        .size:           2
        .value_kind:     hidden_remainder_z
      - .offset:         3256
        .size:           8
        .value_kind:     hidden_global_offset_x
      - .offset:         3264
        .size:           8
        .value_kind:     hidden_global_offset_y
      - .offset:         3272
        .size:           8
        .value_kind:     hidden_global_offset_z
      - .offset:         3280
        .size:           2
        .value_kind:     hidden_grid_dims
    .group_segment_fixed_size: 1024
    .kernarg_segment_align: 8
    .kernarg_segment_size: 3472
    .language:       OpenCL C
    .language_version:
      - 2
      - 0
    .max_flat_workgroup_size: 1024
    .name:           _ZN2at6native13lpmax_cleanupIsEEvPKT_NS0_19TensorListAddressesEi
    .private_segment_fixed_size: 0
    .sgpr_count:     14
    .sgpr_spill_count: 0
    .symbol:         _ZN2at6native13lpmax_cleanupIsEEvPKT_NS0_19TensorListAddressesEi.kd
    .uniform_work_group_size: 1
    .uses_dynamic_stack: false
    .vgpr_count:     9
    .vgpr_spill_count: 0
    .wavefront_size: 32
  - .args:
      - .offset:         0
        .size:           3368
        .value_kind:     by_value
      - .offset:         3368
        .size:           1
        .value_kind:     by_value
      - .address_space:  global
        .offset:         3376
        .size:           8
        .value_kind:     global_buffer
      - .offset:         3384
        .size:           4
        .value_kind:     by_value
      - .offset:         3392
        .size:           4
        .value_kind:     hidden_block_count_x
      - .offset:         3396
        .size:           4
        .value_kind:     hidden_block_count_y
      - .offset:         3400
        .size:           4
        .value_kind:     hidden_block_count_z
      - .offset:         3404
        .size:           2
        .value_kind:     hidden_group_size_x
      - .offset:         3406
        .size:           2
        .value_kind:     hidden_group_size_y
      - .offset:         3408
        .size:           2
        .value_kind:     hidden_group_size_z
      - .offset:         3410
        .size:           2
        .value_kind:     hidden_remainder_x
      - .offset:         3412
        .size:           2
        .value_kind:     hidden_remainder_y
      - .offset:         3414
        .size:           2
        .value_kind:     hidden_remainder_z
      - .offset:         3432
        .size:           8
        .value_kind:     hidden_global_offset_x
      - .offset:         3440
        .size:           8
        .value_kind:     hidden_global_offset_y
      - .offset:         3448
        .size:           8
        .value_kind:     hidden_global_offset_z
      - .offset:         3456
        .size:           2
        .value_kind:     hidden_grid_dims
    .group_segment_fixed_size: 4096
    .kernarg_segment_align: 8
    .kernarg_segment_size: 3648
    .language:       OpenCL C
    .language_version:
      - 2
      - 0
    .max_flat_workgroup_size: 512
    .name:           _ZN2at6native12_GLOBAL__N_125multi_tensor_apply_kernelINS1_18TensorListMetadataILi1EEENS0_12LpMaxFunctorIdLi1ELi1ELi0EEEJPdiEEEvT_T0_DpT1_
    .private_segment_fixed_size: 0
    .sgpr_count:     19
    .sgpr_spill_count: 0
    .symbol:         _ZN2at6native12_GLOBAL__N_125multi_tensor_apply_kernelINS1_18TensorListMetadataILi1EEENS0_12LpMaxFunctorIdLi1ELi1ELi0EEEJPdiEEEvT_T0_DpT1_.kd
    .uniform_work_group_size: 1
    .uses_dynamic_stack: false
    .vgpr_count:     28
    .vgpr_spill_count: 0
    .wavefront_size: 32
  - .args:
      - .address_space:  global
        .offset:         0
        .size:           8
        .value_kind:     global_buffer
      - .offset:         8
        .size:           3200
        .value_kind:     by_value
      - .offset:         3208
        .size:           4
        .value_kind:     by_value
      - .offset:         3216
        .size:           4
        .value_kind:     hidden_block_count_x
      - .offset:         3220
        .size:           4
        .value_kind:     hidden_block_count_y
      - .offset:         3224
        .size:           4
        .value_kind:     hidden_block_count_z
      - .offset:         3228
        .size:           2
        .value_kind:     hidden_group_size_x
      - .offset:         3230
        .size:           2
        .value_kind:     hidden_group_size_y
      - .offset:         3232
        .size:           2
        .value_kind:     hidden_group_size_z
      - .offset:         3234
        .size:           2
        .value_kind:     hidden_remainder_x
      - .offset:         3236
        .size:           2
        .value_kind:     hidden_remainder_y
      - .offset:         3238
        .size:           2
        .value_kind:     hidden_remainder_z
      - .offset:         3256
        .size:           8
        .value_kind:     hidden_global_offset_x
      - .offset:         3264
        .size:           8
        .value_kind:     hidden_global_offset_y
      - .offset:         3272
        .size:           8
        .value_kind:     hidden_global_offset_z
      - .offset:         3280
        .size:           2
        .value_kind:     hidden_grid_dims
    .group_segment_fixed_size: 4096
    .kernarg_segment_align: 8
    .kernarg_segment_size: 3472
    .language:       OpenCL C
    .language_version:
      - 2
      - 0
    .max_flat_workgroup_size: 1024
    .name:           _ZN2at6native13lpmax_cleanupIdEEvPKT_NS0_19TensorListAddressesEi
    .private_segment_fixed_size: 0
    .sgpr_count:     15
    .sgpr_spill_count: 0
    .symbol:         _ZN2at6native13lpmax_cleanupIdEEvPKT_NS0_19TensorListAddressesEi.kd
    .uniform_work_group_size: 1
    .uses_dynamic_stack: false
    .vgpr_count:     12
    .vgpr_spill_count: 0
    .wavefront_size: 32
  - .args:
      - .offset:         0
        .size:           3368
        .value_kind:     by_value
      - .offset:         3368
        .size:           1
        .value_kind:     by_value
      - .address_space:  global
        .offset:         3376
        .size:           8
        .value_kind:     global_buffer
      - .offset:         3384
        .size:           4
        .value_kind:     by_value
      - .offset:         3392
        .size:           4
        .value_kind:     hidden_block_count_x
      - .offset:         3396
        .size:           4
        .value_kind:     hidden_block_count_y
      - .offset:         3400
        .size:           4
        .value_kind:     hidden_block_count_z
      - .offset:         3404
        .size:           2
        .value_kind:     hidden_group_size_x
      - .offset:         3406
        .size:           2
        .value_kind:     hidden_group_size_y
      - .offset:         3408
        .size:           2
        .value_kind:     hidden_group_size_z
      - .offset:         3410
        .size:           2
        .value_kind:     hidden_remainder_x
      - .offset:         3412
        .size:           2
        .value_kind:     hidden_remainder_y
      - .offset:         3414
        .size:           2
        .value_kind:     hidden_remainder_z
      - .offset:         3432
        .size:           8
        .value_kind:     hidden_global_offset_x
      - .offset:         3440
        .size:           8
        .value_kind:     hidden_global_offset_y
      - .offset:         3448
        .size:           8
        .value_kind:     hidden_global_offset_z
      - .offset:         3456
        .size:           2
        .value_kind:     hidden_grid_dims
    .group_segment_fixed_size: 2048
    .kernarg_segment_align: 8
    .kernarg_segment_size: 3648
    .language:       OpenCL C
    .language_version:
      - 2
      - 0
    .max_flat_workgroup_size: 512
    .name:           _ZN2at6native12_GLOBAL__N_125multi_tensor_apply_kernelINS1_18TensorListMetadataILi1EEENS0_12LpMaxFunctorIfLi1ELi1ELi0EEEJPfiEEEvT_T0_DpT1_
    .private_segment_fixed_size: 0
    .sgpr_count:     19
    .sgpr_spill_count: 0
    .symbol:         _ZN2at6native12_GLOBAL__N_125multi_tensor_apply_kernelINS1_18TensorListMetadataILi1EEENS0_12LpMaxFunctorIfLi1ELi1ELi0EEEJPfiEEEvT_T0_DpT1_.kd
    .uniform_work_group_size: 1
    .uses_dynamic_stack: false
    .vgpr_count:     20
    .vgpr_spill_count: 0
    .wavefront_size: 32
  - .args:
      - .address_space:  global
        .offset:         0
        .size:           8
        .value_kind:     global_buffer
      - .offset:         8
        .size:           3200
        .value_kind:     by_value
      - .offset:         3208
        .size:           4
        .value_kind:     by_value
      - .offset:         3216
        .size:           4
        .value_kind:     hidden_block_count_x
      - .offset:         3220
        .size:           4
        .value_kind:     hidden_block_count_y
      - .offset:         3224
        .size:           4
        .value_kind:     hidden_block_count_z
      - .offset:         3228
        .size:           2
        .value_kind:     hidden_group_size_x
      - .offset:         3230
        .size:           2
        .value_kind:     hidden_group_size_y
      - .offset:         3232
        .size:           2
        .value_kind:     hidden_group_size_z
      - .offset:         3234
        .size:           2
        .value_kind:     hidden_remainder_x
      - .offset:         3236
        .size:           2
        .value_kind:     hidden_remainder_y
      - .offset:         3238
        .size:           2
        .value_kind:     hidden_remainder_z
      - .offset:         3256
        .size:           8
        .value_kind:     hidden_global_offset_x
      - .offset:         3264
        .size:           8
        .value_kind:     hidden_global_offset_y
      - .offset:         3272
        .size:           8
        .value_kind:     hidden_global_offset_z
      - .offset:         3280
        .size:           2
        .value_kind:     hidden_grid_dims
    .group_segment_fixed_size: 2048
    .kernarg_segment_align: 8
    .kernarg_segment_size: 3472
    .language:       OpenCL C
    .language_version:
      - 2
      - 0
    .max_flat_workgroup_size: 1024
    .name:           _ZN2at6native13lpmax_cleanupIfEEvPKT_NS0_19TensorListAddressesEi
    .private_segment_fixed_size: 0
    .sgpr_count:     15
    .sgpr_spill_count: 0
    .symbol:         _ZN2at6native13lpmax_cleanupIfEEvPKT_NS0_19TensorListAddressesEi.kd
    .uniform_work_group_size: 1
    .uses_dynamic_stack: false
    .vgpr_count:     9
    .vgpr_spill_count: 0
    .wavefront_size: 32
  - .args:
      - .offset:         0
        .size:           3368
        .value_kind:     by_value
      - .offset:         3368
        .size:           1
        .value_kind:     by_value
      - .address_space:  global
        .offset:         3376
        .size:           8
        .value_kind:     global_buffer
      - .offset:         3384
        .size:           4
        .value_kind:     by_value
      - .offset:         3392
        .size:           4
        .value_kind:     hidden_block_count_x
      - .offset:         3396
        .size:           4
        .value_kind:     hidden_block_count_y
      - .offset:         3400
        .size:           4
        .value_kind:     hidden_block_count_z
      - .offset:         3404
        .size:           2
        .value_kind:     hidden_group_size_x
      - .offset:         3406
        .size:           2
        .value_kind:     hidden_group_size_y
      - .offset:         3408
        .size:           2
        .value_kind:     hidden_group_size_z
      - .offset:         3410
        .size:           2
        .value_kind:     hidden_remainder_x
      - .offset:         3412
        .size:           2
        .value_kind:     hidden_remainder_y
      - .offset:         3414
        .size:           2
        .value_kind:     hidden_remainder_z
      - .offset:         3432
        .size:           8
        .value_kind:     hidden_global_offset_x
      - .offset:         3440
        .size:           8
        .value_kind:     hidden_global_offset_y
      - .offset:         3448
        .size:           8
        .value_kind:     hidden_global_offset_z
      - .offset:         3456
        .size:           2
        .value_kind:     hidden_grid_dims
    .group_segment_fixed_size: 1024
    .kernarg_segment_align: 8
    .kernarg_segment_size: 3648
    .language:       OpenCL C
    .language_version:
      - 2
      - 0
    .max_flat_workgroup_size: 512
    .name:           _ZN2at6native12_GLOBAL__N_125multi_tensor_apply_kernelINS1_18TensorListMetadataILi1EEENS0_12LpMaxFunctorIN3c104HalfELi1ELi1ELi0EEEJPS7_iEEEvT_T0_DpT1_
    .private_segment_fixed_size: 0
    .sgpr_count:     17
    .sgpr_spill_count: 0
    .symbol:         _ZN2at6native12_GLOBAL__N_125multi_tensor_apply_kernelINS1_18TensorListMetadataILi1EEENS0_12LpMaxFunctorIN3c104HalfELi1ELi1ELi0EEEJPS7_iEEEvT_T0_DpT1_.kd
    .uniform_work_group_size: 1
    .uses_dynamic_stack: false
    .vgpr_count:     20
    .vgpr_spill_count: 0
    .wavefront_size: 32
  - .args:
      - .address_space:  global
        .offset:         0
        .size:           8
        .value_kind:     global_buffer
      - .offset:         8
        .size:           3200
        .value_kind:     by_value
      - .offset:         3208
        .size:           4
        .value_kind:     by_value
      - .offset:         3216
        .size:           4
        .value_kind:     hidden_block_count_x
      - .offset:         3220
        .size:           4
        .value_kind:     hidden_block_count_y
      - .offset:         3224
        .size:           4
        .value_kind:     hidden_block_count_z
      - .offset:         3228
        .size:           2
        .value_kind:     hidden_group_size_x
      - .offset:         3230
        .size:           2
        .value_kind:     hidden_group_size_y
      - .offset:         3232
        .size:           2
        .value_kind:     hidden_group_size_z
      - .offset:         3234
        .size:           2
        .value_kind:     hidden_remainder_x
      - .offset:         3236
        .size:           2
        .value_kind:     hidden_remainder_y
      - .offset:         3238
        .size:           2
        .value_kind:     hidden_remainder_z
      - .offset:         3256
        .size:           8
        .value_kind:     hidden_global_offset_x
      - .offset:         3264
        .size:           8
        .value_kind:     hidden_global_offset_y
      - .offset:         3272
        .size:           8
        .value_kind:     hidden_global_offset_z
      - .offset:         3280
        .size:           2
        .value_kind:     hidden_grid_dims
    .group_segment_fixed_size: 1024
    .kernarg_segment_align: 8
    .kernarg_segment_size: 3472
    .language:       OpenCL C
    .language_version:
      - 2
      - 0
    .max_flat_workgroup_size: 1024
    .name:           _ZN2at6native13lpmax_cleanupIN3c104HalfEEEvPKT_NS0_19TensorListAddressesEi
    .private_segment_fixed_size: 0
    .sgpr_count:     15
    .sgpr_spill_count: 0
    .symbol:         _ZN2at6native13lpmax_cleanupIN3c104HalfEEEvPKT_NS0_19TensorListAddressesEi.kd
    .uniform_work_group_size: 1
    .uses_dynamic_stack: false
    .vgpr_count:     10
    .vgpr_spill_count: 0
    .wavefront_size: 32
  - .args:
      - .offset:         0
        .size:           3368
        .value_kind:     by_value
      - .offset:         3368
        .size:           1
        .value_kind:     by_value
      - .address_space:  global
        .offset:         3376
        .size:           8
        .value_kind:     global_buffer
      - .offset:         3384
        .size:           4
        .value_kind:     by_value
      - .offset:         3392
        .size:           4
        .value_kind:     hidden_block_count_x
      - .offset:         3396
        .size:           4
        .value_kind:     hidden_block_count_y
      - .offset:         3400
        .size:           4
        .value_kind:     hidden_block_count_z
      - .offset:         3404
        .size:           2
        .value_kind:     hidden_group_size_x
      - .offset:         3406
        .size:           2
        .value_kind:     hidden_group_size_y
      - .offset:         3408
        .size:           2
        .value_kind:     hidden_group_size_z
      - .offset:         3410
        .size:           2
        .value_kind:     hidden_remainder_x
      - .offset:         3412
        .size:           2
        .value_kind:     hidden_remainder_y
      - .offset:         3414
        .size:           2
        .value_kind:     hidden_remainder_z
      - .offset:         3432
        .size:           8
        .value_kind:     hidden_global_offset_x
      - .offset:         3440
        .size:           8
        .value_kind:     hidden_global_offset_y
      - .offset:         3448
        .size:           8
        .value_kind:     hidden_global_offset_z
      - .offset:         3456
        .size:           2
        .value_kind:     hidden_grid_dims
    .group_segment_fixed_size: 1024
    .kernarg_segment_align: 8
    .kernarg_segment_size: 3648
    .language:       OpenCL C
    .language_version:
      - 2
      - 0
    .max_flat_workgroup_size: 512
    .name:           _ZN2at6native12_GLOBAL__N_125multi_tensor_apply_kernelINS1_18TensorListMetadataILi1EEENS0_12LpMaxFunctorIN3c108BFloat16ELi1ELi1ELi0EEEJPS7_iEEEvT_T0_DpT1_
    .private_segment_fixed_size: 0
    .sgpr_count:     19
    .sgpr_spill_count: 0
    .symbol:         _ZN2at6native12_GLOBAL__N_125multi_tensor_apply_kernelINS1_18TensorListMetadataILi1EEENS0_12LpMaxFunctorIN3c108BFloat16ELi1ELi1ELi0EEEJPS7_iEEEvT_T0_DpT1_.kd
    .uniform_work_group_size: 1
    .uses_dynamic_stack: false
    .vgpr_count:     24
    .vgpr_spill_count: 0
    .wavefront_size: 32
  - .args:
      - .address_space:  global
        .offset:         0
        .size:           8
        .value_kind:     global_buffer
      - .offset:         8
        .size:           3200
        .value_kind:     by_value
      - .offset:         3208
        .size:           4
        .value_kind:     by_value
      - .offset:         3216
        .size:           4
        .value_kind:     hidden_block_count_x
      - .offset:         3220
        .size:           4
        .value_kind:     hidden_block_count_y
      - .offset:         3224
        .size:           4
        .value_kind:     hidden_block_count_z
      - .offset:         3228
        .size:           2
        .value_kind:     hidden_group_size_x
      - .offset:         3230
        .size:           2
        .value_kind:     hidden_group_size_y
      - .offset:         3232
        .size:           2
        .value_kind:     hidden_group_size_z
      - .offset:         3234
        .size:           2
        .value_kind:     hidden_remainder_x
      - .offset:         3236
        .size:           2
        .value_kind:     hidden_remainder_y
      - .offset:         3238
        .size:           2
        .value_kind:     hidden_remainder_z
      - .offset:         3256
        .size:           8
        .value_kind:     hidden_global_offset_x
      - .offset:         3264
        .size:           8
        .value_kind:     hidden_global_offset_y
      - .offset:         3272
        .size:           8
        .value_kind:     hidden_global_offset_z
      - .offset:         3280
        .size:           2
        .value_kind:     hidden_grid_dims
    .group_segment_fixed_size: 1024
    .kernarg_segment_align: 8
    .kernarg_segment_size: 3472
    .language:       OpenCL C
    .language_version:
      - 2
      - 0
    .max_flat_workgroup_size: 1024
    .name:           _ZN2at6native13lpmax_cleanupIN3c108BFloat16EEEvPKT_NS0_19TensorListAddressesEi
    .private_segment_fixed_size: 0
    .sgpr_count:     15
    .sgpr_spill_count: 0
    .symbol:         _ZN2at6native13lpmax_cleanupIN3c108BFloat16EEEvPKT_NS0_19TensorListAddressesEi.kd
    .uniform_work_group_size: 1
    .uses_dynamic_stack: false
    .vgpr_count:     11
    .vgpr_spill_count: 0
    .wavefront_size: 32
  - .args:
      - .offset:         0
        .size:           3368
        .value_kind:     by_value
      - .offset:         3368
        .size:           1
        .value_kind:     by_value
      - .address_space:  global
        .offset:         3376
        .size:           8
        .value_kind:     global_buffer
      - .offset:         3384
        .size:           4
        .value_kind:     by_value
      - .offset:         3392
        .size:           4
        .value_kind:     hidden_block_count_x
      - .offset:         3396
        .size:           4
        .value_kind:     hidden_block_count_y
      - .offset:         3400
        .size:           4
        .value_kind:     hidden_block_count_z
      - .offset:         3404
        .size:           2
        .value_kind:     hidden_group_size_x
      - .offset:         3406
        .size:           2
        .value_kind:     hidden_group_size_y
      - .offset:         3408
        .size:           2
        .value_kind:     hidden_group_size_z
      - .offset:         3410
        .size:           2
        .value_kind:     hidden_remainder_x
      - .offset:         3412
        .size:           2
        .value_kind:     hidden_remainder_y
      - .offset:         3414
        .size:           2
        .value_kind:     hidden_remainder_z
      - .offset:         3432
        .size:           8
        .value_kind:     hidden_global_offset_x
      - .offset:         3440
        .size:           8
        .value_kind:     hidden_global_offset_y
      - .offset:         3448
        .size:           8
        .value_kind:     hidden_global_offset_z
      - .offset:         3456
        .size:           2
        .value_kind:     hidden_grid_dims
    .group_segment_fixed_size: 512
    .kernarg_segment_align: 8
    .kernarg_segment_size: 3648
    .language:       OpenCL C
    .language_version:
      - 2
      - 0
    .max_flat_workgroup_size: 512
    .name:           _ZN2at6native12_GLOBAL__N_125multi_tensor_apply_kernelINS1_18TensorListMetadataILi1EEENS0_12LpMaxFunctorIbLi1ELi1ELi0EEEJPbiEEEvT_T0_DpT1_
    .private_segment_fixed_size: 0
    .sgpr_count:     16
    .sgpr_spill_count: 0
    .symbol:         _ZN2at6native12_GLOBAL__N_125multi_tensor_apply_kernelINS1_18TensorListMetadataILi1EEENS0_12LpMaxFunctorIbLi1ELi1ELi0EEEJPbiEEEvT_T0_DpT1_.kd
    .uniform_work_group_size: 1
    .uses_dynamic_stack: false
    .vgpr_count:     18
    .vgpr_spill_count: 0
    .wavefront_size: 32
  - .args:
      - .address_space:  global
        .offset:         0
        .size:           8
        .value_kind:     global_buffer
      - .offset:         8
        .size:           3200
        .value_kind:     by_value
      - .offset:         3208
        .size:           4
        .value_kind:     by_value
      - .offset:         3216
        .size:           4
        .value_kind:     hidden_block_count_x
      - .offset:         3220
        .size:           4
        .value_kind:     hidden_block_count_y
      - .offset:         3224
        .size:           4
        .value_kind:     hidden_block_count_z
      - .offset:         3228
        .size:           2
        .value_kind:     hidden_group_size_x
      - .offset:         3230
        .size:           2
        .value_kind:     hidden_group_size_y
      - .offset:         3232
        .size:           2
        .value_kind:     hidden_group_size_z
      - .offset:         3234
        .size:           2
        .value_kind:     hidden_remainder_x
      - .offset:         3236
        .size:           2
        .value_kind:     hidden_remainder_y
      - .offset:         3238
        .size:           2
        .value_kind:     hidden_remainder_z
      - .offset:         3256
        .size:           8
        .value_kind:     hidden_global_offset_x
      - .offset:         3264
        .size:           8
        .value_kind:     hidden_global_offset_y
      - .offset:         3272
        .size:           8
        .value_kind:     hidden_global_offset_z
      - .offset:         3280
        .size:           2
        .value_kind:     hidden_grid_dims
    .group_segment_fixed_size: 512
    .kernarg_segment_align: 8
    .kernarg_segment_size: 3472
    .language:       OpenCL C
    .language_version:
      - 2
      - 0
    .max_flat_workgroup_size: 1024
    .name:           _ZN2at6native13lpmax_cleanupIbEEvPKT_NS0_19TensorListAddressesEi
    .private_segment_fixed_size: 0
    .sgpr_count:     16
    .sgpr_spill_count: 0
    .symbol:         _ZN2at6native13lpmax_cleanupIbEEvPKT_NS0_19TensorListAddressesEi.kd
    .uniform_work_group_size: 1
    .uses_dynamic_stack: false
    .vgpr_count:     9
    .vgpr_spill_count: 0
    .wavefront_size: 32
  - .args:
      - .offset:         0
        .size:           3368
        .value_kind:     by_value
      - .offset:         3368
        .size:           1
        .value_kind:     by_value
      - .address_space:  global
        .offset:         3376
        .size:           8
        .value_kind:     global_buffer
      - .offset:         3384
        .size:           4
        .value_kind:     by_value
      - .offset:         3392
        .size:           4
        .value_kind:     hidden_block_count_x
      - .offset:         3396
        .size:           4
        .value_kind:     hidden_block_count_y
      - .offset:         3400
        .size:           4
        .value_kind:     hidden_block_count_z
      - .offset:         3404
        .size:           2
        .value_kind:     hidden_group_size_x
      - .offset:         3406
        .size:           2
        .value_kind:     hidden_group_size_y
      - .offset:         3408
        .size:           2
        .value_kind:     hidden_group_size_z
      - .offset:         3410
        .size:           2
        .value_kind:     hidden_remainder_x
      - .offset:         3412
        .size:           2
        .value_kind:     hidden_remainder_y
      - .offset:         3414
        .size:           2
        .value_kind:     hidden_remainder_z
      - .offset:         3432
        .size:           8
        .value_kind:     hidden_global_offset_x
      - .offset:         3440
        .size:           8
        .value_kind:     hidden_global_offset_y
      - .offset:         3448
        .size:           8
        .value_kind:     hidden_global_offset_z
      - .offset:         3456
        .size:           2
        .value_kind:     hidden_grid_dims
    .group_segment_fixed_size: 4096
    .kernarg_segment_align: 8
    .kernarg_segment_size: 3648
    .language:       OpenCL C
    .language_version:
      - 2
      - 0
    .max_flat_workgroup_size: 512
    .name:           _ZN2at6native12_GLOBAL__N_125multi_tensor_apply_kernelINS1_18TensorListMetadataILi1EEENS0_13LpNormFunctorIdLNS0_8NormTypeE0EdLi1ELi1ELi0EEEJPdiEEEvT_T0_DpT1_
    .private_segment_fixed_size: 0
    .sgpr_count:     16
    .sgpr_spill_count: 0
    .symbol:         _ZN2at6native12_GLOBAL__N_125multi_tensor_apply_kernelINS1_18TensorListMetadataILi1EEENS0_13LpNormFunctorIdLNS0_8NormTypeE0EdLi1ELi1ELi0EEEJPdiEEEvT_T0_DpT1_.kd
    .uniform_work_group_size: 1
    .uses_dynamic_stack: false
    .vgpr_count:     30
    .vgpr_spill_count: 0
    .wavefront_size: 32
  - .args:
      - .offset:         0
        .size:           3368
        .value_kind:     by_value
      - .offset:         3368
        .size:           1
        .value_kind:     by_value
      - .address_space:  global
        .offset:         3376
        .size:           8
        .value_kind:     global_buffer
      - .offset:         3384
        .size:           4
        .value_kind:     by_value
      - .offset:         3392
        .size:           4
        .value_kind:     hidden_block_count_x
      - .offset:         3396
        .size:           4
        .value_kind:     hidden_block_count_y
      - .offset:         3400
        .size:           4
        .value_kind:     hidden_block_count_z
      - .offset:         3404
        .size:           2
        .value_kind:     hidden_group_size_x
      - .offset:         3406
        .size:           2
        .value_kind:     hidden_group_size_y
      - .offset:         3408
        .size:           2
        .value_kind:     hidden_group_size_z
      - .offset:         3410
        .size:           2
        .value_kind:     hidden_remainder_x
      - .offset:         3412
        .size:           2
        .value_kind:     hidden_remainder_y
      - .offset:         3414
        .size:           2
        .value_kind:     hidden_remainder_z
      - .offset:         3432
        .size:           8
        .value_kind:     hidden_global_offset_x
      - .offset:         3440
        .size:           8
        .value_kind:     hidden_global_offset_y
      - .offset:         3448
        .size:           8
        .value_kind:     hidden_global_offset_z
      - .offset:         3456
        .size:           2
        .value_kind:     hidden_grid_dims
    .group_segment_fixed_size: 4096
    .kernarg_segment_align: 8
    .kernarg_segment_size: 3648
    .language:       OpenCL C
    .language_version:
      - 2
      - 0
    .max_flat_workgroup_size: 512
    .name:           _ZN2at6native12_GLOBAL__N_125multi_tensor_apply_kernelINS1_18TensorListMetadataILi1EEENS0_13LpNormFunctorIdLNS0_8NormTypeE1EdLi1ELi1ELi0EEEJPdiEEEvT_T0_DpT1_
    .private_segment_fixed_size: 0
    .sgpr_count:     16
    .sgpr_spill_count: 0
    .symbol:         _ZN2at6native12_GLOBAL__N_125multi_tensor_apply_kernelINS1_18TensorListMetadataILi1EEENS0_13LpNormFunctorIdLNS0_8NormTypeE1EdLi1ELi1ELi0EEEJPdiEEEvT_T0_DpT1_.kd
    .uniform_work_group_size: 1
    .uses_dynamic_stack: false
    .vgpr_count:     26
    .vgpr_spill_count: 0
    .wavefront_size: 32
  - .args:
      - .offset:         0
        .size:           3368
        .value_kind:     by_value
      - .offset:         3368
        .size:           1
        .value_kind:     by_value
      - .address_space:  global
        .offset:         3376
        .size:           8
        .value_kind:     global_buffer
      - .offset:         3384
        .size:           4
        .value_kind:     by_value
      - .offset:         3392
        .size:           4
        .value_kind:     hidden_block_count_x
      - .offset:         3396
        .size:           4
        .value_kind:     hidden_block_count_y
      - .offset:         3400
        .size:           4
        .value_kind:     hidden_block_count_z
      - .offset:         3404
        .size:           2
        .value_kind:     hidden_group_size_x
      - .offset:         3406
        .size:           2
        .value_kind:     hidden_group_size_y
      - .offset:         3408
        .size:           2
        .value_kind:     hidden_group_size_z
      - .offset:         3410
        .size:           2
        .value_kind:     hidden_remainder_x
      - .offset:         3412
        .size:           2
        .value_kind:     hidden_remainder_y
      - .offset:         3414
        .size:           2
        .value_kind:     hidden_remainder_z
      - .offset:         3432
        .size:           8
        .value_kind:     hidden_global_offset_x
      - .offset:         3440
        .size:           8
        .value_kind:     hidden_global_offset_y
      - .offset:         3448
        .size:           8
        .value_kind:     hidden_global_offset_z
      - .offset:         3456
        .size:           2
        .value_kind:     hidden_grid_dims
    .group_segment_fixed_size: 4096
    .kernarg_segment_align: 8
    .kernarg_segment_size: 3648
    .language:       OpenCL C
    .language_version:
      - 2
      - 0
    .max_flat_workgroup_size: 512
    .name:           _ZN2at6native12_GLOBAL__N_125multi_tensor_apply_kernelINS1_18TensorListMetadataILi1EEENS0_13LpNormFunctorIdLNS0_8NormTypeE2EdLi1ELi1ELi0EEEJPdiEEEvT_T0_DpT1_
    .private_segment_fixed_size: 0
    .sgpr_count:     16
    .sgpr_spill_count: 0
    .symbol:         _ZN2at6native12_GLOBAL__N_125multi_tensor_apply_kernelINS1_18TensorListMetadataILi1EEENS0_13LpNormFunctorIdLNS0_8NormTypeE2EdLi1ELi1ELi0EEEJPdiEEEvT_T0_DpT1_.kd
    .uniform_work_group_size: 1
    .uses_dynamic_stack: false
    .vgpr_count:     26
    .vgpr_spill_count: 0
    .wavefront_size: 32
  - .args:
      - .offset:         0
        .size:           3368
        .value_kind:     by_value
      - .offset:         3368
        .size:           1
        .value_kind:     by_value
      - .address_space:  global
        .offset:         3376
        .size:           8
        .value_kind:     global_buffer
      - .offset:         3384
        .size:           4
        .value_kind:     by_value
      - .offset:         3392
        .size:           4
        .value_kind:     hidden_block_count_x
      - .offset:         3396
        .size:           4
        .value_kind:     hidden_block_count_y
      - .offset:         3400
        .size:           4
        .value_kind:     hidden_block_count_z
      - .offset:         3404
        .size:           2
        .value_kind:     hidden_group_size_x
      - .offset:         3406
        .size:           2
        .value_kind:     hidden_group_size_y
      - .offset:         3408
        .size:           2
        .value_kind:     hidden_group_size_z
      - .offset:         3410
        .size:           2
        .value_kind:     hidden_remainder_x
      - .offset:         3412
        .size:           2
        .value_kind:     hidden_remainder_y
      - .offset:         3414
        .size:           2
        .value_kind:     hidden_remainder_z
      - .offset:         3432
        .size:           8
        .value_kind:     hidden_global_offset_x
      - .offset:         3440
        .size:           8
        .value_kind:     hidden_global_offset_y
      - .offset:         3448
        .size:           8
        .value_kind:     hidden_global_offset_z
      - .offset:         3456
        .size:           2
        .value_kind:     hidden_grid_dims
    .group_segment_fixed_size: 4096
    .kernarg_segment_align: 8
    .kernarg_segment_size: 3648
    .language:       OpenCL C
    .language_version:
      - 2
      - 0
    .max_flat_workgroup_size: 512
    .name:           _ZN2at6native12_GLOBAL__N_125multi_tensor_apply_kernelINS1_18TensorListMetadataILi1EEENS0_13LpNormFunctorIdLNS0_8NormTypeE3EdLi1ELi1ELi0EEEJPdiEEEvT_T0_DpT1_
    .private_segment_fixed_size: 0
    .sgpr_count:     19
    .sgpr_spill_count: 0
    .symbol:         _ZN2at6native12_GLOBAL__N_125multi_tensor_apply_kernelINS1_18TensorListMetadataILi1EEENS0_13LpNormFunctorIdLNS0_8NormTypeE3EdLi1ELi1ELi0EEEJPdiEEEvT_T0_DpT1_.kd
    .uniform_work_group_size: 1
    .uses_dynamic_stack: false
    .vgpr_count:     28
    .vgpr_spill_count: 0
    .wavefront_size: 32
  - .args:
      - .address_space:  global
        .offset:         0
        .size:           8
        .value_kind:     global_buffer
      - .offset:         8
        .size:           3200
        .value_kind:     by_value
      - .offset:         3208
        .size:           4
        .value_kind:     by_value
      - .offset:         3216
        .size:           4
        .value_kind:     hidden_block_count_x
      - .offset:         3220
        .size:           4
        .value_kind:     hidden_block_count_y
      - .offset:         3224
        .size:           4
        .value_kind:     hidden_block_count_z
      - .offset:         3228
        .size:           2
        .value_kind:     hidden_group_size_x
      - .offset:         3230
        .size:           2
        .value_kind:     hidden_group_size_y
      - .offset:         3232
        .size:           2
        .value_kind:     hidden_group_size_z
      - .offset:         3234
        .size:           2
        .value_kind:     hidden_remainder_x
      - .offset:         3236
        .size:           2
        .value_kind:     hidden_remainder_y
      - .offset:         3238
        .size:           2
        .value_kind:     hidden_remainder_z
      - .offset:         3256
        .size:           8
        .value_kind:     hidden_global_offset_x
      - .offset:         3264
        .size:           8
        .value_kind:     hidden_global_offset_y
      - .offset:         3272
        .size:           8
        .value_kind:     hidden_global_offset_z
      - .offset:         3280
        .size:           2
        .value_kind:     hidden_grid_dims
    .group_segment_fixed_size: 4096
    .kernarg_segment_align: 8
    .kernarg_segment_size: 3472
    .language:       OpenCL C
    .language_version:
      - 2
      - 0
    .max_flat_workgroup_size: 1024
    .name:           _ZN2at6native14lpnorm_cleanupIdLNS0_8NormTypeE0EdLb1EdEEvPKT3_NS0_19TensorListAddressesEi
    .private_segment_fixed_size: 0
    .sgpr_count:     14
    .sgpr_spill_count: 0
    .symbol:         _ZN2at6native14lpnorm_cleanupIdLNS0_8NormTypeE0EdLb1EdEEvPKT3_NS0_19TensorListAddressesEi.kd
    .uniform_work_group_size: 1
    .uses_dynamic_stack: false
    .vgpr_count:     11
    .vgpr_spill_count: 0
    .wavefront_size: 32
  - .args:
      - .address_space:  global
        .offset:         0
        .size:           8
        .value_kind:     global_buffer
      - .offset:         8
        .size:           3200
        .value_kind:     by_value
      - .offset:         3208
        .size:           4
        .value_kind:     by_value
      - .offset:         3216
        .size:           4
        .value_kind:     hidden_block_count_x
      - .offset:         3220
        .size:           4
        .value_kind:     hidden_block_count_y
      - .offset:         3224
        .size:           4
        .value_kind:     hidden_block_count_z
      - .offset:         3228
        .size:           2
        .value_kind:     hidden_group_size_x
      - .offset:         3230
        .size:           2
        .value_kind:     hidden_group_size_y
      - .offset:         3232
        .size:           2
        .value_kind:     hidden_group_size_z
      - .offset:         3234
        .size:           2
        .value_kind:     hidden_remainder_x
      - .offset:         3236
        .size:           2
        .value_kind:     hidden_remainder_y
      - .offset:         3238
        .size:           2
        .value_kind:     hidden_remainder_z
      - .offset:         3256
        .size:           8
        .value_kind:     hidden_global_offset_x
      - .offset:         3264
        .size:           8
        .value_kind:     hidden_global_offset_y
      - .offset:         3272
        .size:           8
        .value_kind:     hidden_global_offset_z
      - .offset:         3280
        .size:           2
        .value_kind:     hidden_grid_dims
    .group_segment_fixed_size: 4096
    .kernarg_segment_align: 8
    .kernarg_segment_size: 3472
    .language:       OpenCL C
    .language_version:
      - 2
      - 0
    .max_flat_workgroup_size: 1024
    .name:           _ZN2at6native14lpnorm_cleanupIdLNS0_8NormTypeE1EdLb1EdEEvPKT3_NS0_19TensorListAddressesEi
    .private_segment_fixed_size: 0
    .sgpr_count:     14
    .sgpr_spill_count: 0
    .symbol:         _ZN2at6native14lpnorm_cleanupIdLNS0_8NormTypeE1EdLb1EdEEvPKT3_NS0_19TensorListAddressesEi.kd
    .uniform_work_group_size: 1
    .uses_dynamic_stack: false
    .vgpr_count:     11
    .vgpr_spill_count: 0
    .wavefront_size: 32
  - .args:
      - .address_space:  global
        .offset:         0
        .size:           8
        .value_kind:     global_buffer
      - .offset:         8
        .size:           3200
        .value_kind:     by_value
      - .offset:         3208
        .size:           4
        .value_kind:     by_value
      - .offset:         3216
        .size:           4
        .value_kind:     hidden_block_count_x
      - .offset:         3220
        .size:           4
        .value_kind:     hidden_block_count_y
      - .offset:         3224
        .size:           4
        .value_kind:     hidden_block_count_z
      - .offset:         3228
        .size:           2
        .value_kind:     hidden_group_size_x
      - .offset:         3230
        .size:           2
        .value_kind:     hidden_group_size_y
      - .offset:         3232
        .size:           2
        .value_kind:     hidden_group_size_z
      - .offset:         3234
        .size:           2
        .value_kind:     hidden_remainder_x
      - .offset:         3236
        .size:           2
        .value_kind:     hidden_remainder_y
      - .offset:         3238
        .size:           2
        .value_kind:     hidden_remainder_z
      - .offset:         3256
        .size:           8
        .value_kind:     hidden_global_offset_x
      - .offset:         3264
        .size:           8
        .value_kind:     hidden_global_offset_y
      - .offset:         3272
        .size:           8
        .value_kind:     hidden_global_offset_z
      - .offset:         3280
        .size:           2
        .value_kind:     hidden_grid_dims
    .group_segment_fixed_size: 4096
    .kernarg_segment_align: 8
    .kernarg_segment_size: 3472
    .language:       OpenCL C
    .language_version:
      - 2
      - 0
    .max_flat_workgroup_size: 1024
    .name:           _ZN2at6native14lpnorm_cleanupIdLNS0_8NormTypeE2EdLb1EdEEvPKT3_NS0_19TensorListAddressesEi
    .private_segment_fixed_size: 0
    .sgpr_count:     14
    .sgpr_spill_count: 0
    .symbol:         _ZN2at6native14lpnorm_cleanupIdLNS0_8NormTypeE2EdLb1EdEEvPKT3_NS0_19TensorListAddressesEi.kd
    .uniform_work_group_size: 1
    .uses_dynamic_stack: false
    .vgpr_count:     11
    .vgpr_spill_count: 0
    .wavefront_size: 32
  - .args:
      - .address_space:  global
        .offset:         0
        .size:           8
        .value_kind:     global_buffer
      - .offset:         8
        .size:           3200
        .value_kind:     by_value
      - .offset:         3208
        .size:           4
        .value_kind:     by_value
      - .offset:         3216
        .size:           4
        .value_kind:     hidden_block_count_x
      - .offset:         3220
        .size:           4
        .value_kind:     hidden_block_count_y
      - .offset:         3224
        .size:           4
        .value_kind:     hidden_block_count_z
      - .offset:         3228
        .size:           2
        .value_kind:     hidden_group_size_x
      - .offset:         3230
        .size:           2
        .value_kind:     hidden_group_size_y
      - .offset:         3232
        .size:           2
        .value_kind:     hidden_group_size_z
      - .offset:         3234
        .size:           2
        .value_kind:     hidden_remainder_x
      - .offset:         3236
        .size:           2
        .value_kind:     hidden_remainder_y
      - .offset:         3238
        .size:           2
        .value_kind:     hidden_remainder_z
      - .offset:         3256
        .size:           8
        .value_kind:     hidden_global_offset_x
      - .offset:         3264
        .size:           8
        .value_kind:     hidden_global_offset_y
      - .offset:         3272
        .size:           8
        .value_kind:     hidden_global_offset_z
      - .offset:         3280
        .size:           2
        .value_kind:     hidden_grid_dims
    .group_segment_fixed_size: 4096
    .kernarg_segment_align: 8
    .kernarg_segment_size: 3472
    .language:       OpenCL C
    .language_version:
      - 2
      - 0
    .max_flat_workgroup_size: 1024
    .name:           _ZN2at6native14lpnorm_cleanupIdLNS0_8NormTypeE3EdLb1EdEEvPKT3_NS0_19TensorListAddressesEi
    .private_segment_fixed_size: 0
    .sgpr_count:     15
    .sgpr_spill_count: 0
    .symbol:         _ZN2at6native14lpnorm_cleanupIdLNS0_8NormTypeE3EdLb1EdEEvPKT3_NS0_19TensorListAddressesEi.kd
    .uniform_work_group_size: 1
    .uses_dynamic_stack: false
    .vgpr_count:     12
    .vgpr_spill_count: 0
    .wavefront_size: 32
  - .args:
      - .offset:         0
        .size:           3368
        .value_kind:     by_value
      - .offset:         3368
        .size:           1
        .value_kind:     by_value
      - .address_space:  global
        .offset:         3376
        .size:           8
        .value_kind:     global_buffer
      - .offset:         3384
        .size:           4
        .value_kind:     by_value
      - .offset:         3392
        .size:           4
        .value_kind:     hidden_block_count_x
      - .offset:         3396
        .size:           4
        .value_kind:     hidden_block_count_y
      - .offset:         3400
        .size:           4
        .value_kind:     hidden_block_count_z
      - .offset:         3404
        .size:           2
        .value_kind:     hidden_group_size_x
      - .offset:         3406
        .size:           2
        .value_kind:     hidden_group_size_y
      - .offset:         3408
        .size:           2
        .value_kind:     hidden_group_size_z
      - .offset:         3410
        .size:           2
        .value_kind:     hidden_remainder_x
      - .offset:         3412
        .size:           2
        .value_kind:     hidden_remainder_y
      - .offset:         3414
        .size:           2
        .value_kind:     hidden_remainder_z
      - .offset:         3432
        .size:           8
        .value_kind:     hidden_global_offset_x
      - .offset:         3440
        .size:           8
        .value_kind:     hidden_global_offset_y
      - .offset:         3448
        .size:           8
        .value_kind:     hidden_global_offset_z
      - .offset:         3456
        .size:           2
        .value_kind:     hidden_grid_dims
    .group_segment_fixed_size: 2048
    .kernarg_segment_align: 8
    .kernarg_segment_size: 3648
    .language:       OpenCL C
    .language_version:
      - 2
      - 0
    .max_flat_workgroup_size: 512
    .name:           _ZN2at6native12_GLOBAL__N_125multi_tensor_apply_kernelINS1_18TensorListMetadataILi1EEENS0_13LpNormFunctorIdLNS0_8NormTypeE0EfLi1ELi1ELi0EEEJPfiEEEvT_T0_DpT1_
    .private_segment_fixed_size: 0
    .sgpr_count:     16
    .sgpr_spill_count: 0
    .symbol:         _ZN2at6native12_GLOBAL__N_125multi_tensor_apply_kernelINS1_18TensorListMetadataILi1EEENS0_13LpNormFunctorIdLNS0_8NormTypeE0EfLi1ELi1ELi0EEEJPfiEEEvT_T0_DpT1_.kd
    .uniform_work_group_size: 1
    .uses_dynamic_stack: false
    .vgpr_count:     24
    .vgpr_spill_count: 0
    .wavefront_size: 32
  - .args:
      - .offset:         0
        .size:           3368
        .value_kind:     by_value
      - .offset:         3368
        .size:           1
        .value_kind:     by_value
      - .address_space:  global
        .offset:         3376
        .size:           8
        .value_kind:     global_buffer
      - .offset:         3384
        .size:           4
        .value_kind:     by_value
      - .offset:         3392
        .size:           4
        .value_kind:     hidden_block_count_x
      - .offset:         3396
        .size:           4
        .value_kind:     hidden_block_count_y
      - .offset:         3400
        .size:           4
        .value_kind:     hidden_block_count_z
      - .offset:         3404
        .size:           2
        .value_kind:     hidden_group_size_x
      - .offset:         3406
        .size:           2
        .value_kind:     hidden_group_size_y
      - .offset:         3408
        .size:           2
        .value_kind:     hidden_group_size_z
      - .offset:         3410
        .size:           2
        .value_kind:     hidden_remainder_x
      - .offset:         3412
        .size:           2
        .value_kind:     hidden_remainder_y
      - .offset:         3414
        .size:           2
        .value_kind:     hidden_remainder_z
      - .offset:         3432
        .size:           8
        .value_kind:     hidden_global_offset_x
      - .offset:         3440
        .size:           8
        .value_kind:     hidden_global_offset_y
      - .offset:         3448
        .size:           8
        .value_kind:     hidden_global_offset_z
      - .offset:         3456
        .size:           2
        .value_kind:     hidden_grid_dims
    .group_segment_fixed_size: 2048
    .kernarg_segment_align: 8
    .kernarg_segment_size: 3648
    .language:       OpenCL C
    .language_version:
      - 2
      - 0
    .max_flat_workgroup_size: 512
    .name:           _ZN2at6native12_GLOBAL__N_125multi_tensor_apply_kernelINS1_18TensorListMetadataILi1EEENS0_13LpNormFunctorIdLNS0_8NormTypeE1EfLi1ELi1ELi0EEEJPfiEEEvT_T0_DpT1_
    .private_segment_fixed_size: 0
    .sgpr_count:     16
    .sgpr_spill_count: 0
    .symbol:         _ZN2at6native12_GLOBAL__N_125multi_tensor_apply_kernelINS1_18TensorListMetadataILi1EEENS0_13LpNormFunctorIdLNS0_8NormTypeE1EfLi1ELi1ELi0EEEJPfiEEEvT_T0_DpT1_.kd
    .uniform_work_group_size: 1
    .uses_dynamic_stack: false
    .vgpr_count:     22
    .vgpr_spill_count: 0
    .wavefront_size: 32
  - .args:
      - .offset:         0
        .size:           3368
        .value_kind:     by_value
      - .offset:         3368
        .size:           1
        .value_kind:     by_value
      - .address_space:  global
        .offset:         3376
        .size:           8
        .value_kind:     global_buffer
      - .offset:         3384
        .size:           4
        .value_kind:     by_value
      - .offset:         3392
        .size:           4
        .value_kind:     hidden_block_count_x
      - .offset:         3396
        .size:           4
        .value_kind:     hidden_block_count_y
      - .offset:         3400
        .size:           4
        .value_kind:     hidden_block_count_z
      - .offset:         3404
        .size:           2
        .value_kind:     hidden_group_size_x
      - .offset:         3406
        .size:           2
        .value_kind:     hidden_group_size_y
      - .offset:         3408
        .size:           2
        .value_kind:     hidden_group_size_z
      - .offset:         3410
        .size:           2
        .value_kind:     hidden_remainder_x
      - .offset:         3412
        .size:           2
        .value_kind:     hidden_remainder_y
      - .offset:         3414
        .size:           2
        .value_kind:     hidden_remainder_z
      - .offset:         3432
        .size:           8
        .value_kind:     hidden_global_offset_x
      - .offset:         3440
        .size:           8
        .value_kind:     hidden_global_offset_y
      - .offset:         3448
        .size:           8
        .value_kind:     hidden_global_offset_z
      - .offset:         3456
        .size:           2
        .value_kind:     hidden_grid_dims
    .group_segment_fixed_size: 2048
    .kernarg_segment_align: 8
    .kernarg_segment_size: 3648
    .language:       OpenCL C
    .language_version:
      - 2
      - 0
    .max_flat_workgroup_size: 512
    .name:           _ZN2at6native12_GLOBAL__N_125multi_tensor_apply_kernelINS1_18TensorListMetadataILi1EEENS0_13LpNormFunctorIdLNS0_8NormTypeE2EfLi1ELi1ELi0EEEJPfiEEEvT_T0_DpT1_
    .private_segment_fixed_size: 0
    .sgpr_count:     16
    .sgpr_spill_count: 0
    .symbol:         _ZN2at6native12_GLOBAL__N_125multi_tensor_apply_kernelINS1_18TensorListMetadataILi1EEENS0_13LpNormFunctorIdLNS0_8NormTypeE2EfLi1ELi1ELi0EEEJPfiEEEvT_T0_DpT1_.kd
    .uniform_work_group_size: 1
    .uses_dynamic_stack: false
    .vgpr_count:     24
    .vgpr_spill_count: 0
    .wavefront_size: 32
  - .args:
      - .offset:         0
        .size:           3368
        .value_kind:     by_value
      - .offset:         3368
        .size:           1
        .value_kind:     by_value
      - .address_space:  global
        .offset:         3376
        .size:           8
        .value_kind:     global_buffer
      - .offset:         3384
        .size:           4
        .value_kind:     by_value
      - .offset:         3392
        .size:           4
        .value_kind:     hidden_block_count_x
      - .offset:         3396
        .size:           4
        .value_kind:     hidden_block_count_y
      - .offset:         3400
        .size:           4
        .value_kind:     hidden_block_count_z
      - .offset:         3404
        .size:           2
        .value_kind:     hidden_group_size_x
      - .offset:         3406
        .size:           2
        .value_kind:     hidden_group_size_y
      - .offset:         3408
        .size:           2
        .value_kind:     hidden_group_size_z
      - .offset:         3410
        .size:           2
        .value_kind:     hidden_remainder_x
      - .offset:         3412
        .size:           2
        .value_kind:     hidden_remainder_y
      - .offset:         3414
        .size:           2
        .value_kind:     hidden_remainder_z
      - .offset:         3432
        .size:           8
        .value_kind:     hidden_global_offset_x
      - .offset:         3440
        .size:           8
        .value_kind:     hidden_global_offset_y
      - .offset:         3448
        .size:           8
        .value_kind:     hidden_global_offset_z
      - .offset:         3456
        .size:           2
        .value_kind:     hidden_grid_dims
    .group_segment_fixed_size: 2048
    .kernarg_segment_align: 8
    .kernarg_segment_size: 3648
    .language:       OpenCL C
    .language_version:
      - 2
      - 0
    .max_flat_workgroup_size: 512
    .name:           _ZN2at6native12_GLOBAL__N_125multi_tensor_apply_kernelINS1_18TensorListMetadataILi1EEENS0_13LpNormFunctorIdLNS0_8NormTypeE3EfLi1ELi1ELi0EEEJPfiEEEvT_T0_DpT1_
    .private_segment_fixed_size: 0
    .sgpr_count:     19
    .sgpr_spill_count: 0
    .symbol:         _ZN2at6native12_GLOBAL__N_125multi_tensor_apply_kernelINS1_18TensorListMetadataILi1EEENS0_13LpNormFunctorIdLNS0_8NormTypeE3EfLi1ELi1ELi0EEEJPfiEEEvT_T0_DpT1_.kd
    .uniform_work_group_size: 1
    .uses_dynamic_stack: false
    .vgpr_count:     24
    .vgpr_spill_count: 0
    .wavefront_size: 32
  - .args:
      - .address_space:  global
        .offset:         0
        .size:           8
        .value_kind:     global_buffer
      - .offset:         8
        .size:           3200
        .value_kind:     by_value
      - .offset:         3208
        .size:           4
        .value_kind:     by_value
      - .offset:         3216
        .size:           4
        .value_kind:     hidden_block_count_x
      - .offset:         3220
        .size:           4
        .value_kind:     hidden_block_count_y
      - .offset:         3224
        .size:           4
        .value_kind:     hidden_block_count_z
      - .offset:         3228
        .size:           2
        .value_kind:     hidden_group_size_x
      - .offset:         3230
        .size:           2
        .value_kind:     hidden_group_size_y
      - .offset:         3232
        .size:           2
        .value_kind:     hidden_group_size_z
      - .offset:         3234
        .size:           2
        .value_kind:     hidden_remainder_x
      - .offset:         3236
        .size:           2
        .value_kind:     hidden_remainder_y
      - .offset:         3238
        .size:           2
        .value_kind:     hidden_remainder_z
      - .offset:         3256
        .size:           8
        .value_kind:     hidden_global_offset_x
      - .offset:         3264
        .size:           8
        .value_kind:     hidden_global_offset_y
      - .offset:         3272
        .size:           8
        .value_kind:     hidden_global_offset_z
      - .offset:         3280
        .size:           2
        .value_kind:     hidden_grid_dims
    .group_segment_fixed_size: 2048
    .kernarg_segment_align: 8
    .kernarg_segment_size: 3472
    .language:       OpenCL C
    .language_version:
      - 2
      - 0
    .max_flat_workgroup_size: 1024
    .name:           _ZN2at6native14lpnorm_cleanupIdLNS0_8NormTypeE0EfLb1EfEEvPKT3_NS0_19TensorListAddressesEi
    .private_segment_fixed_size: 0
    .sgpr_count:     14
    .sgpr_spill_count: 0
    .symbol:         _ZN2at6native14lpnorm_cleanupIdLNS0_8NormTypeE0EfLb1EfEEvPKT3_NS0_19TensorListAddressesEi.kd
    .uniform_work_group_size: 1
    .uses_dynamic_stack: false
    .vgpr_count:     9
    .vgpr_spill_count: 0
    .wavefront_size: 32
  - .args:
      - .address_space:  global
        .offset:         0
        .size:           8
        .value_kind:     global_buffer
      - .offset:         8
        .size:           3200
        .value_kind:     by_value
      - .offset:         3208
        .size:           4
        .value_kind:     by_value
      - .offset:         3216
        .size:           4
        .value_kind:     hidden_block_count_x
      - .offset:         3220
        .size:           4
        .value_kind:     hidden_block_count_y
      - .offset:         3224
        .size:           4
        .value_kind:     hidden_block_count_z
      - .offset:         3228
        .size:           2
        .value_kind:     hidden_group_size_x
      - .offset:         3230
        .size:           2
        .value_kind:     hidden_group_size_y
      - .offset:         3232
        .size:           2
        .value_kind:     hidden_group_size_z
      - .offset:         3234
        .size:           2
        .value_kind:     hidden_remainder_x
      - .offset:         3236
        .size:           2
        .value_kind:     hidden_remainder_y
      - .offset:         3238
        .size:           2
        .value_kind:     hidden_remainder_z
      - .offset:         3256
        .size:           8
        .value_kind:     hidden_global_offset_x
      - .offset:         3264
        .size:           8
        .value_kind:     hidden_global_offset_y
      - .offset:         3272
        .size:           8
        .value_kind:     hidden_global_offset_z
      - .offset:         3280
        .size:           2
        .value_kind:     hidden_grid_dims
    .group_segment_fixed_size: 2048
    .kernarg_segment_align: 8
    .kernarg_segment_size: 3472
    .language:       OpenCL C
    .language_version:
      - 2
      - 0
    .max_flat_workgroup_size: 1024
    .name:           _ZN2at6native14lpnorm_cleanupIdLNS0_8NormTypeE1EfLb1EfEEvPKT3_NS0_19TensorListAddressesEi
    .private_segment_fixed_size: 0
    .sgpr_count:     14
    .sgpr_spill_count: 0
    .symbol:         _ZN2at6native14lpnorm_cleanupIdLNS0_8NormTypeE1EfLb1EfEEvPKT3_NS0_19TensorListAddressesEi.kd
    .uniform_work_group_size: 1
    .uses_dynamic_stack: false
    .vgpr_count:     9
    .vgpr_spill_count: 0
    .wavefront_size: 32
  - .args:
      - .address_space:  global
        .offset:         0
        .size:           8
        .value_kind:     global_buffer
      - .offset:         8
        .size:           3200
        .value_kind:     by_value
      - .offset:         3208
        .size:           4
        .value_kind:     by_value
      - .offset:         3216
        .size:           4
        .value_kind:     hidden_block_count_x
      - .offset:         3220
        .size:           4
        .value_kind:     hidden_block_count_y
      - .offset:         3224
        .size:           4
        .value_kind:     hidden_block_count_z
      - .offset:         3228
        .size:           2
        .value_kind:     hidden_group_size_x
      - .offset:         3230
        .size:           2
        .value_kind:     hidden_group_size_y
      - .offset:         3232
        .size:           2
        .value_kind:     hidden_group_size_z
      - .offset:         3234
        .size:           2
        .value_kind:     hidden_remainder_x
      - .offset:         3236
        .size:           2
        .value_kind:     hidden_remainder_y
      - .offset:         3238
        .size:           2
        .value_kind:     hidden_remainder_z
      - .offset:         3256
        .size:           8
        .value_kind:     hidden_global_offset_x
      - .offset:         3264
        .size:           8
        .value_kind:     hidden_global_offset_y
      - .offset:         3272
        .size:           8
        .value_kind:     hidden_global_offset_z
      - .offset:         3280
        .size:           2
        .value_kind:     hidden_grid_dims
    .group_segment_fixed_size: 2048
    .kernarg_segment_align: 8
    .kernarg_segment_size: 3472
    .language:       OpenCL C
    .language_version:
      - 2
      - 0
    .max_flat_workgroup_size: 1024
    .name:           _ZN2at6native14lpnorm_cleanupIdLNS0_8NormTypeE2EfLb1EfEEvPKT3_NS0_19TensorListAddressesEi
    .private_segment_fixed_size: 0
    .sgpr_count:     14
    .sgpr_spill_count: 0
    .symbol:         _ZN2at6native14lpnorm_cleanupIdLNS0_8NormTypeE2EfLb1EfEEvPKT3_NS0_19TensorListAddressesEi.kd
    .uniform_work_group_size: 1
    .uses_dynamic_stack: false
    .vgpr_count:     9
    .vgpr_spill_count: 0
    .wavefront_size: 32
  - .args:
      - .address_space:  global
        .offset:         0
        .size:           8
        .value_kind:     global_buffer
      - .offset:         8
        .size:           3200
        .value_kind:     by_value
      - .offset:         3208
        .size:           4
        .value_kind:     by_value
      - .offset:         3216
        .size:           4
        .value_kind:     hidden_block_count_x
      - .offset:         3220
        .size:           4
        .value_kind:     hidden_block_count_y
      - .offset:         3224
        .size:           4
        .value_kind:     hidden_block_count_z
      - .offset:         3228
        .size:           2
        .value_kind:     hidden_group_size_x
      - .offset:         3230
        .size:           2
        .value_kind:     hidden_group_size_y
      - .offset:         3232
        .size:           2
        .value_kind:     hidden_group_size_z
      - .offset:         3234
        .size:           2
        .value_kind:     hidden_remainder_x
      - .offset:         3236
        .size:           2
        .value_kind:     hidden_remainder_y
      - .offset:         3238
        .size:           2
        .value_kind:     hidden_remainder_z
      - .offset:         3256
        .size:           8
        .value_kind:     hidden_global_offset_x
      - .offset:         3264
        .size:           8
        .value_kind:     hidden_global_offset_y
      - .offset:         3272
        .size:           8
        .value_kind:     hidden_global_offset_z
      - .offset:         3280
        .size:           2
        .value_kind:     hidden_grid_dims
    .group_segment_fixed_size: 2048
    .kernarg_segment_align: 8
    .kernarg_segment_size: 3472
    .language:       OpenCL C
    .language_version:
      - 2
      - 0
    .max_flat_workgroup_size: 1024
    .name:           _ZN2at6native14lpnorm_cleanupIdLNS0_8NormTypeE3EfLb1EfEEvPKT3_NS0_19TensorListAddressesEi
    .private_segment_fixed_size: 0
    .sgpr_count:     15
    .sgpr_spill_count: 0
    .symbol:         _ZN2at6native14lpnorm_cleanupIdLNS0_8NormTypeE3EfLb1EfEEvPKT3_NS0_19TensorListAddressesEi.kd
    .uniform_work_group_size: 1
    .uses_dynamic_stack: false
    .vgpr_count:     9
    .vgpr_spill_count: 0
    .wavefront_size: 32
  - .args:
      - .offset:         0
        .size:           3368
        .value_kind:     by_value
      - .offset:         3368
        .size:           1
        .value_kind:     by_value
      - .address_space:  global
        .offset:         3376
        .size:           8
        .value_kind:     global_buffer
      - .offset:         3384
        .size:           4
        .value_kind:     by_value
      - .offset:         3392
        .size:           4
        .value_kind:     hidden_block_count_x
      - .offset:         3396
        .size:           4
        .value_kind:     hidden_block_count_y
      - .offset:         3400
        .size:           4
        .value_kind:     hidden_block_count_z
      - .offset:         3404
        .size:           2
        .value_kind:     hidden_group_size_x
      - .offset:         3406
        .size:           2
        .value_kind:     hidden_group_size_y
      - .offset:         3408
        .size:           2
        .value_kind:     hidden_group_size_z
      - .offset:         3410
        .size:           2
        .value_kind:     hidden_remainder_x
      - .offset:         3412
        .size:           2
        .value_kind:     hidden_remainder_y
      - .offset:         3414
        .size:           2
        .value_kind:     hidden_remainder_z
      - .offset:         3432
        .size:           8
        .value_kind:     hidden_global_offset_x
      - .offset:         3440
        .size:           8
        .value_kind:     hidden_global_offset_y
      - .offset:         3448
        .size:           8
        .value_kind:     hidden_global_offset_z
      - .offset:         3456
        .size:           2
        .value_kind:     hidden_grid_dims
    .group_segment_fixed_size: 2048
    .kernarg_segment_align: 8
    .kernarg_segment_size: 3648
    .language:       OpenCL C
    .language_version:
      - 2
      - 0
    .max_flat_workgroup_size: 512
    .name:           _ZN2at6native12_GLOBAL__N_125multi_tensor_apply_kernelINS1_18TensorListMetadataILi1EEENS0_13LpNormFunctorIdLNS0_8NormTypeE0EN3c104HalfELi1ELi1ELi0EEEJPfiEEEvT_T0_DpT1_
    .private_segment_fixed_size: 0
    .sgpr_count:     16
    .sgpr_spill_count: 0
    .symbol:         _ZN2at6native12_GLOBAL__N_125multi_tensor_apply_kernelINS1_18TensorListMetadataILi1EEENS0_13LpNormFunctorIdLNS0_8NormTypeE0EN3c104HalfELi1ELi1ELi0EEEJPfiEEEvT_T0_DpT1_.kd
    .uniform_work_group_size: 1
    .uses_dynamic_stack: false
    .vgpr_count:     24
    .vgpr_spill_count: 0
    .wavefront_size: 32
  - .args:
      - .offset:         0
        .size:           3368
        .value_kind:     by_value
      - .offset:         3368
        .size:           1
        .value_kind:     by_value
      - .address_space:  global
        .offset:         3376
        .size:           8
        .value_kind:     global_buffer
      - .offset:         3384
        .size:           4
        .value_kind:     by_value
      - .offset:         3392
        .size:           4
        .value_kind:     hidden_block_count_x
      - .offset:         3396
        .size:           4
        .value_kind:     hidden_block_count_y
      - .offset:         3400
        .size:           4
        .value_kind:     hidden_block_count_z
      - .offset:         3404
        .size:           2
        .value_kind:     hidden_group_size_x
      - .offset:         3406
        .size:           2
        .value_kind:     hidden_group_size_y
      - .offset:         3408
        .size:           2
        .value_kind:     hidden_group_size_z
      - .offset:         3410
        .size:           2
        .value_kind:     hidden_remainder_x
      - .offset:         3412
        .size:           2
        .value_kind:     hidden_remainder_y
      - .offset:         3414
        .size:           2
        .value_kind:     hidden_remainder_z
      - .offset:         3432
        .size:           8
        .value_kind:     hidden_global_offset_x
      - .offset:         3440
        .size:           8
        .value_kind:     hidden_global_offset_y
      - .offset:         3448
        .size:           8
        .value_kind:     hidden_global_offset_z
      - .offset:         3456
        .size:           2
        .value_kind:     hidden_grid_dims
    .group_segment_fixed_size: 2048
    .kernarg_segment_align: 8
    .kernarg_segment_size: 3648
    .language:       OpenCL C
    .language_version:
      - 2
      - 0
    .max_flat_workgroup_size: 512
    .name:           _ZN2at6native12_GLOBAL__N_125multi_tensor_apply_kernelINS1_18TensorListMetadataILi1EEENS0_13LpNormFunctorIdLNS0_8NormTypeE1EN3c104HalfELi1ELi1ELi0EEEJPfiEEEvT_T0_DpT1_
    .private_segment_fixed_size: 0
    .sgpr_count:     16
    .sgpr_spill_count: 0
    .symbol:         _ZN2at6native12_GLOBAL__N_125multi_tensor_apply_kernelINS1_18TensorListMetadataILi1EEENS0_13LpNormFunctorIdLNS0_8NormTypeE1EN3c104HalfELi1ELi1ELi0EEEJPfiEEEvT_T0_DpT1_.kd
    .uniform_work_group_size: 1
    .uses_dynamic_stack: false
    .vgpr_count:     22
    .vgpr_spill_count: 0
    .wavefront_size: 32
  - .args:
      - .offset:         0
        .size:           3368
        .value_kind:     by_value
      - .offset:         3368
        .size:           1
        .value_kind:     by_value
      - .address_space:  global
        .offset:         3376
        .size:           8
        .value_kind:     global_buffer
      - .offset:         3384
        .size:           4
        .value_kind:     by_value
      - .offset:         3392
        .size:           4
        .value_kind:     hidden_block_count_x
      - .offset:         3396
        .size:           4
        .value_kind:     hidden_block_count_y
      - .offset:         3400
        .size:           4
        .value_kind:     hidden_block_count_z
      - .offset:         3404
        .size:           2
        .value_kind:     hidden_group_size_x
      - .offset:         3406
        .size:           2
        .value_kind:     hidden_group_size_y
      - .offset:         3408
        .size:           2
        .value_kind:     hidden_group_size_z
      - .offset:         3410
        .size:           2
        .value_kind:     hidden_remainder_x
      - .offset:         3412
        .size:           2
        .value_kind:     hidden_remainder_y
      - .offset:         3414
        .size:           2
        .value_kind:     hidden_remainder_z
      - .offset:         3432
        .size:           8
        .value_kind:     hidden_global_offset_x
      - .offset:         3440
        .size:           8
        .value_kind:     hidden_global_offset_y
      - .offset:         3448
        .size:           8
        .value_kind:     hidden_global_offset_z
      - .offset:         3456
        .size:           2
        .value_kind:     hidden_grid_dims
    .group_segment_fixed_size: 2048
    .kernarg_segment_align: 8
    .kernarg_segment_size: 3648
    .language:       OpenCL C
    .language_version:
      - 2
      - 0
    .max_flat_workgroup_size: 512
    .name:           _ZN2at6native12_GLOBAL__N_125multi_tensor_apply_kernelINS1_18TensorListMetadataILi1EEENS0_13LpNormFunctorIdLNS0_8NormTypeE2EN3c104HalfELi1ELi1ELi0EEEJPfiEEEvT_T0_DpT1_
    .private_segment_fixed_size: 0
    .sgpr_count:     16
    .sgpr_spill_count: 0
    .symbol:         _ZN2at6native12_GLOBAL__N_125multi_tensor_apply_kernelINS1_18TensorListMetadataILi1EEENS0_13LpNormFunctorIdLNS0_8NormTypeE2EN3c104HalfELi1ELi1ELi0EEEJPfiEEEvT_T0_DpT1_.kd
    .uniform_work_group_size: 1
    .uses_dynamic_stack: false
    .vgpr_count:     24
    .vgpr_spill_count: 0
    .wavefront_size: 32
  - .args:
      - .offset:         0
        .size:           3368
        .value_kind:     by_value
      - .offset:         3368
        .size:           1
        .value_kind:     by_value
      - .address_space:  global
        .offset:         3376
        .size:           8
        .value_kind:     global_buffer
      - .offset:         3384
        .size:           4
        .value_kind:     by_value
      - .offset:         3392
        .size:           4
        .value_kind:     hidden_block_count_x
      - .offset:         3396
        .size:           4
        .value_kind:     hidden_block_count_y
      - .offset:         3400
        .size:           4
        .value_kind:     hidden_block_count_z
      - .offset:         3404
        .size:           2
        .value_kind:     hidden_group_size_x
      - .offset:         3406
        .size:           2
        .value_kind:     hidden_group_size_y
      - .offset:         3408
        .size:           2
        .value_kind:     hidden_group_size_z
      - .offset:         3410
        .size:           2
        .value_kind:     hidden_remainder_x
      - .offset:         3412
        .size:           2
        .value_kind:     hidden_remainder_y
      - .offset:         3414
        .size:           2
        .value_kind:     hidden_remainder_z
      - .offset:         3432
        .size:           8
        .value_kind:     hidden_global_offset_x
      - .offset:         3440
        .size:           8
        .value_kind:     hidden_global_offset_y
      - .offset:         3448
        .size:           8
        .value_kind:     hidden_global_offset_z
      - .offset:         3456
        .size:           2
        .value_kind:     hidden_grid_dims
    .group_segment_fixed_size: 2048
    .kernarg_segment_align: 8
    .kernarg_segment_size: 3648
    .language:       OpenCL C
    .language_version:
      - 2
      - 0
    .max_flat_workgroup_size: 512
    .name:           _ZN2at6native12_GLOBAL__N_125multi_tensor_apply_kernelINS1_18TensorListMetadataILi1EEENS0_13LpNormFunctorIdLNS0_8NormTypeE3EN3c104HalfELi1ELi1ELi0EEEJPfiEEEvT_T0_DpT1_
    .private_segment_fixed_size: 0
    .sgpr_count:     19
    .sgpr_spill_count: 0
    .symbol:         _ZN2at6native12_GLOBAL__N_125multi_tensor_apply_kernelINS1_18TensorListMetadataILi1EEENS0_13LpNormFunctorIdLNS0_8NormTypeE3EN3c104HalfELi1ELi1ELi0EEEJPfiEEEvT_T0_DpT1_.kd
    .uniform_work_group_size: 1
    .uses_dynamic_stack: false
    .vgpr_count:     24
    .vgpr_spill_count: 0
    .wavefront_size: 32
  - .args:
      - .address_space:  global
        .offset:         0
        .size:           8
        .value_kind:     global_buffer
      - .offset:         8
        .size:           3200
        .value_kind:     by_value
      - .offset:         3208
        .size:           4
        .value_kind:     by_value
      - .offset:         3216
        .size:           4
        .value_kind:     hidden_block_count_x
      - .offset:         3220
        .size:           4
        .value_kind:     hidden_block_count_y
      - .offset:         3224
        .size:           4
        .value_kind:     hidden_block_count_z
      - .offset:         3228
        .size:           2
        .value_kind:     hidden_group_size_x
      - .offset:         3230
        .size:           2
        .value_kind:     hidden_group_size_y
      - .offset:         3232
        .size:           2
        .value_kind:     hidden_group_size_z
      - .offset:         3234
        .size:           2
        .value_kind:     hidden_remainder_x
      - .offset:         3236
        .size:           2
        .value_kind:     hidden_remainder_y
      - .offset:         3238
        .size:           2
        .value_kind:     hidden_remainder_z
      - .offset:         3256
        .size:           8
        .value_kind:     hidden_global_offset_x
      - .offset:         3264
        .size:           8
        .value_kind:     hidden_global_offset_y
      - .offset:         3272
        .size:           8
        .value_kind:     hidden_global_offset_z
      - .offset:         3280
        .size:           2
        .value_kind:     hidden_grid_dims
    .group_segment_fixed_size: 2048
    .kernarg_segment_align: 8
    .kernarg_segment_size: 3472
    .language:       OpenCL C
    .language_version:
      - 2
      - 0
    .max_flat_workgroup_size: 1024
    .name:           _ZN2at6native14lpnorm_cleanupIdLNS0_8NormTypeE0EN3c104HalfELb1EfEEvPKT3_NS0_19TensorListAddressesEi
    .private_segment_fixed_size: 0
    .sgpr_count:     14
    .sgpr_spill_count: 0
    .symbol:         _ZN2at6native14lpnorm_cleanupIdLNS0_8NormTypeE0EN3c104HalfELb1EfEEvPKT3_NS0_19TensorListAddressesEi.kd
    .uniform_work_group_size: 1
    .uses_dynamic_stack: false
    .vgpr_count:     9
    .vgpr_spill_count: 0
    .wavefront_size: 32
  - .args:
      - .address_space:  global
        .offset:         0
        .size:           8
        .value_kind:     global_buffer
      - .offset:         8
        .size:           3200
        .value_kind:     by_value
      - .offset:         3208
        .size:           4
        .value_kind:     by_value
      - .offset:         3216
        .size:           4
        .value_kind:     hidden_block_count_x
      - .offset:         3220
        .size:           4
        .value_kind:     hidden_block_count_y
      - .offset:         3224
        .size:           4
        .value_kind:     hidden_block_count_z
      - .offset:         3228
        .size:           2
        .value_kind:     hidden_group_size_x
      - .offset:         3230
        .size:           2
        .value_kind:     hidden_group_size_y
      - .offset:         3232
        .size:           2
        .value_kind:     hidden_group_size_z
      - .offset:         3234
        .size:           2
        .value_kind:     hidden_remainder_x
      - .offset:         3236
        .size:           2
        .value_kind:     hidden_remainder_y
      - .offset:         3238
        .size:           2
        .value_kind:     hidden_remainder_z
      - .offset:         3256
        .size:           8
        .value_kind:     hidden_global_offset_x
      - .offset:         3264
        .size:           8
        .value_kind:     hidden_global_offset_y
      - .offset:         3272
        .size:           8
        .value_kind:     hidden_global_offset_z
      - .offset:         3280
        .size:           2
        .value_kind:     hidden_grid_dims
    .group_segment_fixed_size: 2048
    .kernarg_segment_align: 8
    .kernarg_segment_size: 3472
    .language:       OpenCL C
    .language_version:
      - 2
      - 0
    .max_flat_workgroup_size: 1024
    .name:           _ZN2at6native14lpnorm_cleanupIdLNS0_8NormTypeE1EN3c104HalfELb1EfEEvPKT3_NS0_19TensorListAddressesEi
    .private_segment_fixed_size: 0
    .sgpr_count:     14
    .sgpr_spill_count: 0
    .symbol:         _ZN2at6native14lpnorm_cleanupIdLNS0_8NormTypeE1EN3c104HalfELb1EfEEvPKT3_NS0_19TensorListAddressesEi.kd
    .uniform_work_group_size: 1
    .uses_dynamic_stack: false
    .vgpr_count:     9
    .vgpr_spill_count: 0
    .wavefront_size: 32
  - .args:
      - .address_space:  global
        .offset:         0
        .size:           8
        .value_kind:     global_buffer
      - .offset:         8
        .size:           3200
        .value_kind:     by_value
      - .offset:         3208
        .size:           4
        .value_kind:     by_value
      - .offset:         3216
        .size:           4
        .value_kind:     hidden_block_count_x
      - .offset:         3220
        .size:           4
        .value_kind:     hidden_block_count_y
      - .offset:         3224
        .size:           4
        .value_kind:     hidden_block_count_z
      - .offset:         3228
        .size:           2
        .value_kind:     hidden_group_size_x
      - .offset:         3230
        .size:           2
        .value_kind:     hidden_group_size_y
      - .offset:         3232
        .size:           2
        .value_kind:     hidden_group_size_z
      - .offset:         3234
        .size:           2
        .value_kind:     hidden_remainder_x
      - .offset:         3236
        .size:           2
        .value_kind:     hidden_remainder_y
      - .offset:         3238
        .size:           2
        .value_kind:     hidden_remainder_z
      - .offset:         3256
        .size:           8
        .value_kind:     hidden_global_offset_x
      - .offset:         3264
        .size:           8
        .value_kind:     hidden_global_offset_y
      - .offset:         3272
        .size:           8
        .value_kind:     hidden_global_offset_z
      - .offset:         3280
        .size:           2
        .value_kind:     hidden_grid_dims
    .group_segment_fixed_size: 2048
    .kernarg_segment_align: 8
    .kernarg_segment_size: 3472
    .language:       OpenCL C
    .language_version:
      - 2
      - 0
    .max_flat_workgroup_size: 1024
    .name:           _ZN2at6native14lpnorm_cleanupIdLNS0_8NormTypeE2EN3c104HalfELb1EfEEvPKT3_NS0_19TensorListAddressesEi
    .private_segment_fixed_size: 0
    .sgpr_count:     14
    .sgpr_spill_count: 0
    .symbol:         _ZN2at6native14lpnorm_cleanupIdLNS0_8NormTypeE2EN3c104HalfELb1EfEEvPKT3_NS0_19TensorListAddressesEi.kd
    .uniform_work_group_size: 1
    .uses_dynamic_stack: false
    .vgpr_count:     9
    .vgpr_spill_count: 0
    .wavefront_size: 32
  - .args:
      - .address_space:  global
        .offset:         0
        .size:           8
        .value_kind:     global_buffer
      - .offset:         8
        .size:           3200
        .value_kind:     by_value
      - .offset:         3208
        .size:           4
        .value_kind:     by_value
      - .offset:         3216
        .size:           4
        .value_kind:     hidden_block_count_x
      - .offset:         3220
        .size:           4
        .value_kind:     hidden_block_count_y
      - .offset:         3224
        .size:           4
        .value_kind:     hidden_block_count_z
      - .offset:         3228
        .size:           2
        .value_kind:     hidden_group_size_x
      - .offset:         3230
        .size:           2
        .value_kind:     hidden_group_size_y
      - .offset:         3232
        .size:           2
        .value_kind:     hidden_group_size_z
      - .offset:         3234
        .size:           2
        .value_kind:     hidden_remainder_x
      - .offset:         3236
        .size:           2
        .value_kind:     hidden_remainder_y
      - .offset:         3238
        .size:           2
        .value_kind:     hidden_remainder_z
      - .offset:         3256
        .size:           8
        .value_kind:     hidden_global_offset_x
      - .offset:         3264
        .size:           8
        .value_kind:     hidden_global_offset_y
      - .offset:         3272
        .size:           8
        .value_kind:     hidden_global_offset_z
      - .offset:         3280
        .size:           2
        .value_kind:     hidden_grid_dims
    .group_segment_fixed_size: 2048
    .kernarg_segment_align: 8
    .kernarg_segment_size: 3472
    .language:       OpenCL C
    .language_version:
      - 2
      - 0
    .max_flat_workgroup_size: 1024
    .name:           _ZN2at6native14lpnorm_cleanupIdLNS0_8NormTypeE3EN3c104HalfELb1EfEEvPKT3_NS0_19TensorListAddressesEi
    .private_segment_fixed_size: 0
    .sgpr_count:     15
    .sgpr_spill_count: 0
    .symbol:         _ZN2at6native14lpnorm_cleanupIdLNS0_8NormTypeE3EN3c104HalfELb1EfEEvPKT3_NS0_19TensorListAddressesEi.kd
    .uniform_work_group_size: 1
    .uses_dynamic_stack: false
    .vgpr_count:     9
    .vgpr_spill_count: 0
    .wavefront_size: 32
  - .args:
      - .offset:         0
        .size:           3368
        .value_kind:     by_value
      - .offset:         3368
        .size:           1
        .value_kind:     by_value
      - .address_space:  global
        .offset:         3376
        .size:           8
        .value_kind:     global_buffer
      - .offset:         3384
        .size:           4
        .value_kind:     by_value
      - .offset:         3392
        .size:           4
        .value_kind:     hidden_block_count_x
      - .offset:         3396
        .size:           4
        .value_kind:     hidden_block_count_y
      - .offset:         3400
        .size:           4
        .value_kind:     hidden_block_count_z
      - .offset:         3404
        .size:           2
        .value_kind:     hidden_group_size_x
      - .offset:         3406
        .size:           2
        .value_kind:     hidden_group_size_y
      - .offset:         3408
        .size:           2
        .value_kind:     hidden_group_size_z
      - .offset:         3410
        .size:           2
        .value_kind:     hidden_remainder_x
      - .offset:         3412
        .size:           2
        .value_kind:     hidden_remainder_y
      - .offset:         3414
        .size:           2
        .value_kind:     hidden_remainder_z
      - .offset:         3432
        .size:           8
        .value_kind:     hidden_global_offset_x
      - .offset:         3440
        .size:           8
        .value_kind:     hidden_global_offset_y
      - .offset:         3448
        .size:           8
        .value_kind:     hidden_global_offset_z
      - .offset:         3456
        .size:           2
        .value_kind:     hidden_grid_dims
    .group_segment_fixed_size: 2048
    .kernarg_segment_align: 8
    .kernarg_segment_size: 3648
    .language:       OpenCL C
    .language_version:
      - 2
      - 0
    .max_flat_workgroup_size: 512
    .name:           _ZN2at6native12_GLOBAL__N_125multi_tensor_apply_kernelINS1_18TensorListMetadataILi1EEENS0_13LpNormFunctorIdLNS0_8NormTypeE0EN3c108BFloat16ELi1ELi1ELi0EEEJPfiEEEvT_T0_DpT1_
    .private_segment_fixed_size: 0
    .sgpr_count:     16
    .sgpr_spill_count: 0
    .symbol:         _ZN2at6native12_GLOBAL__N_125multi_tensor_apply_kernelINS1_18TensorListMetadataILi1EEENS0_13LpNormFunctorIdLNS0_8NormTypeE0EN3c108BFloat16ELi1ELi1ELi0EEEJPfiEEEvT_T0_DpT1_.kd
    .uniform_work_group_size: 1
    .uses_dynamic_stack: false
    .vgpr_count:     24
    .vgpr_spill_count: 0
    .wavefront_size: 32
  - .args:
      - .offset:         0
        .size:           3368
        .value_kind:     by_value
      - .offset:         3368
        .size:           1
        .value_kind:     by_value
      - .address_space:  global
        .offset:         3376
        .size:           8
        .value_kind:     global_buffer
      - .offset:         3384
        .size:           4
        .value_kind:     by_value
      - .offset:         3392
        .size:           4
        .value_kind:     hidden_block_count_x
      - .offset:         3396
        .size:           4
        .value_kind:     hidden_block_count_y
      - .offset:         3400
        .size:           4
        .value_kind:     hidden_block_count_z
      - .offset:         3404
        .size:           2
        .value_kind:     hidden_group_size_x
      - .offset:         3406
        .size:           2
        .value_kind:     hidden_group_size_y
      - .offset:         3408
        .size:           2
        .value_kind:     hidden_group_size_z
      - .offset:         3410
        .size:           2
        .value_kind:     hidden_remainder_x
      - .offset:         3412
        .size:           2
        .value_kind:     hidden_remainder_y
      - .offset:         3414
        .size:           2
        .value_kind:     hidden_remainder_z
      - .offset:         3432
        .size:           8
        .value_kind:     hidden_global_offset_x
      - .offset:         3440
        .size:           8
        .value_kind:     hidden_global_offset_y
      - .offset:         3448
        .size:           8
        .value_kind:     hidden_global_offset_z
      - .offset:         3456
        .size:           2
        .value_kind:     hidden_grid_dims
    .group_segment_fixed_size: 2048
    .kernarg_segment_align: 8
    .kernarg_segment_size: 3648
    .language:       OpenCL C
    .language_version:
      - 2
      - 0
    .max_flat_workgroup_size: 512
    .name:           _ZN2at6native12_GLOBAL__N_125multi_tensor_apply_kernelINS1_18TensorListMetadataILi1EEENS0_13LpNormFunctorIdLNS0_8NormTypeE1EN3c108BFloat16ELi1ELi1ELi0EEEJPfiEEEvT_T0_DpT1_
    .private_segment_fixed_size: 0
    .sgpr_count:     16
    .sgpr_spill_count: 0
    .symbol:         _ZN2at6native12_GLOBAL__N_125multi_tensor_apply_kernelINS1_18TensorListMetadataILi1EEENS0_13LpNormFunctorIdLNS0_8NormTypeE1EN3c108BFloat16ELi1ELi1ELi0EEEJPfiEEEvT_T0_DpT1_.kd
    .uniform_work_group_size: 1
    .uses_dynamic_stack: false
    .vgpr_count:     22
    .vgpr_spill_count: 0
    .wavefront_size: 32
  - .args:
      - .offset:         0
        .size:           3368
        .value_kind:     by_value
      - .offset:         3368
        .size:           1
        .value_kind:     by_value
      - .address_space:  global
        .offset:         3376
        .size:           8
        .value_kind:     global_buffer
      - .offset:         3384
        .size:           4
        .value_kind:     by_value
      - .offset:         3392
        .size:           4
        .value_kind:     hidden_block_count_x
      - .offset:         3396
        .size:           4
        .value_kind:     hidden_block_count_y
      - .offset:         3400
        .size:           4
        .value_kind:     hidden_block_count_z
      - .offset:         3404
        .size:           2
        .value_kind:     hidden_group_size_x
      - .offset:         3406
        .size:           2
        .value_kind:     hidden_group_size_y
      - .offset:         3408
        .size:           2
        .value_kind:     hidden_group_size_z
      - .offset:         3410
        .size:           2
        .value_kind:     hidden_remainder_x
      - .offset:         3412
        .size:           2
        .value_kind:     hidden_remainder_y
      - .offset:         3414
        .size:           2
        .value_kind:     hidden_remainder_z
      - .offset:         3432
        .size:           8
        .value_kind:     hidden_global_offset_x
      - .offset:         3440
        .size:           8
        .value_kind:     hidden_global_offset_y
      - .offset:         3448
        .size:           8
        .value_kind:     hidden_global_offset_z
      - .offset:         3456
        .size:           2
        .value_kind:     hidden_grid_dims
    .group_segment_fixed_size: 2048
    .kernarg_segment_align: 8
    .kernarg_segment_size: 3648
    .language:       OpenCL C
    .language_version:
      - 2
      - 0
    .max_flat_workgroup_size: 512
    .name:           _ZN2at6native12_GLOBAL__N_125multi_tensor_apply_kernelINS1_18TensorListMetadataILi1EEENS0_13LpNormFunctorIdLNS0_8NormTypeE2EN3c108BFloat16ELi1ELi1ELi0EEEJPfiEEEvT_T0_DpT1_
    .private_segment_fixed_size: 0
    .sgpr_count:     16
    .sgpr_spill_count: 0
    .symbol:         _ZN2at6native12_GLOBAL__N_125multi_tensor_apply_kernelINS1_18TensorListMetadataILi1EEENS0_13LpNormFunctorIdLNS0_8NormTypeE2EN3c108BFloat16ELi1ELi1ELi0EEEJPfiEEEvT_T0_DpT1_.kd
    .uniform_work_group_size: 1
    .uses_dynamic_stack: false
    .vgpr_count:     24
    .vgpr_spill_count: 0
    .wavefront_size: 32
  - .args:
      - .offset:         0
        .size:           3368
        .value_kind:     by_value
      - .offset:         3368
        .size:           1
        .value_kind:     by_value
      - .address_space:  global
        .offset:         3376
        .size:           8
        .value_kind:     global_buffer
      - .offset:         3384
        .size:           4
        .value_kind:     by_value
      - .offset:         3392
        .size:           4
        .value_kind:     hidden_block_count_x
      - .offset:         3396
        .size:           4
        .value_kind:     hidden_block_count_y
      - .offset:         3400
        .size:           4
        .value_kind:     hidden_block_count_z
      - .offset:         3404
        .size:           2
        .value_kind:     hidden_group_size_x
      - .offset:         3406
        .size:           2
        .value_kind:     hidden_group_size_y
      - .offset:         3408
        .size:           2
        .value_kind:     hidden_group_size_z
      - .offset:         3410
        .size:           2
        .value_kind:     hidden_remainder_x
      - .offset:         3412
        .size:           2
        .value_kind:     hidden_remainder_y
      - .offset:         3414
        .size:           2
        .value_kind:     hidden_remainder_z
      - .offset:         3432
        .size:           8
        .value_kind:     hidden_global_offset_x
      - .offset:         3440
        .size:           8
        .value_kind:     hidden_global_offset_y
      - .offset:         3448
        .size:           8
        .value_kind:     hidden_global_offset_z
      - .offset:         3456
        .size:           2
        .value_kind:     hidden_grid_dims
    .group_segment_fixed_size: 2048
    .kernarg_segment_align: 8
    .kernarg_segment_size: 3648
    .language:       OpenCL C
    .language_version:
      - 2
      - 0
    .max_flat_workgroup_size: 512
    .name:           _ZN2at6native12_GLOBAL__N_125multi_tensor_apply_kernelINS1_18TensorListMetadataILi1EEENS0_13LpNormFunctorIdLNS0_8NormTypeE3EN3c108BFloat16ELi1ELi1ELi0EEEJPfiEEEvT_T0_DpT1_
    .private_segment_fixed_size: 0
    .sgpr_count:     19
    .sgpr_spill_count: 0
    .symbol:         _ZN2at6native12_GLOBAL__N_125multi_tensor_apply_kernelINS1_18TensorListMetadataILi1EEENS0_13LpNormFunctorIdLNS0_8NormTypeE3EN3c108BFloat16ELi1ELi1ELi0EEEJPfiEEEvT_T0_DpT1_.kd
    .uniform_work_group_size: 1
    .uses_dynamic_stack: false
    .vgpr_count:     24
    .vgpr_spill_count: 0
    .wavefront_size: 32
  - .args:
      - .address_space:  global
        .offset:         0
        .size:           8
        .value_kind:     global_buffer
      - .offset:         8
        .size:           3200
        .value_kind:     by_value
      - .offset:         3208
        .size:           4
        .value_kind:     by_value
      - .offset:         3216
        .size:           4
        .value_kind:     hidden_block_count_x
      - .offset:         3220
        .size:           4
        .value_kind:     hidden_block_count_y
      - .offset:         3224
        .size:           4
        .value_kind:     hidden_block_count_z
      - .offset:         3228
        .size:           2
        .value_kind:     hidden_group_size_x
      - .offset:         3230
        .size:           2
        .value_kind:     hidden_group_size_y
      - .offset:         3232
        .size:           2
        .value_kind:     hidden_group_size_z
      - .offset:         3234
        .size:           2
        .value_kind:     hidden_remainder_x
      - .offset:         3236
        .size:           2
        .value_kind:     hidden_remainder_y
      - .offset:         3238
        .size:           2
        .value_kind:     hidden_remainder_z
      - .offset:         3256
        .size:           8
        .value_kind:     hidden_global_offset_x
      - .offset:         3264
        .size:           8
        .value_kind:     hidden_global_offset_y
      - .offset:         3272
        .size:           8
        .value_kind:     hidden_global_offset_z
      - .offset:         3280
        .size:           2
        .value_kind:     hidden_grid_dims
    .group_segment_fixed_size: 2048
    .kernarg_segment_align: 8
    .kernarg_segment_size: 3472
    .language:       OpenCL C
    .language_version:
      - 2
      - 0
    .max_flat_workgroup_size: 1024
    .name:           _ZN2at6native14lpnorm_cleanupIdLNS0_8NormTypeE0EN3c108BFloat16ELb1EfEEvPKT3_NS0_19TensorListAddressesEi
    .private_segment_fixed_size: 0
    .sgpr_count:     14
    .sgpr_spill_count: 0
    .symbol:         _ZN2at6native14lpnorm_cleanupIdLNS0_8NormTypeE0EN3c108BFloat16ELb1EfEEvPKT3_NS0_19TensorListAddressesEi.kd
    .uniform_work_group_size: 1
    .uses_dynamic_stack: false
    .vgpr_count:     9
    .vgpr_spill_count: 0
    .wavefront_size: 32
  - .args:
      - .address_space:  global
        .offset:         0
        .size:           8
        .value_kind:     global_buffer
      - .offset:         8
        .size:           3200
        .value_kind:     by_value
      - .offset:         3208
        .size:           4
        .value_kind:     by_value
      - .offset:         3216
        .size:           4
        .value_kind:     hidden_block_count_x
      - .offset:         3220
        .size:           4
        .value_kind:     hidden_block_count_y
      - .offset:         3224
        .size:           4
        .value_kind:     hidden_block_count_z
      - .offset:         3228
        .size:           2
        .value_kind:     hidden_group_size_x
      - .offset:         3230
        .size:           2
        .value_kind:     hidden_group_size_y
      - .offset:         3232
        .size:           2
        .value_kind:     hidden_group_size_z
      - .offset:         3234
        .size:           2
        .value_kind:     hidden_remainder_x
      - .offset:         3236
        .size:           2
        .value_kind:     hidden_remainder_y
      - .offset:         3238
        .size:           2
        .value_kind:     hidden_remainder_z
      - .offset:         3256
        .size:           8
        .value_kind:     hidden_global_offset_x
      - .offset:         3264
        .size:           8
        .value_kind:     hidden_global_offset_y
      - .offset:         3272
        .size:           8
        .value_kind:     hidden_global_offset_z
      - .offset:         3280
        .size:           2
        .value_kind:     hidden_grid_dims
    .group_segment_fixed_size: 2048
    .kernarg_segment_align: 8
    .kernarg_segment_size: 3472
    .language:       OpenCL C
    .language_version:
      - 2
      - 0
    .max_flat_workgroup_size: 1024
    .name:           _ZN2at6native14lpnorm_cleanupIdLNS0_8NormTypeE1EN3c108BFloat16ELb1EfEEvPKT3_NS0_19TensorListAddressesEi
    .private_segment_fixed_size: 0
    .sgpr_count:     14
    .sgpr_spill_count: 0
    .symbol:         _ZN2at6native14lpnorm_cleanupIdLNS0_8NormTypeE1EN3c108BFloat16ELb1EfEEvPKT3_NS0_19TensorListAddressesEi.kd
    .uniform_work_group_size: 1
    .uses_dynamic_stack: false
    .vgpr_count:     9
    .vgpr_spill_count: 0
    .wavefront_size: 32
  - .args:
      - .address_space:  global
        .offset:         0
        .size:           8
        .value_kind:     global_buffer
      - .offset:         8
        .size:           3200
        .value_kind:     by_value
      - .offset:         3208
        .size:           4
        .value_kind:     by_value
      - .offset:         3216
        .size:           4
        .value_kind:     hidden_block_count_x
      - .offset:         3220
        .size:           4
        .value_kind:     hidden_block_count_y
      - .offset:         3224
        .size:           4
        .value_kind:     hidden_block_count_z
      - .offset:         3228
        .size:           2
        .value_kind:     hidden_group_size_x
      - .offset:         3230
        .size:           2
        .value_kind:     hidden_group_size_y
      - .offset:         3232
        .size:           2
        .value_kind:     hidden_group_size_z
      - .offset:         3234
        .size:           2
        .value_kind:     hidden_remainder_x
      - .offset:         3236
        .size:           2
        .value_kind:     hidden_remainder_y
      - .offset:         3238
        .size:           2
        .value_kind:     hidden_remainder_z
      - .offset:         3256
        .size:           8
        .value_kind:     hidden_global_offset_x
      - .offset:         3264
        .size:           8
        .value_kind:     hidden_global_offset_y
      - .offset:         3272
        .size:           8
        .value_kind:     hidden_global_offset_z
      - .offset:         3280
        .size:           2
        .value_kind:     hidden_grid_dims
    .group_segment_fixed_size: 2048
    .kernarg_segment_align: 8
    .kernarg_segment_size: 3472
    .language:       OpenCL C
    .language_version:
      - 2
      - 0
    .max_flat_workgroup_size: 1024
    .name:           _ZN2at6native14lpnorm_cleanupIdLNS0_8NormTypeE2EN3c108BFloat16ELb1EfEEvPKT3_NS0_19TensorListAddressesEi
    .private_segment_fixed_size: 0
    .sgpr_count:     14
    .sgpr_spill_count: 0
    .symbol:         _ZN2at6native14lpnorm_cleanupIdLNS0_8NormTypeE2EN3c108BFloat16ELb1EfEEvPKT3_NS0_19TensorListAddressesEi.kd
    .uniform_work_group_size: 1
    .uses_dynamic_stack: false
    .vgpr_count:     9
    .vgpr_spill_count: 0
    .wavefront_size: 32
  - .args:
      - .address_space:  global
        .offset:         0
        .size:           8
        .value_kind:     global_buffer
      - .offset:         8
        .size:           3200
        .value_kind:     by_value
      - .offset:         3208
        .size:           4
        .value_kind:     by_value
      - .offset:         3216
        .size:           4
        .value_kind:     hidden_block_count_x
      - .offset:         3220
        .size:           4
        .value_kind:     hidden_block_count_y
      - .offset:         3224
        .size:           4
        .value_kind:     hidden_block_count_z
      - .offset:         3228
        .size:           2
        .value_kind:     hidden_group_size_x
      - .offset:         3230
        .size:           2
        .value_kind:     hidden_group_size_y
      - .offset:         3232
        .size:           2
        .value_kind:     hidden_group_size_z
      - .offset:         3234
        .size:           2
        .value_kind:     hidden_remainder_x
      - .offset:         3236
        .size:           2
        .value_kind:     hidden_remainder_y
      - .offset:         3238
        .size:           2
        .value_kind:     hidden_remainder_z
      - .offset:         3256
        .size:           8
        .value_kind:     hidden_global_offset_x
      - .offset:         3264
        .size:           8
        .value_kind:     hidden_global_offset_y
      - .offset:         3272
        .size:           8
        .value_kind:     hidden_global_offset_z
      - .offset:         3280
        .size:           2
        .value_kind:     hidden_grid_dims
    .group_segment_fixed_size: 2048
    .kernarg_segment_align: 8
    .kernarg_segment_size: 3472
    .language:       OpenCL C
    .language_version:
      - 2
      - 0
    .max_flat_workgroup_size: 1024
    .name:           _ZN2at6native14lpnorm_cleanupIdLNS0_8NormTypeE3EN3c108BFloat16ELb1EfEEvPKT3_NS0_19TensorListAddressesEi
    .private_segment_fixed_size: 0
    .sgpr_count:     15
    .sgpr_spill_count: 0
    .symbol:         _ZN2at6native14lpnorm_cleanupIdLNS0_8NormTypeE3EN3c108BFloat16ELb1EfEEvPKT3_NS0_19TensorListAddressesEi.kd
    .uniform_work_group_size: 1
    .uses_dynamic_stack: false
    .vgpr_count:     9
    .vgpr_spill_count: 0
    .wavefront_size: 32
  - .args:
      - .offset:         0
        .size:           3368
        .value_kind:     by_value
      - .offset:         3368
        .size:           1
        .value_kind:     by_value
      - .address_space:  global
        .offset:         3376
        .size:           8
        .value_kind:     global_buffer
      - .offset:         3384
        .size:           4
        .value_kind:     by_value
      - .offset:         3392
        .size:           4
        .value_kind:     hidden_block_count_x
      - .offset:         3396
        .size:           4
        .value_kind:     hidden_block_count_y
      - .offset:         3400
        .size:           4
        .value_kind:     hidden_block_count_z
      - .offset:         3404
        .size:           2
        .value_kind:     hidden_group_size_x
      - .offset:         3406
        .size:           2
        .value_kind:     hidden_group_size_y
      - .offset:         3408
        .size:           2
        .value_kind:     hidden_group_size_z
      - .offset:         3410
        .size:           2
        .value_kind:     hidden_remainder_x
      - .offset:         3412
        .size:           2
        .value_kind:     hidden_remainder_y
      - .offset:         3414
        .size:           2
        .value_kind:     hidden_remainder_z
      - .offset:         3432
        .size:           8
        .value_kind:     hidden_global_offset_x
      - .offset:         3440
        .size:           8
        .value_kind:     hidden_global_offset_y
      - .offset:         3448
        .size:           8
        .value_kind:     hidden_global_offset_z
      - .offset:         3456
        .size:           2
        .value_kind:     hidden_grid_dims
    .group_segment_fixed_size: 4096
    .kernarg_segment_align: 8
    .kernarg_segment_size: 3648
    .language:       OpenCL C
    .language_version:
      - 2
      - 0
    .max_flat_workgroup_size: 512
    .name:           _ZN2at6native12_GLOBAL__N_125multi_tensor_apply_kernelINS1_18TensorListMetadataILi1EEENS0_13LpNormFunctorIfLNS0_8NormTypeE0EdLi1ELi1ELi0EEEJPdiEEEvT_T0_DpT1_
    .private_segment_fixed_size: 0
    .sgpr_count:     16
    .sgpr_spill_count: 0
    .symbol:         _ZN2at6native12_GLOBAL__N_125multi_tensor_apply_kernelINS1_18TensorListMetadataILi1EEENS0_13LpNormFunctorIfLNS0_8NormTypeE0EdLi1ELi1ELi0EEEJPdiEEEvT_T0_DpT1_.kd
    .uniform_work_group_size: 1
    .uses_dynamic_stack: false
    .vgpr_count:     26
    .vgpr_spill_count: 0
    .wavefront_size: 32
  - .args:
      - .offset:         0
        .size:           3368
        .value_kind:     by_value
      - .offset:         3368
        .size:           1
        .value_kind:     by_value
      - .address_space:  global
        .offset:         3376
        .size:           8
        .value_kind:     global_buffer
      - .offset:         3384
        .size:           4
        .value_kind:     by_value
      - .offset:         3392
        .size:           4
        .value_kind:     hidden_block_count_x
      - .offset:         3396
        .size:           4
        .value_kind:     hidden_block_count_y
      - .offset:         3400
        .size:           4
        .value_kind:     hidden_block_count_z
      - .offset:         3404
        .size:           2
        .value_kind:     hidden_group_size_x
      - .offset:         3406
        .size:           2
        .value_kind:     hidden_group_size_y
      - .offset:         3408
        .size:           2
        .value_kind:     hidden_group_size_z
      - .offset:         3410
        .size:           2
        .value_kind:     hidden_remainder_x
      - .offset:         3412
        .size:           2
        .value_kind:     hidden_remainder_y
      - .offset:         3414
        .size:           2
        .value_kind:     hidden_remainder_z
      - .offset:         3432
        .size:           8
        .value_kind:     hidden_global_offset_x
      - .offset:         3440
        .size:           8
        .value_kind:     hidden_global_offset_y
      - .offset:         3448
        .size:           8
        .value_kind:     hidden_global_offset_z
      - .offset:         3456
        .size:           2
        .value_kind:     hidden_grid_dims
    .group_segment_fixed_size: 4096
    .kernarg_segment_align: 8
    .kernarg_segment_size: 3648
    .language:       OpenCL C
    .language_version:
      - 2
      - 0
    .max_flat_workgroup_size: 512
    .name:           _ZN2at6native12_GLOBAL__N_125multi_tensor_apply_kernelINS1_18TensorListMetadataILi1EEENS0_13LpNormFunctorIfLNS0_8NormTypeE1EdLi1ELi1ELi0EEEJPdiEEEvT_T0_DpT1_
    .private_segment_fixed_size: 0
    .sgpr_count:     16
    .sgpr_spill_count: 0
    .symbol:         _ZN2at6native12_GLOBAL__N_125multi_tensor_apply_kernelINS1_18TensorListMetadataILi1EEENS0_13LpNormFunctorIfLNS0_8NormTypeE1EdLi1ELi1ELi0EEEJPdiEEEvT_T0_DpT1_.kd
    .uniform_work_group_size: 1
    .uses_dynamic_stack: false
    .vgpr_count:     26
    .vgpr_spill_count: 0
    .wavefront_size: 32
  - .args:
      - .offset:         0
        .size:           3368
        .value_kind:     by_value
      - .offset:         3368
        .size:           1
        .value_kind:     by_value
      - .address_space:  global
        .offset:         3376
        .size:           8
        .value_kind:     global_buffer
      - .offset:         3384
        .size:           4
        .value_kind:     by_value
      - .offset:         3392
        .size:           4
        .value_kind:     hidden_block_count_x
      - .offset:         3396
        .size:           4
        .value_kind:     hidden_block_count_y
      - .offset:         3400
        .size:           4
        .value_kind:     hidden_block_count_z
      - .offset:         3404
        .size:           2
        .value_kind:     hidden_group_size_x
      - .offset:         3406
        .size:           2
        .value_kind:     hidden_group_size_y
      - .offset:         3408
        .size:           2
        .value_kind:     hidden_group_size_z
      - .offset:         3410
        .size:           2
        .value_kind:     hidden_remainder_x
      - .offset:         3412
        .size:           2
        .value_kind:     hidden_remainder_y
      - .offset:         3414
        .size:           2
        .value_kind:     hidden_remainder_z
      - .offset:         3432
        .size:           8
        .value_kind:     hidden_global_offset_x
      - .offset:         3440
        .size:           8
        .value_kind:     hidden_global_offset_y
      - .offset:         3448
        .size:           8
        .value_kind:     hidden_global_offset_z
      - .offset:         3456
        .size:           2
        .value_kind:     hidden_grid_dims
    .group_segment_fixed_size: 4096
    .kernarg_segment_align: 8
    .kernarg_segment_size: 3648
    .language:       OpenCL C
    .language_version:
      - 2
      - 0
    .max_flat_workgroup_size: 512
    .name:           _ZN2at6native12_GLOBAL__N_125multi_tensor_apply_kernelINS1_18TensorListMetadataILi1EEENS0_13LpNormFunctorIfLNS0_8NormTypeE2EdLi1ELi1ELi0EEEJPdiEEEvT_T0_DpT1_
    .private_segment_fixed_size: 0
    .sgpr_count:     16
    .sgpr_spill_count: 0
    .symbol:         _ZN2at6native12_GLOBAL__N_125multi_tensor_apply_kernelINS1_18TensorListMetadataILi1EEENS0_13LpNormFunctorIfLNS0_8NormTypeE2EdLi1ELi1ELi0EEEJPdiEEEvT_T0_DpT1_.kd
    .uniform_work_group_size: 1
    .uses_dynamic_stack: false
    .vgpr_count:     26
    .vgpr_spill_count: 0
    .wavefront_size: 32
  - .args:
      - .offset:         0
        .size:           3368
        .value_kind:     by_value
      - .offset:         3368
        .size:           1
        .value_kind:     by_value
      - .address_space:  global
        .offset:         3376
        .size:           8
        .value_kind:     global_buffer
      - .offset:         3384
        .size:           4
        .value_kind:     by_value
      - .offset:         3392
        .size:           4
        .value_kind:     hidden_block_count_x
      - .offset:         3396
        .size:           4
        .value_kind:     hidden_block_count_y
      - .offset:         3400
        .size:           4
        .value_kind:     hidden_block_count_z
      - .offset:         3404
        .size:           2
        .value_kind:     hidden_group_size_x
      - .offset:         3406
        .size:           2
        .value_kind:     hidden_group_size_y
      - .offset:         3408
        .size:           2
        .value_kind:     hidden_group_size_z
      - .offset:         3410
        .size:           2
        .value_kind:     hidden_remainder_x
      - .offset:         3412
        .size:           2
        .value_kind:     hidden_remainder_y
      - .offset:         3414
        .size:           2
        .value_kind:     hidden_remainder_z
      - .offset:         3432
        .size:           8
        .value_kind:     hidden_global_offset_x
      - .offset:         3440
        .size:           8
        .value_kind:     hidden_global_offset_y
      - .offset:         3448
        .size:           8
        .value_kind:     hidden_global_offset_z
      - .offset:         3456
        .size:           2
        .value_kind:     hidden_grid_dims
    .group_segment_fixed_size: 4096
    .kernarg_segment_align: 8
    .kernarg_segment_size: 3648
    .language:       OpenCL C
    .language_version:
      - 2
      - 0
    .max_flat_workgroup_size: 512
    .name:           _ZN2at6native12_GLOBAL__N_125multi_tensor_apply_kernelINS1_18TensorListMetadataILi1EEENS0_13LpNormFunctorIfLNS0_8NormTypeE3EdLi1ELi1ELi0EEEJPdiEEEvT_T0_DpT1_
    .private_segment_fixed_size: 0
    .sgpr_count:     19
    .sgpr_spill_count: 0
    .symbol:         _ZN2at6native12_GLOBAL__N_125multi_tensor_apply_kernelINS1_18TensorListMetadataILi1EEENS0_13LpNormFunctorIfLNS0_8NormTypeE3EdLi1ELi1ELi0EEEJPdiEEEvT_T0_DpT1_.kd
    .uniform_work_group_size: 1
    .uses_dynamic_stack: false
    .vgpr_count:     32
    .vgpr_spill_count: 0
    .wavefront_size: 32
  - .args:
      - .address_space:  global
        .offset:         0
        .size:           8
        .value_kind:     global_buffer
      - .offset:         8
        .size:           3200
        .value_kind:     by_value
      - .offset:         3208
        .size:           4
        .value_kind:     by_value
      - .offset:         3216
        .size:           4
        .value_kind:     hidden_block_count_x
      - .offset:         3220
        .size:           4
        .value_kind:     hidden_block_count_y
      - .offset:         3224
        .size:           4
        .value_kind:     hidden_block_count_z
      - .offset:         3228
        .size:           2
        .value_kind:     hidden_group_size_x
      - .offset:         3230
        .size:           2
        .value_kind:     hidden_group_size_y
      - .offset:         3232
        .size:           2
        .value_kind:     hidden_group_size_z
      - .offset:         3234
        .size:           2
        .value_kind:     hidden_remainder_x
      - .offset:         3236
        .size:           2
        .value_kind:     hidden_remainder_y
      - .offset:         3238
        .size:           2
        .value_kind:     hidden_remainder_z
      - .offset:         3256
        .size:           8
        .value_kind:     hidden_global_offset_x
      - .offset:         3264
        .size:           8
        .value_kind:     hidden_global_offset_y
      - .offset:         3272
        .size:           8
        .value_kind:     hidden_global_offset_z
      - .offset:         3280
        .size:           2
        .value_kind:     hidden_grid_dims
    .group_segment_fixed_size: 4096
    .kernarg_segment_align: 8
    .kernarg_segment_size: 3472
    .language:       OpenCL C
    .language_version:
      - 2
      - 0
    .max_flat_workgroup_size: 1024
    .name:           _ZN2at6native14lpnorm_cleanupIfLNS0_8NormTypeE0EdLb1EdEEvPKT3_NS0_19TensorListAddressesEi
    .private_segment_fixed_size: 0
    .sgpr_count:     14
    .sgpr_spill_count: 0
    .symbol:         _ZN2at6native14lpnorm_cleanupIfLNS0_8NormTypeE0EdLb1EdEEvPKT3_NS0_19TensorListAddressesEi.kd
    .uniform_work_group_size: 1
    .uses_dynamic_stack: false
    .vgpr_count:     11
    .vgpr_spill_count: 0
    .wavefront_size: 32
  - .args:
      - .address_space:  global
        .offset:         0
        .size:           8
        .value_kind:     global_buffer
      - .offset:         8
        .size:           3200
        .value_kind:     by_value
      - .offset:         3208
        .size:           4
        .value_kind:     by_value
      - .offset:         3216
        .size:           4
        .value_kind:     hidden_block_count_x
      - .offset:         3220
        .size:           4
        .value_kind:     hidden_block_count_y
      - .offset:         3224
        .size:           4
        .value_kind:     hidden_block_count_z
      - .offset:         3228
        .size:           2
        .value_kind:     hidden_group_size_x
      - .offset:         3230
        .size:           2
        .value_kind:     hidden_group_size_y
      - .offset:         3232
        .size:           2
        .value_kind:     hidden_group_size_z
      - .offset:         3234
        .size:           2
        .value_kind:     hidden_remainder_x
      - .offset:         3236
        .size:           2
        .value_kind:     hidden_remainder_y
      - .offset:         3238
        .size:           2
        .value_kind:     hidden_remainder_z
      - .offset:         3256
        .size:           8
        .value_kind:     hidden_global_offset_x
      - .offset:         3264
        .size:           8
        .value_kind:     hidden_global_offset_y
      - .offset:         3272
        .size:           8
        .value_kind:     hidden_global_offset_z
      - .offset:         3280
        .size:           2
        .value_kind:     hidden_grid_dims
    .group_segment_fixed_size: 4096
    .kernarg_segment_align: 8
    .kernarg_segment_size: 3472
    .language:       OpenCL C
    .language_version:
      - 2
      - 0
    .max_flat_workgroup_size: 1024
    .name:           _ZN2at6native14lpnorm_cleanupIfLNS0_8NormTypeE1EdLb1EdEEvPKT3_NS0_19TensorListAddressesEi
    .private_segment_fixed_size: 0
    .sgpr_count:     14
    .sgpr_spill_count: 0
    .symbol:         _ZN2at6native14lpnorm_cleanupIfLNS0_8NormTypeE1EdLb1EdEEvPKT3_NS0_19TensorListAddressesEi.kd
    .uniform_work_group_size: 1
    .uses_dynamic_stack: false
    .vgpr_count:     11
    .vgpr_spill_count: 0
    .wavefront_size: 32
  - .args:
      - .address_space:  global
        .offset:         0
        .size:           8
        .value_kind:     global_buffer
      - .offset:         8
        .size:           3200
        .value_kind:     by_value
      - .offset:         3208
        .size:           4
        .value_kind:     by_value
      - .offset:         3216
        .size:           4
        .value_kind:     hidden_block_count_x
      - .offset:         3220
        .size:           4
        .value_kind:     hidden_block_count_y
      - .offset:         3224
        .size:           4
        .value_kind:     hidden_block_count_z
      - .offset:         3228
        .size:           2
        .value_kind:     hidden_group_size_x
      - .offset:         3230
        .size:           2
        .value_kind:     hidden_group_size_y
      - .offset:         3232
        .size:           2
        .value_kind:     hidden_group_size_z
      - .offset:         3234
        .size:           2
        .value_kind:     hidden_remainder_x
      - .offset:         3236
        .size:           2
        .value_kind:     hidden_remainder_y
      - .offset:         3238
        .size:           2
        .value_kind:     hidden_remainder_z
      - .offset:         3256
        .size:           8
        .value_kind:     hidden_global_offset_x
      - .offset:         3264
        .size:           8
        .value_kind:     hidden_global_offset_y
      - .offset:         3272
        .size:           8
        .value_kind:     hidden_global_offset_z
      - .offset:         3280
        .size:           2
        .value_kind:     hidden_grid_dims
    .group_segment_fixed_size: 4096
    .kernarg_segment_align: 8
    .kernarg_segment_size: 3472
    .language:       OpenCL C
    .language_version:
      - 2
      - 0
    .max_flat_workgroup_size: 1024
    .name:           _ZN2at6native14lpnorm_cleanupIfLNS0_8NormTypeE2EdLb1EdEEvPKT3_NS0_19TensorListAddressesEi
    .private_segment_fixed_size: 0
    .sgpr_count:     14
    .sgpr_spill_count: 0
    .symbol:         _ZN2at6native14lpnorm_cleanupIfLNS0_8NormTypeE2EdLb1EdEEvPKT3_NS0_19TensorListAddressesEi.kd
    .uniform_work_group_size: 1
    .uses_dynamic_stack: false
    .vgpr_count:     11
    .vgpr_spill_count: 0
    .wavefront_size: 32
  - .args:
      - .address_space:  global
        .offset:         0
        .size:           8
        .value_kind:     global_buffer
      - .offset:         8
        .size:           3200
        .value_kind:     by_value
      - .offset:         3208
        .size:           4
        .value_kind:     by_value
      - .offset:         3216
        .size:           4
        .value_kind:     hidden_block_count_x
      - .offset:         3220
        .size:           4
        .value_kind:     hidden_block_count_y
      - .offset:         3224
        .size:           4
        .value_kind:     hidden_block_count_z
      - .offset:         3228
        .size:           2
        .value_kind:     hidden_group_size_x
      - .offset:         3230
        .size:           2
        .value_kind:     hidden_group_size_y
      - .offset:         3232
        .size:           2
        .value_kind:     hidden_group_size_z
      - .offset:         3234
        .size:           2
        .value_kind:     hidden_remainder_x
      - .offset:         3236
        .size:           2
        .value_kind:     hidden_remainder_y
      - .offset:         3238
        .size:           2
        .value_kind:     hidden_remainder_z
      - .offset:         3256
        .size:           8
        .value_kind:     hidden_global_offset_x
      - .offset:         3264
        .size:           8
        .value_kind:     hidden_global_offset_y
      - .offset:         3272
        .size:           8
        .value_kind:     hidden_global_offset_z
      - .offset:         3280
        .size:           2
        .value_kind:     hidden_grid_dims
    .group_segment_fixed_size: 4096
    .kernarg_segment_align: 8
    .kernarg_segment_size: 3472
    .language:       OpenCL C
    .language_version:
      - 2
      - 0
    .max_flat_workgroup_size: 1024
    .name:           _ZN2at6native14lpnorm_cleanupIfLNS0_8NormTypeE3EdLb1EdEEvPKT3_NS0_19TensorListAddressesEi
    .private_segment_fixed_size: 0
    .sgpr_count:     15
    .sgpr_spill_count: 0
    .symbol:         _ZN2at6native14lpnorm_cleanupIfLNS0_8NormTypeE3EdLb1EdEEvPKT3_NS0_19TensorListAddressesEi.kd
    .uniform_work_group_size: 1
    .uses_dynamic_stack: false
    .vgpr_count:     12
    .vgpr_spill_count: 0
    .wavefront_size: 32
  - .args:
      - .offset:         0
        .size:           3368
        .value_kind:     by_value
      - .offset:         3368
        .size:           1
        .value_kind:     by_value
      - .address_space:  global
        .offset:         3376
        .size:           8
        .value_kind:     global_buffer
      - .offset:         3384
        .size:           4
        .value_kind:     by_value
      - .offset:         3392
        .size:           4
        .value_kind:     hidden_block_count_x
      - .offset:         3396
        .size:           4
        .value_kind:     hidden_block_count_y
      - .offset:         3400
        .size:           4
        .value_kind:     hidden_block_count_z
      - .offset:         3404
        .size:           2
        .value_kind:     hidden_group_size_x
      - .offset:         3406
        .size:           2
        .value_kind:     hidden_group_size_y
      - .offset:         3408
        .size:           2
        .value_kind:     hidden_group_size_z
      - .offset:         3410
        .size:           2
        .value_kind:     hidden_remainder_x
      - .offset:         3412
        .size:           2
        .value_kind:     hidden_remainder_y
      - .offset:         3414
        .size:           2
        .value_kind:     hidden_remainder_z
      - .offset:         3432
        .size:           8
        .value_kind:     hidden_global_offset_x
      - .offset:         3440
        .size:           8
        .value_kind:     hidden_global_offset_y
      - .offset:         3448
        .size:           8
        .value_kind:     hidden_global_offset_z
      - .offset:         3456
        .size:           2
        .value_kind:     hidden_grid_dims
    .group_segment_fixed_size: 2048
    .kernarg_segment_align: 8
    .kernarg_segment_size: 3648
    .language:       OpenCL C
    .language_version:
      - 2
      - 0
    .max_flat_workgroup_size: 512
    .name:           _ZN2at6native12_GLOBAL__N_125multi_tensor_apply_kernelINS1_18TensorListMetadataILi1EEENS0_13LpNormFunctorIfLNS0_8NormTypeE0EfLi1ELi1ELi0EEEJPfiEEEvT_T0_DpT1_
    .private_segment_fixed_size: 0
    .sgpr_count:     16
    .sgpr_spill_count: 0
    .symbol:         _ZN2at6native12_GLOBAL__N_125multi_tensor_apply_kernelINS1_18TensorListMetadataILi1EEENS0_13LpNormFunctorIfLNS0_8NormTypeE0EfLi1ELi1ELi0EEEJPfiEEEvT_T0_DpT1_.kd
    .uniform_work_group_size: 1
    .uses_dynamic_stack: false
    .vgpr_count:     20
    .vgpr_spill_count: 0
    .wavefront_size: 32
  - .args:
      - .offset:         0
        .size:           3368
        .value_kind:     by_value
      - .offset:         3368
        .size:           1
        .value_kind:     by_value
      - .address_space:  global
        .offset:         3376
        .size:           8
        .value_kind:     global_buffer
      - .offset:         3384
        .size:           4
        .value_kind:     by_value
      - .offset:         3392
        .size:           4
        .value_kind:     hidden_block_count_x
      - .offset:         3396
        .size:           4
        .value_kind:     hidden_block_count_y
      - .offset:         3400
        .size:           4
        .value_kind:     hidden_block_count_z
      - .offset:         3404
        .size:           2
        .value_kind:     hidden_group_size_x
      - .offset:         3406
        .size:           2
        .value_kind:     hidden_group_size_y
      - .offset:         3408
        .size:           2
        .value_kind:     hidden_group_size_z
      - .offset:         3410
        .size:           2
        .value_kind:     hidden_remainder_x
      - .offset:         3412
        .size:           2
        .value_kind:     hidden_remainder_y
      - .offset:         3414
        .size:           2
        .value_kind:     hidden_remainder_z
      - .offset:         3432
        .size:           8
        .value_kind:     hidden_global_offset_x
      - .offset:         3440
        .size:           8
        .value_kind:     hidden_global_offset_y
      - .offset:         3448
        .size:           8
        .value_kind:     hidden_global_offset_z
      - .offset:         3456
        .size:           2
        .value_kind:     hidden_grid_dims
    .group_segment_fixed_size: 2048
    .kernarg_segment_align: 8
    .kernarg_segment_size: 3648
    .language:       OpenCL C
    .language_version:
      - 2
      - 0
    .max_flat_workgroup_size: 512
    .name:           _ZN2at6native12_GLOBAL__N_125multi_tensor_apply_kernelINS1_18TensorListMetadataILi1EEENS0_13LpNormFunctorIfLNS0_8NormTypeE1EfLi1ELi1ELi0EEEJPfiEEEvT_T0_DpT1_
    .private_segment_fixed_size: 0
    .sgpr_count:     16
    .sgpr_spill_count: 0
    .symbol:         _ZN2at6native12_GLOBAL__N_125multi_tensor_apply_kernelINS1_18TensorListMetadataILi1EEENS0_13LpNormFunctorIfLNS0_8NormTypeE1EfLi1ELi1ELi0EEEJPfiEEEvT_T0_DpT1_.kd
    .uniform_work_group_size: 1
    .uses_dynamic_stack: false
    .vgpr_count:     20
    .vgpr_spill_count: 0
    .wavefront_size: 32
  - .args:
      - .offset:         0
        .size:           3368
        .value_kind:     by_value
      - .offset:         3368
        .size:           1
        .value_kind:     by_value
      - .address_space:  global
        .offset:         3376
        .size:           8
        .value_kind:     global_buffer
      - .offset:         3384
        .size:           4
        .value_kind:     by_value
      - .offset:         3392
        .size:           4
        .value_kind:     hidden_block_count_x
      - .offset:         3396
        .size:           4
        .value_kind:     hidden_block_count_y
      - .offset:         3400
        .size:           4
        .value_kind:     hidden_block_count_z
      - .offset:         3404
        .size:           2
        .value_kind:     hidden_group_size_x
      - .offset:         3406
        .size:           2
        .value_kind:     hidden_group_size_y
      - .offset:         3408
        .size:           2
        .value_kind:     hidden_group_size_z
      - .offset:         3410
        .size:           2
        .value_kind:     hidden_remainder_x
      - .offset:         3412
        .size:           2
        .value_kind:     hidden_remainder_y
      - .offset:         3414
        .size:           2
        .value_kind:     hidden_remainder_z
      - .offset:         3432
        .size:           8
        .value_kind:     hidden_global_offset_x
      - .offset:         3440
        .size:           8
        .value_kind:     hidden_global_offset_y
      - .offset:         3448
        .size:           8
        .value_kind:     hidden_global_offset_z
      - .offset:         3456
        .size:           2
        .value_kind:     hidden_grid_dims
    .group_segment_fixed_size: 2048
    .kernarg_segment_align: 8
    .kernarg_segment_size: 3648
    .language:       OpenCL C
    .language_version:
      - 2
      - 0
    .max_flat_workgroup_size: 512
    .name:           _ZN2at6native12_GLOBAL__N_125multi_tensor_apply_kernelINS1_18TensorListMetadataILi1EEENS0_13LpNormFunctorIfLNS0_8NormTypeE2EfLi1ELi1ELi0EEEJPfiEEEvT_T0_DpT1_
    .private_segment_fixed_size: 0
    .sgpr_count:     16
    .sgpr_spill_count: 0
    .symbol:         _ZN2at6native12_GLOBAL__N_125multi_tensor_apply_kernelINS1_18TensorListMetadataILi1EEENS0_13LpNormFunctorIfLNS0_8NormTypeE2EfLi1ELi1ELi0EEEJPfiEEEvT_T0_DpT1_.kd
    .uniform_work_group_size: 1
    .uses_dynamic_stack: false
    .vgpr_count:     20
    .vgpr_spill_count: 0
    .wavefront_size: 32
  - .args:
      - .offset:         0
        .size:           3368
        .value_kind:     by_value
      - .offset:         3368
        .size:           1
        .value_kind:     by_value
      - .address_space:  global
        .offset:         3376
        .size:           8
        .value_kind:     global_buffer
      - .offset:         3384
        .size:           4
        .value_kind:     by_value
      - .offset:         3392
        .size:           4
        .value_kind:     hidden_block_count_x
      - .offset:         3396
        .size:           4
        .value_kind:     hidden_block_count_y
      - .offset:         3400
        .size:           4
        .value_kind:     hidden_block_count_z
      - .offset:         3404
        .size:           2
        .value_kind:     hidden_group_size_x
      - .offset:         3406
        .size:           2
        .value_kind:     hidden_group_size_y
      - .offset:         3408
        .size:           2
        .value_kind:     hidden_group_size_z
      - .offset:         3410
        .size:           2
        .value_kind:     hidden_remainder_x
      - .offset:         3412
        .size:           2
        .value_kind:     hidden_remainder_y
      - .offset:         3414
        .size:           2
        .value_kind:     hidden_remainder_z
      - .offset:         3432
        .size:           8
        .value_kind:     hidden_global_offset_x
      - .offset:         3440
        .size:           8
        .value_kind:     hidden_global_offset_y
      - .offset:         3448
        .size:           8
        .value_kind:     hidden_global_offset_z
      - .offset:         3456
        .size:           2
        .value_kind:     hidden_grid_dims
    .group_segment_fixed_size: 2048
    .kernarg_segment_align: 8
    .kernarg_segment_size: 3648
    .language:       OpenCL C
    .language_version:
      - 2
      - 0
    .max_flat_workgroup_size: 512
    .name:           _ZN2at6native12_GLOBAL__N_125multi_tensor_apply_kernelINS1_18TensorListMetadataILi1EEENS0_13LpNormFunctorIfLNS0_8NormTypeE3EfLi1ELi1ELi0EEEJPfiEEEvT_T0_DpT1_
    .private_segment_fixed_size: 0
    .sgpr_count:     19
    .sgpr_spill_count: 0
    .symbol:         _ZN2at6native12_GLOBAL__N_125multi_tensor_apply_kernelINS1_18TensorListMetadataILi1EEENS0_13LpNormFunctorIfLNS0_8NormTypeE3EfLi1ELi1ELi0EEEJPfiEEEvT_T0_DpT1_.kd
    .uniform_work_group_size: 1
    .uses_dynamic_stack: false
    .vgpr_count:     22
    .vgpr_spill_count: 0
    .wavefront_size: 32
  - .args:
      - .address_space:  global
        .offset:         0
        .size:           8
        .value_kind:     global_buffer
      - .offset:         8
        .size:           3200
        .value_kind:     by_value
      - .offset:         3208
        .size:           4
        .value_kind:     by_value
      - .offset:         3216
        .size:           4
        .value_kind:     hidden_block_count_x
      - .offset:         3220
        .size:           4
        .value_kind:     hidden_block_count_y
      - .offset:         3224
        .size:           4
        .value_kind:     hidden_block_count_z
      - .offset:         3228
        .size:           2
        .value_kind:     hidden_group_size_x
      - .offset:         3230
        .size:           2
        .value_kind:     hidden_group_size_y
      - .offset:         3232
        .size:           2
        .value_kind:     hidden_group_size_z
      - .offset:         3234
        .size:           2
        .value_kind:     hidden_remainder_x
      - .offset:         3236
        .size:           2
        .value_kind:     hidden_remainder_y
      - .offset:         3238
        .size:           2
        .value_kind:     hidden_remainder_z
      - .offset:         3256
        .size:           8
        .value_kind:     hidden_global_offset_x
      - .offset:         3264
        .size:           8
        .value_kind:     hidden_global_offset_y
      - .offset:         3272
        .size:           8
        .value_kind:     hidden_global_offset_z
      - .offset:         3280
        .size:           2
        .value_kind:     hidden_grid_dims
    .group_segment_fixed_size: 2048
    .kernarg_segment_align: 8
    .kernarg_segment_size: 3472
    .language:       OpenCL C
    .language_version:
      - 2
      - 0
    .max_flat_workgroup_size: 1024
    .name:           _ZN2at6native14lpnorm_cleanupIfLNS0_8NormTypeE0EfLb1EfEEvPKT3_NS0_19TensorListAddressesEi
    .private_segment_fixed_size: 0
    .sgpr_count:     14
    .sgpr_spill_count: 0
    .symbol:         _ZN2at6native14lpnorm_cleanupIfLNS0_8NormTypeE0EfLb1EfEEvPKT3_NS0_19TensorListAddressesEi.kd
    .uniform_work_group_size: 1
    .uses_dynamic_stack: false
    .vgpr_count:     9
    .vgpr_spill_count: 0
    .wavefront_size: 32
  - .args:
      - .address_space:  global
        .offset:         0
        .size:           8
        .value_kind:     global_buffer
      - .offset:         8
        .size:           3200
        .value_kind:     by_value
      - .offset:         3208
        .size:           4
        .value_kind:     by_value
      - .offset:         3216
        .size:           4
        .value_kind:     hidden_block_count_x
      - .offset:         3220
        .size:           4
        .value_kind:     hidden_block_count_y
      - .offset:         3224
        .size:           4
        .value_kind:     hidden_block_count_z
      - .offset:         3228
        .size:           2
        .value_kind:     hidden_group_size_x
      - .offset:         3230
        .size:           2
        .value_kind:     hidden_group_size_y
      - .offset:         3232
        .size:           2
        .value_kind:     hidden_group_size_z
      - .offset:         3234
        .size:           2
        .value_kind:     hidden_remainder_x
      - .offset:         3236
        .size:           2
        .value_kind:     hidden_remainder_y
      - .offset:         3238
        .size:           2
        .value_kind:     hidden_remainder_z
      - .offset:         3256
        .size:           8
        .value_kind:     hidden_global_offset_x
      - .offset:         3264
        .size:           8
        .value_kind:     hidden_global_offset_y
      - .offset:         3272
        .size:           8
        .value_kind:     hidden_global_offset_z
      - .offset:         3280
        .size:           2
        .value_kind:     hidden_grid_dims
    .group_segment_fixed_size: 2048
    .kernarg_segment_align: 8
    .kernarg_segment_size: 3472
    .language:       OpenCL C
    .language_version:
      - 2
      - 0
    .max_flat_workgroup_size: 1024
    .name:           _ZN2at6native14lpnorm_cleanupIfLNS0_8NormTypeE1EfLb1EfEEvPKT3_NS0_19TensorListAddressesEi
    .private_segment_fixed_size: 0
    .sgpr_count:     14
    .sgpr_spill_count: 0
    .symbol:         _ZN2at6native14lpnorm_cleanupIfLNS0_8NormTypeE1EfLb1EfEEvPKT3_NS0_19TensorListAddressesEi.kd
    .uniform_work_group_size: 1
    .uses_dynamic_stack: false
    .vgpr_count:     9
    .vgpr_spill_count: 0
    .wavefront_size: 32
  - .args:
      - .address_space:  global
        .offset:         0
        .size:           8
        .value_kind:     global_buffer
      - .offset:         8
        .size:           3200
        .value_kind:     by_value
      - .offset:         3208
        .size:           4
        .value_kind:     by_value
      - .offset:         3216
        .size:           4
        .value_kind:     hidden_block_count_x
      - .offset:         3220
        .size:           4
        .value_kind:     hidden_block_count_y
      - .offset:         3224
        .size:           4
        .value_kind:     hidden_block_count_z
      - .offset:         3228
        .size:           2
        .value_kind:     hidden_group_size_x
      - .offset:         3230
        .size:           2
        .value_kind:     hidden_group_size_y
      - .offset:         3232
        .size:           2
        .value_kind:     hidden_group_size_z
      - .offset:         3234
        .size:           2
        .value_kind:     hidden_remainder_x
      - .offset:         3236
        .size:           2
        .value_kind:     hidden_remainder_y
      - .offset:         3238
        .size:           2
        .value_kind:     hidden_remainder_z
      - .offset:         3256
        .size:           8
        .value_kind:     hidden_global_offset_x
      - .offset:         3264
        .size:           8
        .value_kind:     hidden_global_offset_y
      - .offset:         3272
        .size:           8
        .value_kind:     hidden_global_offset_z
      - .offset:         3280
        .size:           2
        .value_kind:     hidden_grid_dims
    .group_segment_fixed_size: 2048
    .kernarg_segment_align: 8
    .kernarg_segment_size: 3472
    .language:       OpenCL C
    .language_version:
      - 2
      - 0
    .max_flat_workgroup_size: 1024
    .name:           _ZN2at6native14lpnorm_cleanupIfLNS0_8NormTypeE2EfLb1EfEEvPKT3_NS0_19TensorListAddressesEi
    .private_segment_fixed_size: 0
    .sgpr_count:     14
    .sgpr_spill_count: 0
    .symbol:         _ZN2at6native14lpnorm_cleanupIfLNS0_8NormTypeE2EfLb1EfEEvPKT3_NS0_19TensorListAddressesEi.kd
    .uniform_work_group_size: 1
    .uses_dynamic_stack: false
    .vgpr_count:     9
    .vgpr_spill_count: 0
    .wavefront_size: 32
  - .args:
      - .address_space:  global
        .offset:         0
        .size:           8
        .value_kind:     global_buffer
      - .offset:         8
        .size:           3200
        .value_kind:     by_value
      - .offset:         3208
        .size:           4
        .value_kind:     by_value
      - .offset:         3216
        .size:           4
        .value_kind:     hidden_block_count_x
      - .offset:         3220
        .size:           4
        .value_kind:     hidden_block_count_y
      - .offset:         3224
        .size:           4
        .value_kind:     hidden_block_count_z
      - .offset:         3228
        .size:           2
        .value_kind:     hidden_group_size_x
      - .offset:         3230
        .size:           2
        .value_kind:     hidden_group_size_y
      - .offset:         3232
        .size:           2
        .value_kind:     hidden_group_size_z
      - .offset:         3234
        .size:           2
        .value_kind:     hidden_remainder_x
      - .offset:         3236
        .size:           2
        .value_kind:     hidden_remainder_y
      - .offset:         3238
        .size:           2
        .value_kind:     hidden_remainder_z
      - .offset:         3256
        .size:           8
        .value_kind:     hidden_global_offset_x
      - .offset:         3264
        .size:           8
        .value_kind:     hidden_global_offset_y
      - .offset:         3272
        .size:           8
        .value_kind:     hidden_global_offset_z
      - .offset:         3280
        .size:           2
        .value_kind:     hidden_grid_dims
    .group_segment_fixed_size: 2048
    .kernarg_segment_align: 8
    .kernarg_segment_size: 3472
    .language:       OpenCL C
    .language_version:
      - 2
      - 0
    .max_flat_workgroup_size: 1024
    .name:           _ZN2at6native14lpnorm_cleanupIfLNS0_8NormTypeE3EfLb1EfEEvPKT3_NS0_19TensorListAddressesEi
    .private_segment_fixed_size: 0
    .sgpr_count:     15
    .sgpr_spill_count: 0
    .symbol:         _ZN2at6native14lpnorm_cleanupIfLNS0_8NormTypeE3EfLb1EfEEvPKT3_NS0_19TensorListAddressesEi.kd
    .uniform_work_group_size: 1
    .uses_dynamic_stack: false
    .vgpr_count:     9
    .vgpr_spill_count: 0
    .wavefront_size: 32
  - .args:
      - .offset:         0
        .size:           3368
        .value_kind:     by_value
      - .offset:         3368
        .size:           1
        .value_kind:     by_value
      - .address_space:  global
        .offset:         3376
        .size:           8
        .value_kind:     global_buffer
      - .offset:         3384
        .size:           4
        .value_kind:     by_value
      - .offset:         3392
        .size:           4
        .value_kind:     hidden_block_count_x
      - .offset:         3396
        .size:           4
        .value_kind:     hidden_block_count_y
      - .offset:         3400
        .size:           4
        .value_kind:     hidden_block_count_z
      - .offset:         3404
        .size:           2
        .value_kind:     hidden_group_size_x
      - .offset:         3406
        .size:           2
        .value_kind:     hidden_group_size_y
      - .offset:         3408
        .size:           2
        .value_kind:     hidden_group_size_z
      - .offset:         3410
        .size:           2
        .value_kind:     hidden_remainder_x
      - .offset:         3412
        .size:           2
        .value_kind:     hidden_remainder_y
      - .offset:         3414
        .size:           2
        .value_kind:     hidden_remainder_z
      - .offset:         3432
        .size:           8
        .value_kind:     hidden_global_offset_x
      - .offset:         3440
        .size:           8
        .value_kind:     hidden_global_offset_y
      - .offset:         3448
        .size:           8
        .value_kind:     hidden_global_offset_z
      - .offset:         3456
        .size:           2
        .value_kind:     hidden_grid_dims
    .group_segment_fixed_size: 2048
    .kernarg_segment_align: 8
    .kernarg_segment_size: 3648
    .language:       OpenCL C
    .language_version:
      - 2
      - 0
    .max_flat_workgroup_size: 512
    .name:           _ZN2at6native12_GLOBAL__N_125multi_tensor_apply_kernelINS1_18TensorListMetadataILi1EEENS0_13LpNormFunctorIfLNS0_8NormTypeE0EN3c104HalfELi1ELi1ELi0EEEJPfiEEEvT_T0_DpT1_
    .private_segment_fixed_size: 0
    .sgpr_count:     16
    .sgpr_spill_count: 0
    .symbol:         _ZN2at6native12_GLOBAL__N_125multi_tensor_apply_kernelINS1_18TensorListMetadataILi1EEENS0_13LpNormFunctorIfLNS0_8NormTypeE0EN3c104HalfELi1ELi1ELi0EEEJPfiEEEvT_T0_DpT1_.kd
    .uniform_work_group_size: 1
    .uses_dynamic_stack: false
    .vgpr_count:     20
    .vgpr_spill_count: 0
    .wavefront_size: 32
  - .args:
      - .offset:         0
        .size:           3368
        .value_kind:     by_value
      - .offset:         3368
        .size:           1
        .value_kind:     by_value
      - .address_space:  global
        .offset:         3376
        .size:           8
        .value_kind:     global_buffer
      - .offset:         3384
        .size:           4
        .value_kind:     by_value
      - .offset:         3392
        .size:           4
        .value_kind:     hidden_block_count_x
      - .offset:         3396
        .size:           4
        .value_kind:     hidden_block_count_y
      - .offset:         3400
        .size:           4
        .value_kind:     hidden_block_count_z
      - .offset:         3404
        .size:           2
        .value_kind:     hidden_group_size_x
      - .offset:         3406
        .size:           2
        .value_kind:     hidden_group_size_y
      - .offset:         3408
        .size:           2
        .value_kind:     hidden_group_size_z
      - .offset:         3410
        .size:           2
        .value_kind:     hidden_remainder_x
      - .offset:         3412
        .size:           2
        .value_kind:     hidden_remainder_y
      - .offset:         3414
        .size:           2
        .value_kind:     hidden_remainder_z
      - .offset:         3432
        .size:           8
        .value_kind:     hidden_global_offset_x
      - .offset:         3440
        .size:           8
        .value_kind:     hidden_global_offset_y
      - .offset:         3448
        .size:           8
        .value_kind:     hidden_global_offset_z
      - .offset:         3456
        .size:           2
        .value_kind:     hidden_grid_dims
    .group_segment_fixed_size: 2048
    .kernarg_segment_align: 8
    .kernarg_segment_size: 3648
    .language:       OpenCL C
    .language_version:
      - 2
      - 0
    .max_flat_workgroup_size: 512
    .name:           _ZN2at6native12_GLOBAL__N_125multi_tensor_apply_kernelINS1_18TensorListMetadataILi1EEENS0_13LpNormFunctorIfLNS0_8NormTypeE1EN3c104HalfELi1ELi1ELi0EEEJPfiEEEvT_T0_DpT1_
    .private_segment_fixed_size: 0
    .sgpr_count:     16
    .sgpr_spill_count: 0
    .symbol:         _ZN2at6native12_GLOBAL__N_125multi_tensor_apply_kernelINS1_18TensorListMetadataILi1EEENS0_13LpNormFunctorIfLNS0_8NormTypeE1EN3c104HalfELi1ELi1ELi0EEEJPfiEEEvT_T0_DpT1_.kd
    .uniform_work_group_size: 1
    .uses_dynamic_stack: false
    .vgpr_count:     20
    .vgpr_spill_count: 0
    .wavefront_size: 32
  - .args:
      - .offset:         0
        .size:           3368
        .value_kind:     by_value
      - .offset:         3368
        .size:           1
        .value_kind:     by_value
      - .address_space:  global
        .offset:         3376
        .size:           8
        .value_kind:     global_buffer
      - .offset:         3384
        .size:           4
        .value_kind:     by_value
      - .offset:         3392
        .size:           4
        .value_kind:     hidden_block_count_x
      - .offset:         3396
        .size:           4
        .value_kind:     hidden_block_count_y
      - .offset:         3400
        .size:           4
        .value_kind:     hidden_block_count_z
      - .offset:         3404
        .size:           2
        .value_kind:     hidden_group_size_x
      - .offset:         3406
        .size:           2
        .value_kind:     hidden_group_size_y
      - .offset:         3408
        .size:           2
        .value_kind:     hidden_group_size_z
      - .offset:         3410
        .size:           2
        .value_kind:     hidden_remainder_x
      - .offset:         3412
        .size:           2
        .value_kind:     hidden_remainder_y
      - .offset:         3414
        .size:           2
        .value_kind:     hidden_remainder_z
      - .offset:         3432
        .size:           8
        .value_kind:     hidden_global_offset_x
      - .offset:         3440
        .size:           8
        .value_kind:     hidden_global_offset_y
      - .offset:         3448
        .size:           8
        .value_kind:     hidden_global_offset_z
      - .offset:         3456
        .size:           2
        .value_kind:     hidden_grid_dims
    .group_segment_fixed_size: 2048
    .kernarg_segment_align: 8
    .kernarg_segment_size: 3648
    .language:       OpenCL C
    .language_version:
      - 2
      - 0
    .max_flat_workgroup_size: 512
    .name:           _ZN2at6native12_GLOBAL__N_125multi_tensor_apply_kernelINS1_18TensorListMetadataILi1EEENS0_13LpNormFunctorIfLNS0_8NormTypeE2EN3c104HalfELi1ELi1ELi0EEEJPfiEEEvT_T0_DpT1_
    .private_segment_fixed_size: 0
    .sgpr_count:     16
    .sgpr_spill_count: 0
    .symbol:         _ZN2at6native12_GLOBAL__N_125multi_tensor_apply_kernelINS1_18TensorListMetadataILi1EEENS0_13LpNormFunctorIfLNS0_8NormTypeE2EN3c104HalfELi1ELi1ELi0EEEJPfiEEEvT_T0_DpT1_.kd
    .uniform_work_group_size: 1
    .uses_dynamic_stack: false
    .vgpr_count:     20
    .vgpr_spill_count: 0
    .wavefront_size: 32
  - .args:
      - .offset:         0
        .size:           3368
        .value_kind:     by_value
      - .offset:         3368
        .size:           1
        .value_kind:     by_value
      - .address_space:  global
        .offset:         3376
        .size:           8
        .value_kind:     global_buffer
      - .offset:         3384
        .size:           4
        .value_kind:     by_value
      - .offset:         3392
        .size:           4
        .value_kind:     hidden_block_count_x
      - .offset:         3396
        .size:           4
        .value_kind:     hidden_block_count_y
      - .offset:         3400
        .size:           4
        .value_kind:     hidden_block_count_z
      - .offset:         3404
        .size:           2
        .value_kind:     hidden_group_size_x
      - .offset:         3406
        .size:           2
        .value_kind:     hidden_group_size_y
      - .offset:         3408
        .size:           2
        .value_kind:     hidden_group_size_z
      - .offset:         3410
        .size:           2
        .value_kind:     hidden_remainder_x
      - .offset:         3412
        .size:           2
        .value_kind:     hidden_remainder_y
      - .offset:         3414
        .size:           2
        .value_kind:     hidden_remainder_z
      - .offset:         3432
        .size:           8
        .value_kind:     hidden_global_offset_x
      - .offset:         3440
        .size:           8
        .value_kind:     hidden_global_offset_y
      - .offset:         3448
        .size:           8
        .value_kind:     hidden_global_offset_z
      - .offset:         3456
        .size:           2
        .value_kind:     hidden_grid_dims
    .group_segment_fixed_size: 2048
    .kernarg_segment_align: 8
    .kernarg_segment_size: 3648
    .language:       OpenCL C
    .language_version:
      - 2
      - 0
    .max_flat_workgroup_size: 512
    .name:           _ZN2at6native12_GLOBAL__N_125multi_tensor_apply_kernelINS1_18TensorListMetadataILi1EEENS0_13LpNormFunctorIfLNS0_8NormTypeE3EN3c104HalfELi1ELi1ELi0EEEJPfiEEEvT_T0_DpT1_
    .private_segment_fixed_size: 0
    .sgpr_count:     19
    .sgpr_spill_count: 0
    .symbol:         _ZN2at6native12_GLOBAL__N_125multi_tensor_apply_kernelINS1_18TensorListMetadataILi1EEENS0_13LpNormFunctorIfLNS0_8NormTypeE3EN3c104HalfELi1ELi1ELi0EEEJPfiEEEvT_T0_DpT1_.kd
    .uniform_work_group_size: 1
    .uses_dynamic_stack: false
    .vgpr_count:     22
    .vgpr_spill_count: 0
    .wavefront_size: 32
  - .args:
      - .address_space:  global
        .offset:         0
        .size:           8
        .value_kind:     global_buffer
      - .offset:         8
        .size:           3200
        .value_kind:     by_value
      - .offset:         3208
        .size:           4
        .value_kind:     by_value
      - .offset:         3216
        .size:           4
        .value_kind:     hidden_block_count_x
      - .offset:         3220
        .size:           4
        .value_kind:     hidden_block_count_y
      - .offset:         3224
        .size:           4
        .value_kind:     hidden_block_count_z
      - .offset:         3228
        .size:           2
        .value_kind:     hidden_group_size_x
      - .offset:         3230
        .size:           2
        .value_kind:     hidden_group_size_y
      - .offset:         3232
        .size:           2
        .value_kind:     hidden_group_size_z
      - .offset:         3234
        .size:           2
        .value_kind:     hidden_remainder_x
      - .offset:         3236
        .size:           2
        .value_kind:     hidden_remainder_y
      - .offset:         3238
        .size:           2
        .value_kind:     hidden_remainder_z
      - .offset:         3256
        .size:           8
        .value_kind:     hidden_global_offset_x
      - .offset:         3264
        .size:           8
        .value_kind:     hidden_global_offset_y
      - .offset:         3272
        .size:           8
        .value_kind:     hidden_global_offset_z
      - .offset:         3280
        .size:           2
        .value_kind:     hidden_grid_dims
    .group_segment_fixed_size: 2048
    .kernarg_segment_align: 8
    .kernarg_segment_size: 3472
    .language:       OpenCL C
    .language_version:
      - 2
      - 0
    .max_flat_workgroup_size: 1024
    .name:           _ZN2at6native14lpnorm_cleanupIfLNS0_8NormTypeE0EN3c104HalfELb1EfEEvPKT3_NS0_19TensorListAddressesEi
    .private_segment_fixed_size: 0
    .sgpr_count:     14
    .sgpr_spill_count: 0
    .symbol:         _ZN2at6native14lpnorm_cleanupIfLNS0_8NormTypeE0EN3c104HalfELb1EfEEvPKT3_NS0_19TensorListAddressesEi.kd
    .uniform_work_group_size: 1
    .uses_dynamic_stack: false
    .vgpr_count:     9
    .vgpr_spill_count: 0
    .wavefront_size: 32
  - .args:
      - .address_space:  global
        .offset:         0
        .size:           8
        .value_kind:     global_buffer
      - .offset:         8
        .size:           3200
        .value_kind:     by_value
      - .offset:         3208
        .size:           4
        .value_kind:     by_value
      - .offset:         3216
        .size:           4
        .value_kind:     hidden_block_count_x
      - .offset:         3220
        .size:           4
        .value_kind:     hidden_block_count_y
      - .offset:         3224
        .size:           4
        .value_kind:     hidden_block_count_z
      - .offset:         3228
        .size:           2
        .value_kind:     hidden_group_size_x
      - .offset:         3230
        .size:           2
        .value_kind:     hidden_group_size_y
      - .offset:         3232
        .size:           2
        .value_kind:     hidden_group_size_z
      - .offset:         3234
        .size:           2
        .value_kind:     hidden_remainder_x
      - .offset:         3236
        .size:           2
        .value_kind:     hidden_remainder_y
      - .offset:         3238
        .size:           2
        .value_kind:     hidden_remainder_z
      - .offset:         3256
        .size:           8
        .value_kind:     hidden_global_offset_x
      - .offset:         3264
        .size:           8
        .value_kind:     hidden_global_offset_y
      - .offset:         3272
        .size:           8
        .value_kind:     hidden_global_offset_z
      - .offset:         3280
        .size:           2
        .value_kind:     hidden_grid_dims
    .group_segment_fixed_size: 2048
    .kernarg_segment_align: 8
    .kernarg_segment_size: 3472
    .language:       OpenCL C
    .language_version:
      - 2
      - 0
    .max_flat_workgroup_size: 1024
    .name:           _ZN2at6native14lpnorm_cleanupIfLNS0_8NormTypeE1EN3c104HalfELb1EfEEvPKT3_NS0_19TensorListAddressesEi
    .private_segment_fixed_size: 0
    .sgpr_count:     14
    .sgpr_spill_count: 0
    .symbol:         _ZN2at6native14lpnorm_cleanupIfLNS0_8NormTypeE1EN3c104HalfELb1EfEEvPKT3_NS0_19TensorListAddressesEi.kd
    .uniform_work_group_size: 1
    .uses_dynamic_stack: false
    .vgpr_count:     9
    .vgpr_spill_count: 0
    .wavefront_size: 32
  - .args:
      - .address_space:  global
        .offset:         0
        .size:           8
        .value_kind:     global_buffer
      - .offset:         8
        .size:           3200
        .value_kind:     by_value
      - .offset:         3208
        .size:           4
        .value_kind:     by_value
      - .offset:         3216
        .size:           4
        .value_kind:     hidden_block_count_x
      - .offset:         3220
        .size:           4
        .value_kind:     hidden_block_count_y
      - .offset:         3224
        .size:           4
        .value_kind:     hidden_block_count_z
      - .offset:         3228
        .size:           2
        .value_kind:     hidden_group_size_x
      - .offset:         3230
        .size:           2
        .value_kind:     hidden_group_size_y
      - .offset:         3232
        .size:           2
        .value_kind:     hidden_group_size_z
      - .offset:         3234
        .size:           2
        .value_kind:     hidden_remainder_x
      - .offset:         3236
        .size:           2
        .value_kind:     hidden_remainder_y
      - .offset:         3238
        .size:           2
        .value_kind:     hidden_remainder_z
      - .offset:         3256
        .size:           8
        .value_kind:     hidden_global_offset_x
      - .offset:         3264
        .size:           8
        .value_kind:     hidden_global_offset_y
      - .offset:         3272
        .size:           8
        .value_kind:     hidden_global_offset_z
      - .offset:         3280
        .size:           2
        .value_kind:     hidden_grid_dims
    .group_segment_fixed_size: 2048
    .kernarg_segment_align: 8
    .kernarg_segment_size: 3472
    .language:       OpenCL C
    .language_version:
      - 2
      - 0
    .max_flat_workgroup_size: 1024
    .name:           _ZN2at6native14lpnorm_cleanupIfLNS0_8NormTypeE2EN3c104HalfELb1EfEEvPKT3_NS0_19TensorListAddressesEi
    .private_segment_fixed_size: 0
    .sgpr_count:     14
    .sgpr_spill_count: 0
    .symbol:         _ZN2at6native14lpnorm_cleanupIfLNS0_8NormTypeE2EN3c104HalfELb1EfEEvPKT3_NS0_19TensorListAddressesEi.kd
    .uniform_work_group_size: 1
    .uses_dynamic_stack: false
    .vgpr_count:     9
    .vgpr_spill_count: 0
    .wavefront_size: 32
  - .args:
      - .address_space:  global
        .offset:         0
        .size:           8
        .value_kind:     global_buffer
      - .offset:         8
        .size:           3200
        .value_kind:     by_value
      - .offset:         3208
        .size:           4
        .value_kind:     by_value
      - .offset:         3216
        .size:           4
        .value_kind:     hidden_block_count_x
      - .offset:         3220
        .size:           4
        .value_kind:     hidden_block_count_y
      - .offset:         3224
        .size:           4
        .value_kind:     hidden_block_count_z
      - .offset:         3228
        .size:           2
        .value_kind:     hidden_group_size_x
      - .offset:         3230
        .size:           2
        .value_kind:     hidden_group_size_y
      - .offset:         3232
        .size:           2
        .value_kind:     hidden_group_size_z
      - .offset:         3234
        .size:           2
        .value_kind:     hidden_remainder_x
      - .offset:         3236
        .size:           2
        .value_kind:     hidden_remainder_y
      - .offset:         3238
        .size:           2
        .value_kind:     hidden_remainder_z
      - .offset:         3256
        .size:           8
        .value_kind:     hidden_global_offset_x
      - .offset:         3264
        .size:           8
        .value_kind:     hidden_global_offset_y
      - .offset:         3272
        .size:           8
        .value_kind:     hidden_global_offset_z
      - .offset:         3280
        .size:           2
        .value_kind:     hidden_grid_dims
    .group_segment_fixed_size: 2048
    .kernarg_segment_align: 8
    .kernarg_segment_size: 3472
    .language:       OpenCL C
    .language_version:
      - 2
      - 0
    .max_flat_workgroup_size: 1024
    .name:           _ZN2at6native14lpnorm_cleanupIfLNS0_8NormTypeE3EN3c104HalfELb1EfEEvPKT3_NS0_19TensorListAddressesEi
    .private_segment_fixed_size: 0
    .sgpr_count:     15
    .sgpr_spill_count: 0
    .symbol:         _ZN2at6native14lpnorm_cleanupIfLNS0_8NormTypeE3EN3c104HalfELb1EfEEvPKT3_NS0_19TensorListAddressesEi.kd
    .uniform_work_group_size: 1
    .uses_dynamic_stack: false
    .vgpr_count:     9
    .vgpr_spill_count: 0
    .wavefront_size: 32
  - .args:
      - .offset:         0
        .size:           3368
        .value_kind:     by_value
      - .offset:         3368
        .size:           1
        .value_kind:     by_value
      - .address_space:  global
        .offset:         3376
        .size:           8
        .value_kind:     global_buffer
      - .offset:         3384
        .size:           4
        .value_kind:     by_value
      - .offset:         3392
        .size:           4
        .value_kind:     hidden_block_count_x
      - .offset:         3396
        .size:           4
        .value_kind:     hidden_block_count_y
      - .offset:         3400
        .size:           4
        .value_kind:     hidden_block_count_z
      - .offset:         3404
        .size:           2
        .value_kind:     hidden_group_size_x
      - .offset:         3406
        .size:           2
        .value_kind:     hidden_group_size_y
      - .offset:         3408
        .size:           2
        .value_kind:     hidden_group_size_z
      - .offset:         3410
        .size:           2
        .value_kind:     hidden_remainder_x
      - .offset:         3412
        .size:           2
        .value_kind:     hidden_remainder_y
      - .offset:         3414
        .size:           2
        .value_kind:     hidden_remainder_z
      - .offset:         3432
        .size:           8
        .value_kind:     hidden_global_offset_x
      - .offset:         3440
        .size:           8
        .value_kind:     hidden_global_offset_y
      - .offset:         3448
        .size:           8
        .value_kind:     hidden_global_offset_z
      - .offset:         3456
        .size:           2
        .value_kind:     hidden_grid_dims
    .group_segment_fixed_size: 2048
    .kernarg_segment_align: 8
    .kernarg_segment_size: 3648
    .language:       OpenCL C
    .language_version:
      - 2
      - 0
    .max_flat_workgroup_size: 512
    .name:           _ZN2at6native12_GLOBAL__N_125multi_tensor_apply_kernelINS1_18TensorListMetadataILi1EEENS0_13LpNormFunctorIfLNS0_8NormTypeE0EN3c108BFloat16ELi1ELi1ELi0EEEJPfiEEEvT_T0_DpT1_
    .private_segment_fixed_size: 0
    .sgpr_count:     16
    .sgpr_spill_count: 0
    .symbol:         _ZN2at6native12_GLOBAL__N_125multi_tensor_apply_kernelINS1_18TensorListMetadataILi1EEENS0_13LpNormFunctorIfLNS0_8NormTypeE0EN3c108BFloat16ELi1ELi1ELi0EEEJPfiEEEvT_T0_DpT1_.kd
    .uniform_work_group_size: 1
    .uses_dynamic_stack: false
    .vgpr_count:     20
    .vgpr_spill_count: 0
    .wavefront_size: 32
  - .args:
      - .offset:         0
        .size:           3368
        .value_kind:     by_value
      - .offset:         3368
        .size:           1
        .value_kind:     by_value
      - .address_space:  global
        .offset:         3376
        .size:           8
        .value_kind:     global_buffer
      - .offset:         3384
        .size:           4
        .value_kind:     by_value
      - .offset:         3392
        .size:           4
        .value_kind:     hidden_block_count_x
      - .offset:         3396
        .size:           4
        .value_kind:     hidden_block_count_y
      - .offset:         3400
        .size:           4
        .value_kind:     hidden_block_count_z
      - .offset:         3404
        .size:           2
        .value_kind:     hidden_group_size_x
      - .offset:         3406
        .size:           2
        .value_kind:     hidden_group_size_y
      - .offset:         3408
        .size:           2
        .value_kind:     hidden_group_size_z
      - .offset:         3410
        .size:           2
        .value_kind:     hidden_remainder_x
      - .offset:         3412
        .size:           2
        .value_kind:     hidden_remainder_y
      - .offset:         3414
        .size:           2
        .value_kind:     hidden_remainder_z
      - .offset:         3432
        .size:           8
        .value_kind:     hidden_global_offset_x
      - .offset:         3440
        .size:           8
        .value_kind:     hidden_global_offset_y
      - .offset:         3448
        .size:           8
        .value_kind:     hidden_global_offset_z
      - .offset:         3456
        .size:           2
        .value_kind:     hidden_grid_dims
    .group_segment_fixed_size: 2048
    .kernarg_segment_align: 8
    .kernarg_segment_size: 3648
    .language:       OpenCL C
    .language_version:
      - 2
      - 0
    .max_flat_workgroup_size: 512
    .name:           _ZN2at6native12_GLOBAL__N_125multi_tensor_apply_kernelINS1_18TensorListMetadataILi1EEENS0_13LpNormFunctorIfLNS0_8NormTypeE1EN3c108BFloat16ELi1ELi1ELi0EEEJPfiEEEvT_T0_DpT1_
    .private_segment_fixed_size: 0
    .sgpr_count:     16
    .sgpr_spill_count: 0
    .symbol:         _ZN2at6native12_GLOBAL__N_125multi_tensor_apply_kernelINS1_18TensorListMetadataILi1EEENS0_13LpNormFunctorIfLNS0_8NormTypeE1EN3c108BFloat16ELi1ELi1ELi0EEEJPfiEEEvT_T0_DpT1_.kd
    .uniform_work_group_size: 1
    .uses_dynamic_stack: false
    .vgpr_count:     20
    .vgpr_spill_count: 0
    .wavefront_size: 32
  - .args:
      - .offset:         0
        .size:           3368
        .value_kind:     by_value
      - .offset:         3368
        .size:           1
        .value_kind:     by_value
      - .address_space:  global
        .offset:         3376
        .size:           8
        .value_kind:     global_buffer
      - .offset:         3384
        .size:           4
        .value_kind:     by_value
      - .offset:         3392
        .size:           4
        .value_kind:     hidden_block_count_x
      - .offset:         3396
        .size:           4
        .value_kind:     hidden_block_count_y
      - .offset:         3400
        .size:           4
        .value_kind:     hidden_block_count_z
      - .offset:         3404
        .size:           2
        .value_kind:     hidden_group_size_x
      - .offset:         3406
        .size:           2
        .value_kind:     hidden_group_size_y
      - .offset:         3408
        .size:           2
        .value_kind:     hidden_group_size_z
      - .offset:         3410
        .size:           2
        .value_kind:     hidden_remainder_x
      - .offset:         3412
        .size:           2
        .value_kind:     hidden_remainder_y
      - .offset:         3414
        .size:           2
        .value_kind:     hidden_remainder_z
      - .offset:         3432
        .size:           8
        .value_kind:     hidden_global_offset_x
      - .offset:         3440
        .size:           8
        .value_kind:     hidden_global_offset_y
      - .offset:         3448
        .size:           8
        .value_kind:     hidden_global_offset_z
      - .offset:         3456
        .size:           2
        .value_kind:     hidden_grid_dims
    .group_segment_fixed_size: 2048
    .kernarg_segment_align: 8
    .kernarg_segment_size: 3648
    .language:       OpenCL C
    .language_version:
      - 2
      - 0
    .max_flat_workgroup_size: 512
    .name:           _ZN2at6native12_GLOBAL__N_125multi_tensor_apply_kernelINS1_18TensorListMetadataILi1EEENS0_13LpNormFunctorIfLNS0_8NormTypeE2EN3c108BFloat16ELi1ELi1ELi0EEEJPfiEEEvT_T0_DpT1_
    .private_segment_fixed_size: 0
    .sgpr_count:     16
    .sgpr_spill_count: 0
    .symbol:         _ZN2at6native12_GLOBAL__N_125multi_tensor_apply_kernelINS1_18TensorListMetadataILi1EEENS0_13LpNormFunctorIfLNS0_8NormTypeE2EN3c108BFloat16ELi1ELi1ELi0EEEJPfiEEEvT_T0_DpT1_.kd
    .uniform_work_group_size: 1
    .uses_dynamic_stack: false
    .vgpr_count:     20
    .vgpr_spill_count: 0
    .wavefront_size: 32
  - .args:
      - .offset:         0
        .size:           3368
        .value_kind:     by_value
      - .offset:         3368
        .size:           1
        .value_kind:     by_value
      - .address_space:  global
        .offset:         3376
        .size:           8
        .value_kind:     global_buffer
      - .offset:         3384
        .size:           4
        .value_kind:     by_value
      - .offset:         3392
        .size:           4
        .value_kind:     hidden_block_count_x
      - .offset:         3396
        .size:           4
        .value_kind:     hidden_block_count_y
      - .offset:         3400
        .size:           4
        .value_kind:     hidden_block_count_z
      - .offset:         3404
        .size:           2
        .value_kind:     hidden_group_size_x
      - .offset:         3406
        .size:           2
        .value_kind:     hidden_group_size_y
      - .offset:         3408
        .size:           2
        .value_kind:     hidden_group_size_z
      - .offset:         3410
        .size:           2
        .value_kind:     hidden_remainder_x
      - .offset:         3412
        .size:           2
        .value_kind:     hidden_remainder_y
      - .offset:         3414
        .size:           2
        .value_kind:     hidden_remainder_z
      - .offset:         3432
        .size:           8
        .value_kind:     hidden_global_offset_x
      - .offset:         3440
        .size:           8
        .value_kind:     hidden_global_offset_y
      - .offset:         3448
        .size:           8
        .value_kind:     hidden_global_offset_z
      - .offset:         3456
        .size:           2
        .value_kind:     hidden_grid_dims
    .group_segment_fixed_size: 2048
    .kernarg_segment_align: 8
    .kernarg_segment_size: 3648
    .language:       OpenCL C
    .language_version:
      - 2
      - 0
    .max_flat_workgroup_size: 512
    .name:           _ZN2at6native12_GLOBAL__N_125multi_tensor_apply_kernelINS1_18TensorListMetadataILi1EEENS0_13LpNormFunctorIfLNS0_8NormTypeE3EN3c108BFloat16ELi1ELi1ELi0EEEJPfiEEEvT_T0_DpT1_
    .private_segment_fixed_size: 0
    .sgpr_count:     19
    .sgpr_spill_count: 0
    .symbol:         _ZN2at6native12_GLOBAL__N_125multi_tensor_apply_kernelINS1_18TensorListMetadataILi1EEENS0_13LpNormFunctorIfLNS0_8NormTypeE3EN3c108BFloat16ELi1ELi1ELi0EEEJPfiEEEvT_T0_DpT1_.kd
    .uniform_work_group_size: 1
    .uses_dynamic_stack: false
    .vgpr_count:     22
    .vgpr_spill_count: 0
    .wavefront_size: 32
  - .args:
      - .address_space:  global
        .offset:         0
        .size:           8
        .value_kind:     global_buffer
      - .offset:         8
        .size:           3200
        .value_kind:     by_value
      - .offset:         3208
        .size:           4
        .value_kind:     by_value
      - .offset:         3216
        .size:           4
        .value_kind:     hidden_block_count_x
      - .offset:         3220
        .size:           4
        .value_kind:     hidden_block_count_y
      - .offset:         3224
        .size:           4
        .value_kind:     hidden_block_count_z
      - .offset:         3228
        .size:           2
        .value_kind:     hidden_group_size_x
      - .offset:         3230
        .size:           2
        .value_kind:     hidden_group_size_y
      - .offset:         3232
        .size:           2
        .value_kind:     hidden_group_size_z
      - .offset:         3234
        .size:           2
        .value_kind:     hidden_remainder_x
      - .offset:         3236
        .size:           2
        .value_kind:     hidden_remainder_y
      - .offset:         3238
        .size:           2
        .value_kind:     hidden_remainder_z
      - .offset:         3256
        .size:           8
        .value_kind:     hidden_global_offset_x
      - .offset:         3264
        .size:           8
        .value_kind:     hidden_global_offset_y
      - .offset:         3272
        .size:           8
        .value_kind:     hidden_global_offset_z
      - .offset:         3280
        .size:           2
        .value_kind:     hidden_grid_dims
    .group_segment_fixed_size: 2048
    .kernarg_segment_align: 8
    .kernarg_segment_size: 3472
    .language:       OpenCL C
    .language_version:
      - 2
      - 0
    .max_flat_workgroup_size: 1024
    .name:           _ZN2at6native14lpnorm_cleanupIfLNS0_8NormTypeE0EN3c108BFloat16ELb1EfEEvPKT3_NS0_19TensorListAddressesEi
    .private_segment_fixed_size: 0
    .sgpr_count:     14
    .sgpr_spill_count: 0
    .symbol:         _ZN2at6native14lpnorm_cleanupIfLNS0_8NormTypeE0EN3c108BFloat16ELb1EfEEvPKT3_NS0_19TensorListAddressesEi.kd
    .uniform_work_group_size: 1
    .uses_dynamic_stack: false
    .vgpr_count:     9
    .vgpr_spill_count: 0
    .wavefront_size: 32
  - .args:
      - .address_space:  global
        .offset:         0
        .size:           8
        .value_kind:     global_buffer
      - .offset:         8
        .size:           3200
        .value_kind:     by_value
      - .offset:         3208
        .size:           4
        .value_kind:     by_value
      - .offset:         3216
        .size:           4
        .value_kind:     hidden_block_count_x
      - .offset:         3220
        .size:           4
        .value_kind:     hidden_block_count_y
      - .offset:         3224
        .size:           4
        .value_kind:     hidden_block_count_z
      - .offset:         3228
        .size:           2
        .value_kind:     hidden_group_size_x
      - .offset:         3230
        .size:           2
        .value_kind:     hidden_group_size_y
      - .offset:         3232
        .size:           2
        .value_kind:     hidden_group_size_z
      - .offset:         3234
        .size:           2
        .value_kind:     hidden_remainder_x
      - .offset:         3236
        .size:           2
        .value_kind:     hidden_remainder_y
      - .offset:         3238
        .size:           2
        .value_kind:     hidden_remainder_z
      - .offset:         3256
        .size:           8
        .value_kind:     hidden_global_offset_x
      - .offset:         3264
        .size:           8
        .value_kind:     hidden_global_offset_y
      - .offset:         3272
        .size:           8
        .value_kind:     hidden_global_offset_z
      - .offset:         3280
        .size:           2
        .value_kind:     hidden_grid_dims
    .group_segment_fixed_size: 2048
    .kernarg_segment_align: 8
    .kernarg_segment_size: 3472
    .language:       OpenCL C
    .language_version:
      - 2
      - 0
    .max_flat_workgroup_size: 1024
    .name:           _ZN2at6native14lpnorm_cleanupIfLNS0_8NormTypeE1EN3c108BFloat16ELb1EfEEvPKT3_NS0_19TensorListAddressesEi
    .private_segment_fixed_size: 0
    .sgpr_count:     14
    .sgpr_spill_count: 0
    .symbol:         _ZN2at6native14lpnorm_cleanupIfLNS0_8NormTypeE1EN3c108BFloat16ELb1EfEEvPKT3_NS0_19TensorListAddressesEi.kd
    .uniform_work_group_size: 1
    .uses_dynamic_stack: false
    .vgpr_count:     9
    .vgpr_spill_count: 0
    .wavefront_size: 32
  - .args:
      - .address_space:  global
        .offset:         0
        .size:           8
        .value_kind:     global_buffer
      - .offset:         8
        .size:           3200
        .value_kind:     by_value
      - .offset:         3208
        .size:           4
        .value_kind:     by_value
      - .offset:         3216
        .size:           4
        .value_kind:     hidden_block_count_x
      - .offset:         3220
        .size:           4
        .value_kind:     hidden_block_count_y
      - .offset:         3224
        .size:           4
        .value_kind:     hidden_block_count_z
      - .offset:         3228
        .size:           2
        .value_kind:     hidden_group_size_x
      - .offset:         3230
        .size:           2
        .value_kind:     hidden_group_size_y
      - .offset:         3232
        .size:           2
        .value_kind:     hidden_group_size_z
      - .offset:         3234
        .size:           2
        .value_kind:     hidden_remainder_x
      - .offset:         3236
        .size:           2
        .value_kind:     hidden_remainder_y
      - .offset:         3238
        .size:           2
        .value_kind:     hidden_remainder_z
      - .offset:         3256
        .size:           8
        .value_kind:     hidden_global_offset_x
      - .offset:         3264
        .size:           8
        .value_kind:     hidden_global_offset_y
      - .offset:         3272
        .size:           8
        .value_kind:     hidden_global_offset_z
      - .offset:         3280
        .size:           2
        .value_kind:     hidden_grid_dims
    .group_segment_fixed_size: 2048
    .kernarg_segment_align: 8
    .kernarg_segment_size: 3472
    .language:       OpenCL C
    .language_version:
      - 2
      - 0
    .max_flat_workgroup_size: 1024
    .name:           _ZN2at6native14lpnorm_cleanupIfLNS0_8NormTypeE2EN3c108BFloat16ELb1EfEEvPKT3_NS0_19TensorListAddressesEi
    .private_segment_fixed_size: 0
    .sgpr_count:     14
    .sgpr_spill_count: 0
    .symbol:         _ZN2at6native14lpnorm_cleanupIfLNS0_8NormTypeE2EN3c108BFloat16ELb1EfEEvPKT3_NS0_19TensorListAddressesEi.kd
    .uniform_work_group_size: 1
    .uses_dynamic_stack: false
    .vgpr_count:     9
    .vgpr_spill_count: 0
    .wavefront_size: 32
  - .args:
      - .address_space:  global
        .offset:         0
        .size:           8
        .value_kind:     global_buffer
      - .offset:         8
        .size:           3200
        .value_kind:     by_value
      - .offset:         3208
        .size:           4
        .value_kind:     by_value
      - .offset:         3216
        .size:           4
        .value_kind:     hidden_block_count_x
      - .offset:         3220
        .size:           4
        .value_kind:     hidden_block_count_y
      - .offset:         3224
        .size:           4
        .value_kind:     hidden_block_count_z
      - .offset:         3228
        .size:           2
        .value_kind:     hidden_group_size_x
      - .offset:         3230
        .size:           2
        .value_kind:     hidden_group_size_y
      - .offset:         3232
        .size:           2
        .value_kind:     hidden_group_size_z
      - .offset:         3234
        .size:           2
        .value_kind:     hidden_remainder_x
      - .offset:         3236
        .size:           2
        .value_kind:     hidden_remainder_y
      - .offset:         3238
        .size:           2
        .value_kind:     hidden_remainder_z
      - .offset:         3256
        .size:           8
        .value_kind:     hidden_global_offset_x
      - .offset:         3264
        .size:           8
        .value_kind:     hidden_global_offset_y
      - .offset:         3272
        .size:           8
        .value_kind:     hidden_global_offset_z
      - .offset:         3280
        .size:           2
        .value_kind:     hidden_grid_dims
    .group_segment_fixed_size: 2048
    .kernarg_segment_align: 8
    .kernarg_segment_size: 3472
    .language:       OpenCL C
    .language_version:
      - 2
      - 0
    .max_flat_workgroup_size: 1024
    .name:           _ZN2at6native14lpnorm_cleanupIfLNS0_8NormTypeE3EN3c108BFloat16ELb1EfEEvPKT3_NS0_19TensorListAddressesEi
    .private_segment_fixed_size: 0
    .sgpr_count:     15
    .sgpr_spill_count: 0
    .symbol:         _ZN2at6native14lpnorm_cleanupIfLNS0_8NormTypeE3EN3c108BFloat16ELb1EfEEvPKT3_NS0_19TensorListAddressesEi.kd
    .uniform_work_group_size: 1
    .uses_dynamic_stack: false
    .vgpr_count:     9
    .vgpr_spill_count: 0
    .wavefront_size: 32
  - .args:
      - .offset:         0
        .size:           3368
        .value_kind:     by_value
      - .offset:         3368
        .size:           1
        .value_kind:     by_value
      - .address_space:  global
        .offset:         3376
        .size:           8
        .value_kind:     global_buffer
      - .offset:         3384
        .size:           4
        .value_kind:     by_value
      - .offset:         3392
        .size:           4
        .value_kind:     hidden_block_count_x
      - .offset:         3396
        .size:           4
        .value_kind:     hidden_block_count_y
      - .offset:         3400
        .size:           4
        .value_kind:     hidden_block_count_z
      - .offset:         3404
        .size:           2
        .value_kind:     hidden_group_size_x
      - .offset:         3406
        .size:           2
        .value_kind:     hidden_group_size_y
      - .offset:         3408
        .size:           2
        .value_kind:     hidden_group_size_z
      - .offset:         3410
        .size:           2
        .value_kind:     hidden_remainder_x
      - .offset:         3412
        .size:           2
        .value_kind:     hidden_remainder_y
      - .offset:         3414
        .size:           2
        .value_kind:     hidden_remainder_z
      - .offset:         3432
        .size:           8
        .value_kind:     hidden_global_offset_x
      - .offset:         3440
        .size:           8
        .value_kind:     hidden_global_offset_y
      - .offset:         3448
        .size:           8
        .value_kind:     hidden_global_offset_z
      - .offset:         3456
        .size:           2
        .value_kind:     hidden_grid_dims
    .group_segment_fixed_size: 4096
    .kernarg_segment_align: 8
    .kernarg_segment_size: 3648
    .language:       OpenCL C
    .language_version:
      - 2
      - 0
    .max_flat_workgroup_size: 512
    .name:           _ZN2at6native12_GLOBAL__N_125multi_tensor_apply_kernelINS1_18TensorListMetadataILi1EEENS0_13LpNormFunctorIN3c104HalfELNS0_8NormTypeE0EdLi1ELi1ELi0EEEJPdiEEEvT_T0_DpT1_
    .private_segment_fixed_size: 0
    .sgpr_count:     16
    .sgpr_spill_count: 0
    .symbol:         _ZN2at6native12_GLOBAL__N_125multi_tensor_apply_kernelINS1_18TensorListMetadataILi1EEENS0_13LpNormFunctorIN3c104HalfELNS0_8NormTypeE0EdLi1ELi1ELi0EEEJPdiEEEvT_T0_DpT1_.kd
    .uniform_work_group_size: 1
    .uses_dynamic_stack: false
    .vgpr_count:     25
    .vgpr_spill_count: 0
    .wavefront_size: 32
  - .args:
      - .offset:         0
        .size:           3368
        .value_kind:     by_value
      - .offset:         3368
        .size:           1
        .value_kind:     by_value
      - .address_space:  global
        .offset:         3376
        .size:           8
        .value_kind:     global_buffer
      - .offset:         3384
        .size:           4
        .value_kind:     by_value
      - .offset:         3392
        .size:           4
        .value_kind:     hidden_block_count_x
      - .offset:         3396
        .size:           4
        .value_kind:     hidden_block_count_y
      - .offset:         3400
        .size:           4
        .value_kind:     hidden_block_count_z
      - .offset:         3404
        .size:           2
        .value_kind:     hidden_group_size_x
      - .offset:         3406
        .size:           2
        .value_kind:     hidden_group_size_y
      - .offset:         3408
        .size:           2
        .value_kind:     hidden_group_size_z
      - .offset:         3410
        .size:           2
        .value_kind:     hidden_remainder_x
      - .offset:         3412
        .size:           2
        .value_kind:     hidden_remainder_y
      - .offset:         3414
        .size:           2
        .value_kind:     hidden_remainder_z
      - .offset:         3432
        .size:           8
        .value_kind:     hidden_global_offset_x
      - .offset:         3440
        .size:           8
        .value_kind:     hidden_global_offset_y
      - .offset:         3448
        .size:           8
        .value_kind:     hidden_global_offset_z
      - .offset:         3456
        .size:           2
        .value_kind:     hidden_grid_dims
    .group_segment_fixed_size: 4096
    .kernarg_segment_align: 8
    .kernarg_segment_size: 3648
    .language:       OpenCL C
    .language_version:
      - 2
      - 0
    .max_flat_workgroup_size: 512
    .name:           _ZN2at6native12_GLOBAL__N_125multi_tensor_apply_kernelINS1_18TensorListMetadataILi1EEENS0_13LpNormFunctorIN3c104HalfELNS0_8NormTypeE1EdLi1ELi1ELi0EEEJPdiEEEvT_T0_DpT1_
    .private_segment_fixed_size: 0
    .sgpr_count:     16
    .sgpr_spill_count: 0
    .symbol:         _ZN2at6native12_GLOBAL__N_125multi_tensor_apply_kernelINS1_18TensorListMetadataILi1EEENS0_13LpNormFunctorIN3c104HalfELNS0_8NormTypeE1EdLi1ELi1ELi0EEEJPdiEEEvT_T0_DpT1_.kd
    .uniform_work_group_size: 1
    .uses_dynamic_stack: false
    .vgpr_count:     26
    .vgpr_spill_count: 0
    .wavefront_size: 32
  - .args:
      - .offset:         0
        .size:           3368
        .value_kind:     by_value
      - .offset:         3368
        .size:           1
        .value_kind:     by_value
      - .address_space:  global
        .offset:         3376
        .size:           8
        .value_kind:     global_buffer
      - .offset:         3384
        .size:           4
        .value_kind:     by_value
      - .offset:         3392
        .size:           4
        .value_kind:     hidden_block_count_x
      - .offset:         3396
        .size:           4
        .value_kind:     hidden_block_count_y
      - .offset:         3400
        .size:           4
        .value_kind:     hidden_block_count_z
      - .offset:         3404
        .size:           2
        .value_kind:     hidden_group_size_x
      - .offset:         3406
        .size:           2
        .value_kind:     hidden_group_size_y
      - .offset:         3408
        .size:           2
        .value_kind:     hidden_group_size_z
      - .offset:         3410
        .size:           2
        .value_kind:     hidden_remainder_x
      - .offset:         3412
        .size:           2
        .value_kind:     hidden_remainder_y
      - .offset:         3414
        .size:           2
        .value_kind:     hidden_remainder_z
      - .offset:         3432
        .size:           8
        .value_kind:     hidden_global_offset_x
      - .offset:         3440
        .size:           8
        .value_kind:     hidden_global_offset_y
      - .offset:         3448
        .size:           8
        .value_kind:     hidden_global_offset_z
      - .offset:         3456
        .size:           2
        .value_kind:     hidden_grid_dims
    .group_segment_fixed_size: 4096
    .kernarg_segment_align: 8
    .kernarg_segment_size: 3648
    .language:       OpenCL C
    .language_version:
      - 2
      - 0
    .max_flat_workgroup_size: 512
    .name:           _ZN2at6native12_GLOBAL__N_125multi_tensor_apply_kernelINS1_18TensorListMetadataILi1EEENS0_13LpNormFunctorIN3c104HalfELNS0_8NormTypeE2EdLi1ELi1ELi0EEEJPdiEEEvT_T0_DpT1_
    .private_segment_fixed_size: 0
    .sgpr_count:     16
    .sgpr_spill_count: 0
    .symbol:         _ZN2at6native12_GLOBAL__N_125multi_tensor_apply_kernelINS1_18TensorListMetadataILi1EEENS0_13LpNormFunctorIN3c104HalfELNS0_8NormTypeE2EdLi1ELi1ELi0EEEJPdiEEEvT_T0_DpT1_.kd
    .uniform_work_group_size: 1
    .uses_dynamic_stack: false
    .vgpr_count:     26
    .vgpr_spill_count: 0
    .wavefront_size: 32
  - .args:
      - .offset:         0
        .size:           3368
        .value_kind:     by_value
      - .offset:         3368
        .size:           1
        .value_kind:     by_value
      - .address_space:  global
        .offset:         3376
        .size:           8
        .value_kind:     global_buffer
      - .offset:         3384
        .size:           4
        .value_kind:     by_value
      - .offset:         3392
        .size:           4
        .value_kind:     hidden_block_count_x
      - .offset:         3396
        .size:           4
        .value_kind:     hidden_block_count_y
      - .offset:         3400
        .size:           4
        .value_kind:     hidden_block_count_z
      - .offset:         3404
        .size:           2
        .value_kind:     hidden_group_size_x
      - .offset:         3406
        .size:           2
        .value_kind:     hidden_group_size_y
      - .offset:         3408
        .size:           2
        .value_kind:     hidden_group_size_z
      - .offset:         3410
        .size:           2
        .value_kind:     hidden_remainder_x
      - .offset:         3412
        .size:           2
        .value_kind:     hidden_remainder_y
      - .offset:         3414
        .size:           2
        .value_kind:     hidden_remainder_z
      - .offset:         3432
        .size:           8
        .value_kind:     hidden_global_offset_x
      - .offset:         3440
        .size:           8
        .value_kind:     hidden_global_offset_y
      - .offset:         3448
        .size:           8
        .value_kind:     hidden_global_offset_z
      - .offset:         3456
        .size:           2
        .value_kind:     hidden_grid_dims
    .group_segment_fixed_size: 4096
    .kernarg_segment_align: 8
    .kernarg_segment_size: 3648
    .language:       OpenCL C
    .language_version:
      - 2
      - 0
    .max_flat_workgroup_size: 512
    .name:           _ZN2at6native12_GLOBAL__N_125multi_tensor_apply_kernelINS1_18TensorListMetadataILi1EEENS0_13LpNormFunctorIN3c104HalfELNS0_8NormTypeE3EdLi1ELi1ELi0EEEJPdiEEEvT_T0_DpT1_
    .private_segment_fixed_size: 0
    .sgpr_count:     19
    .sgpr_spill_count: 0
    .symbol:         _ZN2at6native12_GLOBAL__N_125multi_tensor_apply_kernelINS1_18TensorListMetadataILi1EEENS0_13LpNormFunctorIN3c104HalfELNS0_8NormTypeE3EdLi1ELi1ELi0EEEJPdiEEEvT_T0_DpT1_.kd
    .uniform_work_group_size: 1
    .uses_dynamic_stack: false
    .vgpr_count:     31
    .vgpr_spill_count: 0
    .wavefront_size: 32
  - .args:
      - .address_space:  global
        .offset:         0
        .size:           8
        .value_kind:     global_buffer
      - .offset:         8
        .size:           3200
        .value_kind:     by_value
      - .offset:         3208
        .size:           4
        .value_kind:     by_value
      - .offset:         3216
        .size:           4
        .value_kind:     hidden_block_count_x
      - .offset:         3220
        .size:           4
        .value_kind:     hidden_block_count_y
      - .offset:         3224
        .size:           4
        .value_kind:     hidden_block_count_z
      - .offset:         3228
        .size:           2
        .value_kind:     hidden_group_size_x
      - .offset:         3230
        .size:           2
        .value_kind:     hidden_group_size_y
      - .offset:         3232
        .size:           2
        .value_kind:     hidden_group_size_z
      - .offset:         3234
        .size:           2
        .value_kind:     hidden_remainder_x
      - .offset:         3236
        .size:           2
        .value_kind:     hidden_remainder_y
      - .offset:         3238
        .size:           2
        .value_kind:     hidden_remainder_z
      - .offset:         3256
        .size:           8
        .value_kind:     hidden_global_offset_x
      - .offset:         3264
        .size:           8
        .value_kind:     hidden_global_offset_y
      - .offset:         3272
        .size:           8
        .value_kind:     hidden_global_offset_z
      - .offset:         3280
        .size:           2
        .value_kind:     hidden_grid_dims
    .group_segment_fixed_size: 4096
    .kernarg_segment_align: 8
    .kernarg_segment_size: 3472
    .language:       OpenCL C
    .language_version:
      - 2
      - 0
    .max_flat_workgroup_size: 1024
    .name:           _ZN2at6native14lpnorm_cleanupIN3c104HalfELNS0_8NormTypeE0EdLb1EdEEvPKT3_NS0_19TensorListAddressesEi
    .private_segment_fixed_size: 0
    .sgpr_count:     14
    .sgpr_spill_count: 0
    .symbol:         _ZN2at6native14lpnorm_cleanupIN3c104HalfELNS0_8NormTypeE0EdLb1EdEEvPKT3_NS0_19TensorListAddressesEi.kd
    .uniform_work_group_size: 1
    .uses_dynamic_stack: false
    .vgpr_count:     11
    .vgpr_spill_count: 0
    .wavefront_size: 32
  - .args:
      - .address_space:  global
        .offset:         0
        .size:           8
        .value_kind:     global_buffer
      - .offset:         8
        .size:           3200
        .value_kind:     by_value
      - .offset:         3208
        .size:           4
        .value_kind:     by_value
      - .offset:         3216
        .size:           4
        .value_kind:     hidden_block_count_x
      - .offset:         3220
        .size:           4
        .value_kind:     hidden_block_count_y
      - .offset:         3224
        .size:           4
        .value_kind:     hidden_block_count_z
      - .offset:         3228
        .size:           2
        .value_kind:     hidden_group_size_x
      - .offset:         3230
        .size:           2
        .value_kind:     hidden_group_size_y
      - .offset:         3232
        .size:           2
        .value_kind:     hidden_group_size_z
      - .offset:         3234
        .size:           2
        .value_kind:     hidden_remainder_x
      - .offset:         3236
        .size:           2
        .value_kind:     hidden_remainder_y
      - .offset:         3238
        .size:           2
        .value_kind:     hidden_remainder_z
      - .offset:         3256
        .size:           8
        .value_kind:     hidden_global_offset_x
      - .offset:         3264
        .size:           8
        .value_kind:     hidden_global_offset_y
      - .offset:         3272
        .size:           8
        .value_kind:     hidden_global_offset_z
      - .offset:         3280
        .size:           2
        .value_kind:     hidden_grid_dims
    .group_segment_fixed_size: 4096
    .kernarg_segment_align: 8
    .kernarg_segment_size: 3472
    .language:       OpenCL C
    .language_version:
      - 2
      - 0
    .max_flat_workgroup_size: 1024
    .name:           _ZN2at6native14lpnorm_cleanupIN3c104HalfELNS0_8NormTypeE1EdLb1EdEEvPKT3_NS0_19TensorListAddressesEi
    .private_segment_fixed_size: 0
    .sgpr_count:     14
    .sgpr_spill_count: 0
    .symbol:         _ZN2at6native14lpnorm_cleanupIN3c104HalfELNS0_8NormTypeE1EdLb1EdEEvPKT3_NS0_19TensorListAddressesEi.kd
    .uniform_work_group_size: 1
    .uses_dynamic_stack: false
    .vgpr_count:     11
    .vgpr_spill_count: 0
    .wavefront_size: 32
  - .args:
      - .address_space:  global
        .offset:         0
        .size:           8
        .value_kind:     global_buffer
      - .offset:         8
        .size:           3200
        .value_kind:     by_value
      - .offset:         3208
        .size:           4
        .value_kind:     by_value
      - .offset:         3216
        .size:           4
        .value_kind:     hidden_block_count_x
      - .offset:         3220
        .size:           4
        .value_kind:     hidden_block_count_y
      - .offset:         3224
        .size:           4
        .value_kind:     hidden_block_count_z
      - .offset:         3228
        .size:           2
        .value_kind:     hidden_group_size_x
      - .offset:         3230
        .size:           2
        .value_kind:     hidden_group_size_y
      - .offset:         3232
        .size:           2
        .value_kind:     hidden_group_size_z
      - .offset:         3234
        .size:           2
        .value_kind:     hidden_remainder_x
      - .offset:         3236
        .size:           2
        .value_kind:     hidden_remainder_y
      - .offset:         3238
        .size:           2
        .value_kind:     hidden_remainder_z
      - .offset:         3256
        .size:           8
        .value_kind:     hidden_global_offset_x
      - .offset:         3264
        .size:           8
        .value_kind:     hidden_global_offset_y
      - .offset:         3272
        .size:           8
        .value_kind:     hidden_global_offset_z
      - .offset:         3280
        .size:           2
        .value_kind:     hidden_grid_dims
    .group_segment_fixed_size: 4096
    .kernarg_segment_align: 8
    .kernarg_segment_size: 3472
    .language:       OpenCL C
    .language_version:
      - 2
      - 0
    .max_flat_workgroup_size: 1024
    .name:           _ZN2at6native14lpnorm_cleanupIN3c104HalfELNS0_8NormTypeE2EdLb1EdEEvPKT3_NS0_19TensorListAddressesEi
    .private_segment_fixed_size: 0
    .sgpr_count:     14
    .sgpr_spill_count: 0
    .symbol:         _ZN2at6native14lpnorm_cleanupIN3c104HalfELNS0_8NormTypeE2EdLb1EdEEvPKT3_NS0_19TensorListAddressesEi.kd
    .uniform_work_group_size: 1
    .uses_dynamic_stack: false
    .vgpr_count:     11
    .vgpr_spill_count: 0
    .wavefront_size: 32
  - .args:
      - .address_space:  global
        .offset:         0
        .size:           8
        .value_kind:     global_buffer
      - .offset:         8
        .size:           3200
        .value_kind:     by_value
      - .offset:         3208
        .size:           4
        .value_kind:     by_value
      - .offset:         3216
        .size:           4
        .value_kind:     hidden_block_count_x
      - .offset:         3220
        .size:           4
        .value_kind:     hidden_block_count_y
      - .offset:         3224
        .size:           4
        .value_kind:     hidden_block_count_z
      - .offset:         3228
        .size:           2
        .value_kind:     hidden_group_size_x
      - .offset:         3230
        .size:           2
        .value_kind:     hidden_group_size_y
      - .offset:         3232
        .size:           2
        .value_kind:     hidden_group_size_z
      - .offset:         3234
        .size:           2
        .value_kind:     hidden_remainder_x
      - .offset:         3236
        .size:           2
        .value_kind:     hidden_remainder_y
      - .offset:         3238
        .size:           2
        .value_kind:     hidden_remainder_z
      - .offset:         3256
        .size:           8
        .value_kind:     hidden_global_offset_x
      - .offset:         3264
        .size:           8
        .value_kind:     hidden_global_offset_y
      - .offset:         3272
        .size:           8
        .value_kind:     hidden_global_offset_z
      - .offset:         3280
        .size:           2
        .value_kind:     hidden_grid_dims
    .group_segment_fixed_size: 4096
    .kernarg_segment_align: 8
    .kernarg_segment_size: 3472
    .language:       OpenCL C
    .language_version:
      - 2
      - 0
    .max_flat_workgroup_size: 1024
    .name:           _ZN2at6native14lpnorm_cleanupIN3c104HalfELNS0_8NormTypeE3EdLb1EdEEvPKT3_NS0_19TensorListAddressesEi
    .private_segment_fixed_size: 0
    .sgpr_count:     15
    .sgpr_spill_count: 0
    .symbol:         _ZN2at6native14lpnorm_cleanupIN3c104HalfELNS0_8NormTypeE3EdLb1EdEEvPKT3_NS0_19TensorListAddressesEi.kd
    .uniform_work_group_size: 1
    .uses_dynamic_stack: false
    .vgpr_count:     12
    .vgpr_spill_count: 0
    .wavefront_size: 32
  - .args:
      - .offset:         0
        .size:           3368
        .value_kind:     by_value
      - .offset:         3368
        .size:           1
        .value_kind:     by_value
      - .address_space:  global
        .offset:         3376
        .size:           8
        .value_kind:     global_buffer
      - .offset:         3384
        .size:           4
        .value_kind:     by_value
      - .offset:         3392
        .size:           4
        .value_kind:     hidden_block_count_x
      - .offset:         3396
        .size:           4
        .value_kind:     hidden_block_count_y
      - .offset:         3400
        .size:           4
        .value_kind:     hidden_block_count_z
      - .offset:         3404
        .size:           2
        .value_kind:     hidden_group_size_x
      - .offset:         3406
        .size:           2
        .value_kind:     hidden_group_size_y
      - .offset:         3408
        .size:           2
        .value_kind:     hidden_group_size_z
      - .offset:         3410
        .size:           2
        .value_kind:     hidden_remainder_x
      - .offset:         3412
        .size:           2
        .value_kind:     hidden_remainder_y
      - .offset:         3414
        .size:           2
        .value_kind:     hidden_remainder_z
      - .offset:         3432
        .size:           8
        .value_kind:     hidden_global_offset_x
      - .offset:         3440
        .size:           8
        .value_kind:     hidden_global_offset_y
      - .offset:         3448
        .size:           8
        .value_kind:     hidden_global_offset_z
      - .offset:         3456
        .size:           2
        .value_kind:     hidden_grid_dims
    .group_segment_fixed_size: 2048
    .kernarg_segment_align: 8
    .kernarg_segment_size: 3648
    .language:       OpenCL C
    .language_version:
      - 2
      - 0
    .max_flat_workgroup_size: 512
    .name:           _ZN2at6native12_GLOBAL__N_125multi_tensor_apply_kernelINS1_18TensorListMetadataILi1EEENS0_13LpNormFunctorIN3c104HalfELNS0_8NormTypeE0EfLi1ELi1ELi0EEEJPfiEEEvT_T0_DpT1_
    .private_segment_fixed_size: 0
    .sgpr_count:     16
    .sgpr_spill_count: 0
    .symbol:         _ZN2at6native12_GLOBAL__N_125multi_tensor_apply_kernelINS1_18TensorListMetadataILi1EEENS0_13LpNormFunctorIN3c104HalfELNS0_8NormTypeE0EfLi1ELi1ELi0EEEJPfiEEEvT_T0_DpT1_.kd
    .uniform_work_group_size: 1
    .uses_dynamic_stack: false
    .vgpr_count:     18
    .vgpr_spill_count: 0
    .wavefront_size: 32
  - .args:
      - .offset:         0
        .size:           3368
        .value_kind:     by_value
      - .offset:         3368
        .size:           1
        .value_kind:     by_value
      - .address_space:  global
        .offset:         3376
        .size:           8
        .value_kind:     global_buffer
      - .offset:         3384
        .size:           4
        .value_kind:     by_value
      - .offset:         3392
        .size:           4
        .value_kind:     hidden_block_count_x
      - .offset:         3396
        .size:           4
        .value_kind:     hidden_block_count_y
      - .offset:         3400
        .size:           4
        .value_kind:     hidden_block_count_z
      - .offset:         3404
        .size:           2
        .value_kind:     hidden_group_size_x
      - .offset:         3406
        .size:           2
        .value_kind:     hidden_group_size_y
      - .offset:         3408
        .size:           2
        .value_kind:     hidden_group_size_z
      - .offset:         3410
        .size:           2
        .value_kind:     hidden_remainder_x
      - .offset:         3412
        .size:           2
        .value_kind:     hidden_remainder_y
      - .offset:         3414
        .size:           2
        .value_kind:     hidden_remainder_z
      - .offset:         3432
        .size:           8
        .value_kind:     hidden_global_offset_x
      - .offset:         3440
        .size:           8
        .value_kind:     hidden_global_offset_y
      - .offset:         3448
        .size:           8
        .value_kind:     hidden_global_offset_z
      - .offset:         3456
        .size:           2
        .value_kind:     hidden_grid_dims
    .group_segment_fixed_size: 2048
    .kernarg_segment_align: 8
    .kernarg_segment_size: 3648
    .language:       OpenCL C
    .language_version:
      - 2
      - 0
    .max_flat_workgroup_size: 512
    .name:           _ZN2at6native12_GLOBAL__N_125multi_tensor_apply_kernelINS1_18TensorListMetadataILi1EEENS0_13LpNormFunctorIN3c104HalfELNS0_8NormTypeE1EfLi1ELi1ELi0EEEJPfiEEEvT_T0_DpT1_
    .private_segment_fixed_size: 0
    .sgpr_count:     16
    .sgpr_spill_count: 0
    .symbol:         _ZN2at6native12_GLOBAL__N_125multi_tensor_apply_kernelINS1_18TensorListMetadataILi1EEENS0_13LpNormFunctorIN3c104HalfELNS0_8NormTypeE1EfLi1ELi1ELi0EEEJPfiEEEvT_T0_DpT1_.kd
    .uniform_work_group_size: 1
    .uses_dynamic_stack: false
    .vgpr_count:     18
    .vgpr_spill_count: 0
    .wavefront_size: 32
  - .args:
      - .offset:         0
        .size:           3368
        .value_kind:     by_value
      - .offset:         3368
        .size:           1
        .value_kind:     by_value
      - .address_space:  global
        .offset:         3376
        .size:           8
        .value_kind:     global_buffer
      - .offset:         3384
        .size:           4
        .value_kind:     by_value
      - .offset:         3392
        .size:           4
        .value_kind:     hidden_block_count_x
      - .offset:         3396
        .size:           4
        .value_kind:     hidden_block_count_y
      - .offset:         3400
        .size:           4
        .value_kind:     hidden_block_count_z
      - .offset:         3404
        .size:           2
        .value_kind:     hidden_group_size_x
      - .offset:         3406
        .size:           2
        .value_kind:     hidden_group_size_y
      - .offset:         3408
        .size:           2
        .value_kind:     hidden_group_size_z
      - .offset:         3410
        .size:           2
        .value_kind:     hidden_remainder_x
      - .offset:         3412
        .size:           2
        .value_kind:     hidden_remainder_y
      - .offset:         3414
        .size:           2
        .value_kind:     hidden_remainder_z
      - .offset:         3432
        .size:           8
        .value_kind:     hidden_global_offset_x
      - .offset:         3440
        .size:           8
        .value_kind:     hidden_global_offset_y
      - .offset:         3448
        .size:           8
        .value_kind:     hidden_global_offset_z
      - .offset:         3456
        .size:           2
        .value_kind:     hidden_grid_dims
    .group_segment_fixed_size: 2048
    .kernarg_segment_align: 8
    .kernarg_segment_size: 3648
    .language:       OpenCL C
    .language_version:
      - 2
      - 0
    .max_flat_workgroup_size: 512
    .name:           _ZN2at6native12_GLOBAL__N_125multi_tensor_apply_kernelINS1_18TensorListMetadataILi1EEENS0_13LpNormFunctorIN3c104HalfELNS0_8NormTypeE2EfLi1ELi1ELi0EEEJPfiEEEvT_T0_DpT1_
    .private_segment_fixed_size: 0
    .sgpr_count:     16
    .sgpr_spill_count: 0
    .symbol:         _ZN2at6native12_GLOBAL__N_125multi_tensor_apply_kernelINS1_18TensorListMetadataILi1EEENS0_13LpNormFunctorIN3c104HalfELNS0_8NormTypeE2EfLi1ELi1ELi0EEEJPfiEEEvT_T0_DpT1_.kd
    .uniform_work_group_size: 1
    .uses_dynamic_stack: false
    .vgpr_count:     18
    .vgpr_spill_count: 0
    .wavefront_size: 32
  - .args:
      - .offset:         0
        .size:           3368
        .value_kind:     by_value
      - .offset:         3368
        .size:           1
        .value_kind:     by_value
      - .address_space:  global
        .offset:         3376
        .size:           8
        .value_kind:     global_buffer
      - .offset:         3384
        .size:           4
        .value_kind:     by_value
      - .offset:         3392
        .size:           4
        .value_kind:     hidden_block_count_x
      - .offset:         3396
        .size:           4
        .value_kind:     hidden_block_count_y
      - .offset:         3400
        .size:           4
        .value_kind:     hidden_block_count_z
      - .offset:         3404
        .size:           2
        .value_kind:     hidden_group_size_x
      - .offset:         3406
        .size:           2
        .value_kind:     hidden_group_size_y
      - .offset:         3408
        .size:           2
        .value_kind:     hidden_group_size_z
      - .offset:         3410
        .size:           2
        .value_kind:     hidden_remainder_x
      - .offset:         3412
        .size:           2
        .value_kind:     hidden_remainder_y
      - .offset:         3414
        .size:           2
        .value_kind:     hidden_remainder_z
      - .offset:         3432
        .size:           8
        .value_kind:     hidden_global_offset_x
      - .offset:         3440
        .size:           8
        .value_kind:     hidden_global_offset_y
      - .offset:         3448
        .size:           8
        .value_kind:     hidden_global_offset_z
      - .offset:         3456
        .size:           2
        .value_kind:     hidden_grid_dims
    .group_segment_fixed_size: 2048
    .kernarg_segment_align: 8
    .kernarg_segment_size: 3648
    .language:       OpenCL C
    .language_version:
      - 2
      - 0
    .max_flat_workgroup_size: 512
    .name:           _ZN2at6native12_GLOBAL__N_125multi_tensor_apply_kernelINS1_18TensorListMetadataILi1EEENS0_13LpNormFunctorIN3c104HalfELNS0_8NormTypeE3EfLi1ELi1ELi0EEEJPfiEEEvT_T0_DpT1_
    .private_segment_fixed_size: 0
    .sgpr_count:     18
    .sgpr_spill_count: 0
    .symbol:         _ZN2at6native12_GLOBAL__N_125multi_tensor_apply_kernelINS1_18TensorListMetadataILi1EEENS0_13LpNormFunctorIN3c104HalfELNS0_8NormTypeE3EfLi1ELi1ELi0EEEJPfiEEEvT_T0_DpT1_.kd
    .uniform_work_group_size: 1
    .uses_dynamic_stack: false
    .vgpr_count:     20
    .vgpr_spill_count: 0
    .wavefront_size: 32
  - .args:
      - .address_space:  global
        .offset:         0
        .size:           8
        .value_kind:     global_buffer
      - .offset:         8
        .size:           3200
        .value_kind:     by_value
      - .offset:         3208
        .size:           4
        .value_kind:     by_value
      - .offset:         3216
        .size:           4
        .value_kind:     hidden_block_count_x
      - .offset:         3220
        .size:           4
        .value_kind:     hidden_block_count_y
      - .offset:         3224
        .size:           4
        .value_kind:     hidden_block_count_z
      - .offset:         3228
        .size:           2
        .value_kind:     hidden_group_size_x
      - .offset:         3230
        .size:           2
        .value_kind:     hidden_group_size_y
      - .offset:         3232
        .size:           2
        .value_kind:     hidden_group_size_z
      - .offset:         3234
        .size:           2
        .value_kind:     hidden_remainder_x
      - .offset:         3236
        .size:           2
        .value_kind:     hidden_remainder_y
      - .offset:         3238
        .size:           2
        .value_kind:     hidden_remainder_z
      - .offset:         3256
        .size:           8
        .value_kind:     hidden_global_offset_x
      - .offset:         3264
        .size:           8
        .value_kind:     hidden_global_offset_y
      - .offset:         3272
        .size:           8
        .value_kind:     hidden_global_offset_z
      - .offset:         3280
        .size:           2
        .value_kind:     hidden_grid_dims
    .group_segment_fixed_size: 2048
    .kernarg_segment_align: 8
    .kernarg_segment_size: 3472
    .language:       OpenCL C
    .language_version:
      - 2
      - 0
    .max_flat_workgroup_size: 1024
    .name:           _ZN2at6native14lpnorm_cleanupIN3c104HalfELNS0_8NormTypeE0EfLb1EfEEvPKT3_NS0_19TensorListAddressesEi
    .private_segment_fixed_size: 0
    .sgpr_count:     14
    .sgpr_spill_count: 0
    .symbol:         _ZN2at6native14lpnorm_cleanupIN3c104HalfELNS0_8NormTypeE0EfLb1EfEEvPKT3_NS0_19TensorListAddressesEi.kd
    .uniform_work_group_size: 1
    .uses_dynamic_stack: false
    .vgpr_count:     9
    .vgpr_spill_count: 0
    .wavefront_size: 32
  - .args:
      - .address_space:  global
        .offset:         0
        .size:           8
        .value_kind:     global_buffer
      - .offset:         8
        .size:           3200
        .value_kind:     by_value
      - .offset:         3208
        .size:           4
        .value_kind:     by_value
      - .offset:         3216
        .size:           4
        .value_kind:     hidden_block_count_x
      - .offset:         3220
        .size:           4
        .value_kind:     hidden_block_count_y
      - .offset:         3224
        .size:           4
        .value_kind:     hidden_block_count_z
      - .offset:         3228
        .size:           2
        .value_kind:     hidden_group_size_x
      - .offset:         3230
        .size:           2
        .value_kind:     hidden_group_size_y
      - .offset:         3232
        .size:           2
        .value_kind:     hidden_group_size_z
      - .offset:         3234
        .size:           2
        .value_kind:     hidden_remainder_x
      - .offset:         3236
        .size:           2
        .value_kind:     hidden_remainder_y
      - .offset:         3238
        .size:           2
        .value_kind:     hidden_remainder_z
      - .offset:         3256
        .size:           8
        .value_kind:     hidden_global_offset_x
      - .offset:         3264
        .size:           8
        .value_kind:     hidden_global_offset_y
      - .offset:         3272
        .size:           8
        .value_kind:     hidden_global_offset_z
      - .offset:         3280
        .size:           2
        .value_kind:     hidden_grid_dims
    .group_segment_fixed_size: 2048
    .kernarg_segment_align: 8
    .kernarg_segment_size: 3472
    .language:       OpenCL C
    .language_version:
      - 2
      - 0
    .max_flat_workgroup_size: 1024
    .name:           _ZN2at6native14lpnorm_cleanupIN3c104HalfELNS0_8NormTypeE1EfLb1EfEEvPKT3_NS0_19TensorListAddressesEi
    .private_segment_fixed_size: 0
    .sgpr_count:     14
    .sgpr_spill_count: 0
    .symbol:         _ZN2at6native14lpnorm_cleanupIN3c104HalfELNS0_8NormTypeE1EfLb1EfEEvPKT3_NS0_19TensorListAddressesEi.kd
    .uniform_work_group_size: 1
    .uses_dynamic_stack: false
    .vgpr_count:     9
    .vgpr_spill_count: 0
    .wavefront_size: 32
  - .args:
      - .address_space:  global
        .offset:         0
        .size:           8
        .value_kind:     global_buffer
      - .offset:         8
        .size:           3200
        .value_kind:     by_value
      - .offset:         3208
        .size:           4
        .value_kind:     by_value
      - .offset:         3216
        .size:           4
        .value_kind:     hidden_block_count_x
      - .offset:         3220
        .size:           4
        .value_kind:     hidden_block_count_y
      - .offset:         3224
        .size:           4
        .value_kind:     hidden_block_count_z
      - .offset:         3228
        .size:           2
        .value_kind:     hidden_group_size_x
      - .offset:         3230
        .size:           2
        .value_kind:     hidden_group_size_y
      - .offset:         3232
        .size:           2
        .value_kind:     hidden_group_size_z
      - .offset:         3234
        .size:           2
        .value_kind:     hidden_remainder_x
      - .offset:         3236
        .size:           2
        .value_kind:     hidden_remainder_y
      - .offset:         3238
        .size:           2
        .value_kind:     hidden_remainder_z
      - .offset:         3256
        .size:           8
        .value_kind:     hidden_global_offset_x
      - .offset:         3264
        .size:           8
        .value_kind:     hidden_global_offset_y
      - .offset:         3272
        .size:           8
        .value_kind:     hidden_global_offset_z
      - .offset:         3280
        .size:           2
        .value_kind:     hidden_grid_dims
    .group_segment_fixed_size: 2048
    .kernarg_segment_align: 8
    .kernarg_segment_size: 3472
    .language:       OpenCL C
    .language_version:
      - 2
      - 0
    .max_flat_workgroup_size: 1024
    .name:           _ZN2at6native14lpnorm_cleanupIN3c104HalfELNS0_8NormTypeE2EfLb1EfEEvPKT3_NS0_19TensorListAddressesEi
    .private_segment_fixed_size: 0
    .sgpr_count:     14
    .sgpr_spill_count: 0
    .symbol:         _ZN2at6native14lpnorm_cleanupIN3c104HalfELNS0_8NormTypeE2EfLb1EfEEvPKT3_NS0_19TensorListAddressesEi.kd
    .uniform_work_group_size: 1
    .uses_dynamic_stack: false
    .vgpr_count:     9
    .vgpr_spill_count: 0
    .wavefront_size: 32
  - .args:
      - .address_space:  global
        .offset:         0
        .size:           8
        .value_kind:     global_buffer
      - .offset:         8
        .size:           3200
        .value_kind:     by_value
      - .offset:         3208
        .size:           4
        .value_kind:     by_value
      - .offset:         3216
        .size:           4
        .value_kind:     hidden_block_count_x
      - .offset:         3220
        .size:           4
        .value_kind:     hidden_block_count_y
      - .offset:         3224
        .size:           4
        .value_kind:     hidden_block_count_z
      - .offset:         3228
        .size:           2
        .value_kind:     hidden_group_size_x
      - .offset:         3230
        .size:           2
        .value_kind:     hidden_group_size_y
      - .offset:         3232
        .size:           2
        .value_kind:     hidden_group_size_z
      - .offset:         3234
        .size:           2
        .value_kind:     hidden_remainder_x
      - .offset:         3236
        .size:           2
        .value_kind:     hidden_remainder_y
      - .offset:         3238
        .size:           2
        .value_kind:     hidden_remainder_z
      - .offset:         3256
        .size:           8
        .value_kind:     hidden_global_offset_x
      - .offset:         3264
        .size:           8
        .value_kind:     hidden_global_offset_y
      - .offset:         3272
        .size:           8
        .value_kind:     hidden_global_offset_z
      - .offset:         3280
        .size:           2
        .value_kind:     hidden_grid_dims
    .group_segment_fixed_size: 2048
    .kernarg_segment_align: 8
    .kernarg_segment_size: 3472
    .language:       OpenCL C
    .language_version:
      - 2
      - 0
    .max_flat_workgroup_size: 1024
    .name:           _ZN2at6native14lpnorm_cleanupIN3c104HalfELNS0_8NormTypeE3EfLb1EfEEvPKT3_NS0_19TensorListAddressesEi
    .private_segment_fixed_size: 0
    .sgpr_count:     15
    .sgpr_spill_count: 0
    .symbol:         _ZN2at6native14lpnorm_cleanupIN3c104HalfELNS0_8NormTypeE3EfLb1EfEEvPKT3_NS0_19TensorListAddressesEi.kd
    .uniform_work_group_size: 1
    .uses_dynamic_stack: false
    .vgpr_count:     9
    .vgpr_spill_count: 0
    .wavefront_size: 32
  - .args:
      - .offset:         0
        .size:           3368
        .value_kind:     by_value
      - .offset:         3368
        .size:           1
        .value_kind:     by_value
      - .address_space:  global
        .offset:         3376
        .size:           8
        .value_kind:     global_buffer
      - .offset:         3384
        .size:           4
        .value_kind:     by_value
      - .offset:         3392
        .size:           4
        .value_kind:     hidden_block_count_x
      - .offset:         3396
        .size:           4
        .value_kind:     hidden_block_count_y
      - .offset:         3400
        .size:           4
        .value_kind:     hidden_block_count_z
      - .offset:         3404
        .size:           2
        .value_kind:     hidden_group_size_x
      - .offset:         3406
        .size:           2
        .value_kind:     hidden_group_size_y
      - .offset:         3408
        .size:           2
        .value_kind:     hidden_group_size_z
      - .offset:         3410
        .size:           2
        .value_kind:     hidden_remainder_x
      - .offset:         3412
        .size:           2
        .value_kind:     hidden_remainder_y
      - .offset:         3414
        .size:           2
        .value_kind:     hidden_remainder_z
      - .offset:         3432
        .size:           8
        .value_kind:     hidden_global_offset_x
      - .offset:         3440
        .size:           8
        .value_kind:     hidden_global_offset_y
      - .offset:         3448
        .size:           8
        .value_kind:     hidden_global_offset_z
      - .offset:         3456
        .size:           2
        .value_kind:     hidden_grid_dims
    .group_segment_fixed_size: 2048
    .kernarg_segment_align: 8
    .kernarg_segment_size: 3648
    .language:       OpenCL C
    .language_version:
      - 2
      - 0
    .max_flat_workgroup_size: 512
    .name:           _ZN2at6native12_GLOBAL__N_125multi_tensor_apply_kernelINS1_18TensorListMetadataILi1EEENS0_13LpNormFunctorIN3c104HalfELNS0_8NormTypeE0ES7_Li1ELi1ELi0EEEJPfiEEEvT_T0_DpT1_
    .private_segment_fixed_size: 0
    .sgpr_count:     16
    .sgpr_spill_count: 0
    .symbol:         _ZN2at6native12_GLOBAL__N_125multi_tensor_apply_kernelINS1_18TensorListMetadataILi1EEENS0_13LpNormFunctorIN3c104HalfELNS0_8NormTypeE0ES7_Li1ELi1ELi0EEEJPfiEEEvT_T0_DpT1_.kd
    .uniform_work_group_size: 1
    .uses_dynamic_stack: false
    .vgpr_count:     18
    .vgpr_spill_count: 0
    .wavefront_size: 32
  - .args:
      - .offset:         0
        .size:           3368
        .value_kind:     by_value
      - .offset:         3368
        .size:           1
        .value_kind:     by_value
      - .address_space:  global
        .offset:         3376
        .size:           8
        .value_kind:     global_buffer
      - .offset:         3384
        .size:           4
        .value_kind:     by_value
      - .offset:         3392
        .size:           4
        .value_kind:     hidden_block_count_x
      - .offset:         3396
        .size:           4
        .value_kind:     hidden_block_count_y
      - .offset:         3400
        .size:           4
        .value_kind:     hidden_block_count_z
      - .offset:         3404
        .size:           2
        .value_kind:     hidden_group_size_x
      - .offset:         3406
        .size:           2
        .value_kind:     hidden_group_size_y
      - .offset:         3408
        .size:           2
        .value_kind:     hidden_group_size_z
      - .offset:         3410
        .size:           2
        .value_kind:     hidden_remainder_x
      - .offset:         3412
        .size:           2
        .value_kind:     hidden_remainder_y
      - .offset:         3414
        .size:           2
        .value_kind:     hidden_remainder_z
      - .offset:         3432
        .size:           8
        .value_kind:     hidden_global_offset_x
      - .offset:         3440
        .size:           8
        .value_kind:     hidden_global_offset_y
      - .offset:         3448
        .size:           8
        .value_kind:     hidden_global_offset_z
      - .offset:         3456
        .size:           2
        .value_kind:     hidden_grid_dims
    .group_segment_fixed_size: 2048
    .kernarg_segment_align: 8
    .kernarg_segment_size: 3648
    .language:       OpenCL C
    .language_version:
      - 2
      - 0
    .max_flat_workgroup_size: 512
    .name:           _ZN2at6native12_GLOBAL__N_125multi_tensor_apply_kernelINS1_18TensorListMetadataILi1EEENS0_13LpNormFunctorIN3c104HalfELNS0_8NormTypeE1ES7_Li1ELi1ELi0EEEJPfiEEEvT_T0_DpT1_
    .private_segment_fixed_size: 0
    .sgpr_count:     16
    .sgpr_spill_count: 0
    .symbol:         _ZN2at6native12_GLOBAL__N_125multi_tensor_apply_kernelINS1_18TensorListMetadataILi1EEENS0_13LpNormFunctorIN3c104HalfELNS0_8NormTypeE1ES7_Li1ELi1ELi0EEEJPfiEEEvT_T0_DpT1_.kd
    .uniform_work_group_size: 1
    .uses_dynamic_stack: false
    .vgpr_count:     18
    .vgpr_spill_count: 0
    .wavefront_size: 32
  - .args:
      - .offset:         0
        .size:           3368
        .value_kind:     by_value
      - .offset:         3368
        .size:           1
        .value_kind:     by_value
      - .address_space:  global
        .offset:         3376
        .size:           8
        .value_kind:     global_buffer
      - .offset:         3384
        .size:           4
        .value_kind:     by_value
      - .offset:         3392
        .size:           4
        .value_kind:     hidden_block_count_x
      - .offset:         3396
        .size:           4
        .value_kind:     hidden_block_count_y
      - .offset:         3400
        .size:           4
        .value_kind:     hidden_block_count_z
      - .offset:         3404
        .size:           2
        .value_kind:     hidden_group_size_x
      - .offset:         3406
        .size:           2
        .value_kind:     hidden_group_size_y
      - .offset:         3408
        .size:           2
        .value_kind:     hidden_group_size_z
      - .offset:         3410
        .size:           2
        .value_kind:     hidden_remainder_x
      - .offset:         3412
        .size:           2
        .value_kind:     hidden_remainder_y
      - .offset:         3414
        .size:           2
        .value_kind:     hidden_remainder_z
      - .offset:         3432
        .size:           8
        .value_kind:     hidden_global_offset_x
      - .offset:         3440
        .size:           8
        .value_kind:     hidden_global_offset_y
      - .offset:         3448
        .size:           8
        .value_kind:     hidden_global_offset_z
      - .offset:         3456
        .size:           2
        .value_kind:     hidden_grid_dims
    .group_segment_fixed_size: 2048
    .kernarg_segment_align: 8
    .kernarg_segment_size: 3648
    .language:       OpenCL C
    .language_version:
      - 2
      - 0
    .max_flat_workgroup_size: 512
    .name:           _ZN2at6native12_GLOBAL__N_125multi_tensor_apply_kernelINS1_18TensorListMetadataILi1EEENS0_13LpNormFunctorIN3c104HalfELNS0_8NormTypeE2ES7_Li1ELi1ELi0EEEJPfiEEEvT_T0_DpT1_
    .private_segment_fixed_size: 0
    .sgpr_count:     16
    .sgpr_spill_count: 0
    .symbol:         _ZN2at6native12_GLOBAL__N_125multi_tensor_apply_kernelINS1_18TensorListMetadataILi1EEENS0_13LpNormFunctorIN3c104HalfELNS0_8NormTypeE2ES7_Li1ELi1ELi0EEEJPfiEEEvT_T0_DpT1_.kd
    .uniform_work_group_size: 1
    .uses_dynamic_stack: false
    .vgpr_count:     18
    .vgpr_spill_count: 0
    .wavefront_size: 32
  - .args:
      - .offset:         0
        .size:           3368
        .value_kind:     by_value
      - .offset:         3368
        .size:           1
        .value_kind:     by_value
      - .address_space:  global
        .offset:         3376
        .size:           8
        .value_kind:     global_buffer
      - .offset:         3384
        .size:           4
        .value_kind:     by_value
      - .offset:         3392
        .size:           4
        .value_kind:     hidden_block_count_x
      - .offset:         3396
        .size:           4
        .value_kind:     hidden_block_count_y
      - .offset:         3400
        .size:           4
        .value_kind:     hidden_block_count_z
      - .offset:         3404
        .size:           2
        .value_kind:     hidden_group_size_x
      - .offset:         3406
        .size:           2
        .value_kind:     hidden_group_size_y
      - .offset:         3408
        .size:           2
        .value_kind:     hidden_group_size_z
      - .offset:         3410
        .size:           2
        .value_kind:     hidden_remainder_x
      - .offset:         3412
        .size:           2
        .value_kind:     hidden_remainder_y
      - .offset:         3414
        .size:           2
        .value_kind:     hidden_remainder_z
      - .offset:         3432
        .size:           8
        .value_kind:     hidden_global_offset_x
      - .offset:         3440
        .size:           8
        .value_kind:     hidden_global_offset_y
      - .offset:         3448
        .size:           8
        .value_kind:     hidden_global_offset_z
      - .offset:         3456
        .size:           2
        .value_kind:     hidden_grid_dims
    .group_segment_fixed_size: 2048
    .kernarg_segment_align: 8
    .kernarg_segment_size: 3648
    .language:       OpenCL C
    .language_version:
      - 2
      - 0
    .max_flat_workgroup_size: 512
    .name:           _ZN2at6native12_GLOBAL__N_125multi_tensor_apply_kernelINS1_18TensorListMetadataILi1EEENS0_13LpNormFunctorIN3c104HalfELNS0_8NormTypeE3ES7_Li1ELi1ELi0EEEJPfiEEEvT_T0_DpT1_
    .private_segment_fixed_size: 0
    .sgpr_count:     18
    .sgpr_spill_count: 0
    .symbol:         _ZN2at6native12_GLOBAL__N_125multi_tensor_apply_kernelINS1_18TensorListMetadataILi1EEENS0_13LpNormFunctorIN3c104HalfELNS0_8NormTypeE3ES7_Li1ELi1ELi0EEEJPfiEEEvT_T0_DpT1_.kd
    .uniform_work_group_size: 1
    .uses_dynamic_stack: false
    .vgpr_count:     20
    .vgpr_spill_count: 0
    .wavefront_size: 32
  - .args:
      - .address_space:  global
        .offset:         0
        .size:           8
        .value_kind:     global_buffer
      - .offset:         8
        .size:           3200
        .value_kind:     by_value
      - .offset:         3208
        .size:           4
        .value_kind:     by_value
      - .offset:         3216
        .size:           4
        .value_kind:     hidden_block_count_x
      - .offset:         3220
        .size:           4
        .value_kind:     hidden_block_count_y
      - .offset:         3224
        .size:           4
        .value_kind:     hidden_block_count_z
      - .offset:         3228
        .size:           2
        .value_kind:     hidden_group_size_x
      - .offset:         3230
        .size:           2
        .value_kind:     hidden_group_size_y
      - .offset:         3232
        .size:           2
        .value_kind:     hidden_group_size_z
      - .offset:         3234
        .size:           2
        .value_kind:     hidden_remainder_x
      - .offset:         3236
        .size:           2
        .value_kind:     hidden_remainder_y
      - .offset:         3238
        .size:           2
        .value_kind:     hidden_remainder_z
      - .offset:         3256
        .size:           8
        .value_kind:     hidden_global_offset_x
      - .offset:         3264
        .size:           8
        .value_kind:     hidden_global_offset_y
      - .offset:         3272
        .size:           8
        .value_kind:     hidden_global_offset_z
      - .offset:         3280
        .size:           2
        .value_kind:     hidden_grid_dims
    .group_segment_fixed_size: 2048
    .kernarg_segment_align: 8
    .kernarg_segment_size: 3472
    .language:       OpenCL C
    .language_version:
      - 2
      - 0
    .max_flat_workgroup_size: 1024
    .name:           _ZN2at6native14lpnorm_cleanupIN3c104HalfELNS0_8NormTypeE0ES3_Lb1EfEEvPKT3_NS0_19TensorListAddressesEi
    .private_segment_fixed_size: 0
    .sgpr_count:     14
    .sgpr_spill_count: 0
    .symbol:         _ZN2at6native14lpnorm_cleanupIN3c104HalfELNS0_8NormTypeE0ES3_Lb1EfEEvPKT3_NS0_19TensorListAddressesEi.kd
    .uniform_work_group_size: 1
    .uses_dynamic_stack: false
    .vgpr_count:     9
    .vgpr_spill_count: 0
    .wavefront_size: 32
  - .args:
      - .address_space:  global
        .offset:         0
        .size:           8
        .value_kind:     global_buffer
      - .offset:         8
        .size:           3200
        .value_kind:     by_value
      - .offset:         3208
        .size:           4
        .value_kind:     by_value
      - .offset:         3216
        .size:           4
        .value_kind:     hidden_block_count_x
      - .offset:         3220
        .size:           4
        .value_kind:     hidden_block_count_y
      - .offset:         3224
        .size:           4
        .value_kind:     hidden_block_count_z
      - .offset:         3228
        .size:           2
        .value_kind:     hidden_group_size_x
      - .offset:         3230
        .size:           2
        .value_kind:     hidden_group_size_y
      - .offset:         3232
        .size:           2
        .value_kind:     hidden_group_size_z
      - .offset:         3234
        .size:           2
        .value_kind:     hidden_remainder_x
      - .offset:         3236
        .size:           2
        .value_kind:     hidden_remainder_y
      - .offset:         3238
        .size:           2
        .value_kind:     hidden_remainder_z
      - .offset:         3256
        .size:           8
        .value_kind:     hidden_global_offset_x
      - .offset:         3264
        .size:           8
        .value_kind:     hidden_global_offset_y
      - .offset:         3272
        .size:           8
        .value_kind:     hidden_global_offset_z
      - .offset:         3280
        .size:           2
        .value_kind:     hidden_grid_dims
    .group_segment_fixed_size: 2048
    .kernarg_segment_align: 8
    .kernarg_segment_size: 3472
    .language:       OpenCL C
    .language_version:
      - 2
      - 0
    .max_flat_workgroup_size: 1024
    .name:           _ZN2at6native14lpnorm_cleanupIN3c104HalfELNS0_8NormTypeE1ES3_Lb1EfEEvPKT3_NS0_19TensorListAddressesEi
    .private_segment_fixed_size: 0
    .sgpr_count:     14
    .sgpr_spill_count: 0
    .symbol:         _ZN2at6native14lpnorm_cleanupIN3c104HalfELNS0_8NormTypeE1ES3_Lb1EfEEvPKT3_NS0_19TensorListAddressesEi.kd
    .uniform_work_group_size: 1
    .uses_dynamic_stack: false
    .vgpr_count:     9
    .vgpr_spill_count: 0
    .wavefront_size: 32
  - .args:
      - .address_space:  global
        .offset:         0
        .size:           8
        .value_kind:     global_buffer
      - .offset:         8
        .size:           3200
        .value_kind:     by_value
      - .offset:         3208
        .size:           4
        .value_kind:     by_value
      - .offset:         3216
        .size:           4
        .value_kind:     hidden_block_count_x
      - .offset:         3220
        .size:           4
        .value_kind:     hidden_block_count_y
      - .offset:         3224
        .size:           4
        .value_kind:     hidden_block_count_z
      - .offset:         3228
        .size:           2
        .value_kind:     hidden_group_size_x
      - .offset:         3230
        .size:           2
        .value_kind:     hidden_group_size_y
      - .offset:         3232
        .size:           2
        .value_kind:     hidden_group_size_z
      - .offset:         3234
        .size:           2
        .value_kind:     hidden_remainder_x
      - .offset:         3236
        .size:           2
        .value_kind:     hidden_remainder_y
      - .offset:         3238
        .size:           2
        .value_kind:     hidden_remainder_z
      - .offset:         3256
        .size:           8
        .value_kind:     hidden_global_offset_x
      - .offset:         3264
        .size:           8
        .value_kind:     hidden_global_offset_y
      - .offset:         3272
        .size:           8
        .value_kind:     hidden_global_offset_z
      - .offset:         3280
        .size:           2
        .value_kind:     hidden_grid_dims
    .group_segment_fixed_size: 2048
    .kernarg_segment_align: 8
    .kernarg_segment_size: 3472
    .language:       OpenCL C
    .language_version:
      - 2
      - 0
    .max_flat_workgroup_size: 1024
    .name:           _ZN2at6native14lpnorm_cleanupIN3c104HalfELNS0_8NormTypeE2ES3_Lb1EfEEvPKT3_NS0_19TensorListAddressesEi
    .private_segment_fixed_size: 0
    .sgpr_count:     14
    .sgpr_spill_count: 0
    .symbol:         _ZN2at6native14lpnorm_cleanupIN3c104HalfELNS0_8NormTypeE2ES3_Lb1EfEEvPKT3_NS0_19TensorListAddressesEi.kd
    .uniform_work_group_size: 1
    .uses_dynamic_stack: false
    .vgpr_count:     9
    .vgpr_spill_count: 0
    .wavefront_size: 32
  - .args:
      - .address_space:  global
        .offset:         0
        .size:           8
        .value_kind:     global_buffer
      - .offset:         8
        .size:           3200
        .value_kind:     by_value
      - .offset:         3208
        .size:           4
        .value_kind:     by_value
      - .offset:         3216
        .size:           4
        .value_kind:     hidden_block_count_x
      - .offset:         3220
        .size:           4
        .value_kind:     hidden_block_count_y
      - .offset:         3224
        .size:           4
        .value_kind:     hidden_block_count_z
      - .offset:         3228
        .size:           2
        .value_kind:     hidden_group_size_x
      - .offset:         3230
        .size:           2
        .value_kind:     hidden_group_size_y
      - .offset:         3232
        .size:           2
        .value_kind:     hidden_group_size_z
      - .offset:         3234
        .size:           2
        .value_kind:     hidden_remainder_x
      - .offset:         3236
        .size:           2
        .value_kind:     hidden_remainder_y
      - .offset:         3238
        .size:           2
        .value_kind:     hidden_remainder_z
      - .offset:         3256
        .size:           8
        .value_kind:     hidden_global_offset_x
      - .offset:         3264
        .size:           8
        .value_kind:     hidden_global_offset_y
      - .offset:         3272
        .size:           8
        .value_kind:     hidden_global_offset_z
      - .offset:         3280
        .size:           2
        .value_kind:     hidden_grid_dims
    .group_segment_fixed_size: 2048
    .kernarg_segment_align: 8
    .kernarg_segment_size: 3472
    .language:       OpenCL C
    .language_version:
      - 2
      - 0
    .max_flat_workgroup_size: 1024
    .name:           _ZN2at6native14lpnorm_cleanupIN3c104HalfELNS0_8NormTypeE3ES3_Lb1EfEEvPKT3_NS0_19TensorListAddressesEi
    .private_segment_fixed_size: 0
    .sgpr_count:     15
    .sgpr_spill_count: 0
    .symbol:         _ZN2at6native14lpnorm_cleanupIN3c104HalfELNS0_8NormTypeE3ES3_Lb1EfEEvPKT3_NS0_19TensorListAddressesEi.kd
    .uniform_work_group_size: 1
    .uses_dynamic_stack: false
    .vgpr_count:     9
    .vgpr_spill_count: 0
    .wavefront_size: 32
  - .args:
      - .offset:         0
        .size:           3368
        .value_kind:     by_value
      - .offset:         3368
        .size:           1
        .value_kind:     by_value
      - .address_space:  global
        .offset:         3376
        .size:           8
        .value_kind:     global_buffer
      - .offset:         3384
        .size:           4
        .value_kind:     by_value
      - .offset:         3392
        .size:           4
        .value_kind:     hidden_block_count_x
      - .offset:         3396
        .size:           4
        .value_kind:     hidden_block_count_y
      - .offset:         3400
        .size:           4
        .value_kind:     hidden_block_count_z
      - .offset:         3404
        .size:           2
        .value_kind:     hidden_group_size_x
      - .offset:         3406
        .size:           2
        .value_kind:     hidden_group_size_y
      - .offset:         3408
        .size:           2
        .value_kind:     hidden_group_size_z
      - .offset:         3410
        .size:           2
        .value_kind:     hidden_remainder_x
      - .offset:         3412
        .size:           2
        .value_kind:     hidden_remainder_y
      - .offset:         3414
        .size:           2
        .value_kind:     hidden_remainder_z
      - .offset:         3432
        .size:           8
        .value_kind:     hidden_global_offset_x
      - .offset:         3440
        .size:           8
        .value_kind:     hidden_global_offset_y
      - .offset:         3448
        .size:           8
        .value_kind:     hidden_global_offset_z
      - .offset:         3456
        .size:           2
        .value_kind:     hidden_grid_dims
    .group_segment_fixed_size: 2048
    .kernarg_segment_align: 8
    .kernarg_segment_size: 3648
    .language:       OpenCL C
    .language_version:
      - 2
      - 0
    .max_flat_workgroup_size: 512
    .name:           _ZN2at6native12_GLOBAL__N_125multi_tensor_apply_kernelINS1_18TensorListMetadataILi1EEENS0_13LpNormFunctorIN3c104HalfELNS0_8NormTypeE0ENS6_8BFloat16ELi1ELi1ELi0EEEJPfiEEEvT_T0_DpT1_
    .private_segment_fixed_size: 0
    .sgpr_count:     16
    .sgpr_spill_count: 0
    .symbol:         _ZN2at6native12_GLOBAL__N_125multi_tensor_apply_kernelINS1_18TensorListMetadataILi1EEENS0_13LpNormFunctorIN3c104HalfELNS0_8NormTypeE0ENS6_8BFloat16ELi1ELi1ELi0EEEJPfiEEEvT_T0_DpT1_.kd
    .uniform_work_group_size: 1
    .uses_dynamic_stack: false
    .vgpr_count:     18
    .vgpr_spill_count: 0
    .wavefront_size: 32
  - .args:
      - .offset:         0
        .size:           3368
        .value_kind:     by_value
      - .offset:         3368
        .size:           1
        .value_kind:     by_value
      - .address_space:  global
        .offset:         3376
        .size:           8
        .value_kind:     global_buffer
      - .offset:         3384
        .size:           4
        .value_kind:     by_value
      - .offset:         3392
        .size:           4
        .value_kind:     hidden_block_count_x
      - .offset:         3396
        .size:           4
        .value_kind:     hidden_block_count_y
      - .offset:         3400
        .size:           4
        .value_kind:     hidden_block_count_z
      - .offset:         3404
        .size:           2
        .value_kind:     hidden_group_size_x
      - .offset:         3406
        .size:           2
        .value_kind:     hidden_group_size_y
      - .offset:         3408
        .size:           2
        .value_kind:     hidden_group_size_z
      - .offset:         3410
        .size:           2
        .value_kind:     hidden_remainder_x
      - .offset:         3412
        .size:           2
        .value_kind:     hidden_remainder_y
      - .offset:         3414
        .size:           2
        .value_kind:     hidden_remainder_z
      - .offset:         3432
        .size:           8
        .value_kind:     hidden_global_offset_x
      - .offset:         3440
        .size:           8
        .value_kind:     hidden_global_offset_y
      - .offset:         3448
        .size:           8
        .value_kind:     hidden_global_offset_z
      - .offset:         3456
        .size:           2
        .value_kind:     hidden_grid_dims
    .group_segment_fixed_size: 2048
    .kernarg_segment_align: 8
    .kernarg_segment_size: 3648
    .language:       OpenCL C
    .language_version:
      - 2
      - 0
    .max_flat_workgroup_size: 512
    .name:           _ZN2at6native12_GLOBAL__N_125multi_tensor_apply_kernelINS1_18TensorListMetadataILi1EEENS0_13LpNormFunctorIN3c104HalfELNS0_8NormTypeE1ENS6_8BFloat16ELi1ELi1ELi0EEEJPfiEEEvT_T0_DpT1_
    .private_segment_fixed_size: 0
    .sgpr_count:     16
    .sgpr_spill_count: 0
    .symbol:         _ZN2at6native12_GLOBAL__N_125multi_tensor_apply_kernelINS1_18TensorListMetadataILi1EEENS0_13LpNormFunctorIN3c104HalfELNS0_8NormTypeE1ENS6_8BFloat16ELi1ELi1ELi0EEEJPfiEEEvT_T0_DpT1_.kd
    .uniform_work_group_size: 1
    .uses_dynamic_stack: false
    .vgpr_count:     18
    .vgpr_spill_count: 0
    .wavefront_size: 32
  - .args:
      - .offset:         0
        .size:           3368
        .value_kind:     by_value
      - .offset:         3368
        .size:           1
        .value_kind:     by_value
      - .address_space:  global
        .offset:         3376
        .size:           8
        .value_kind:     global_buffer
      - .offset:         3384
        .size:           4
        .value_kind:     by_value
      - .offset:         3392
        .size:           4
        .value_kind:     hidden_block_count_x
      - .offset:         3396
        .size:           4
        .value_kind:     hidden_block_count_y
      - .offset:         3400
        .size:           4
        .value_kind:     hidden_block_count_z
      - .offset:         3404
        .size:           2
        .value_kind:     hidden_group_size_x
      - .offset:         3406
        .size:           2
        .value_kind:     hidden_group_size_y
      - .offset:         3408
        .size:           2
        .value_kind:     hidden_group_size_z
      - .offset:         3410
        .size:           2
        .value_kind:     hidden_remainder_x
      - .offset:         3412
        .size:           2
        .value_kind:     hidden_remainder_y
      - .offset:         3414
        .size:           2
        .value_kind:     hidden_remainder_z
      - .offset:         3432
        .size:           8
        .value_kind:     hidden_global_offset_x
      - .offset:         3440
        .size:           8
        .value_kind:     hidden_global_offset_y
      - .offset:         3448
        .size:           8
        .value_kind:     hidden_global_offset_z
      - .offset:         3456
        .size:           2
        .value_kind:     hidden_grid_dims
    .group_segment_fixed_size: 2048
    .kernarg_segment_align: 8
    .kernarg_segment_size: 3648
    .language:       OpenCL C
    .language_version:
      - 2
      - 0
    .max_flat_workgroup_size: 512
    .name:           _ZN2at6native12_GLOBAL__N_125multi_tensor_apply_kernelINS1_18TensorListMetadataILi1EEENS0_13LpNormFunctorIN3c104HalfELNS0_8NormTypeE2ENS6_8BFloat16ELi1ELi1ELi0EEEJPfiEEEvT_T0_DpT1_
    .private_segment_fixed_size: 0
    .sgpr_count:     16
    .sgpr_spill_count: 0
    .symbol:         _ZN2at6native12_GLOBAL__N_125multi_tensor_apply_kernelINS1_18TensorListMetadataILi1EEENS0_13LpNormFunctorIN3c104HalfELNS0_8NormTypeE2ENS6_8BFloat16ELi1ELi1ELi0EEEJPfiEEEvT_T0_DpT1_.kd
    .uniform_work_group_size: 1
    .uses_dynamic_stack: false
    .vgpr_count:     18
    .vgpr_spill_count: 0
    .wavefront_size: 32
  - .args:
      - .offset:         0
        .size:           3368
        .value_kind:     by_value
      - .offset:         3368
        .size:           1
        .value_kind:     by_value
      - .address_space:  global
        .offset:         3376
        .size:           8
        .value_kind:     global_buffer
      - .offset:         3384
        .size:           4
        .value_kind:     by_value
      - .offset:         3392
        .size:           4
        .value_kind:     hidden_block_count_x
      - .offset:         3396
        .size:           4
        .value_kind:     hidden_block_count_y
      - .offset:         3400
        .size:           4
        .value_kind:     hidden_block_count_z
      - .offset:         3404
        .size:           2
        .value_kind:     hidden_group_size_x
      - .offset:         3406
        .size:           2
        .value_kind:     hidden_group_size_y
      - .offset:         3408
        .size:           2
        .value_kind:     hidden_group_size_z
      - .offset:         3410
        .size:           2
        .value_kind:     hidden_remainder_x
      - .offset:         3412
        .size:           2
        .value_kind:     hidden_remainder_y
      - .offset:         3414
        .size:           2
        .value_kind:     hidden_remainder_z
      - .offset:         3432
        .size:           8
        .value_kind:     hidden_global_offset_x
      - .offset:         3440
        .size:           8
        .value_kind:     hidden_global_offset_y
      - .offset:         3448
        .size:           8
        .value_kind:     hidden_global_offset_z
      - .offset:         3456
        .size:           2
        .value_kind:     hidden_grid_dims
    .group_segment_fixed_size: 2048
    .kernarg_segment_align: 8
    .kernarg_segment_size: 3648
    .language:       OpenCL C
    .language_version:
      - 2
      - 0
    .max_flat_workgroup_size: 512
    .name:           _ZN2at6native12_GLOBAL__N_125multi_tensor_apply_kernelINS1_18TensorListMetadataILi1EEENS0_13LpNormFunctorIN3c104HalfELNS0_8NormTypeE3ENS6_8BFloat16ELi1ELi1ELi0EEEJPfiEEEvT_T0_DpT1_
    .private_segment_fixed_size: 0
    .sgpr_count:     18
    .sgpr_spill_count: 0
    .symbol:         _ZN2at6native12_GLOBAL__N_125multi_tensor_apply_kernelINS1_18TensorListMetadataILi1EEENS0_13LpNormFunctorIN3c104HalfELNS0_8NormTypeE3ENS6_8BFloat16ELi1ELi1ELi0EEEJPfiEEEvT_T0_DpT1_.kd
    .uniform_work_group_size: 1
    .uses_dynamic_stack: false
    .vgpr_count:     20
    .vgpr_spill_count: 0
    .wavefront_size: 32
  - .args:
      - .address_space:  global
        .offset:         0
        .size:           8
        .value_kind:     global_buffer
      - .offset:         8
        .size:           3200
        .value_kind:     by_value
      - .offset:         3208
        .size:           4
        .value_kind:     by_value
      - .offset:         3216
        .size:           4
        .value_kind:     hidden_block_count_x
      - .offset:         3220
        .size:           4
        .value_kind:     hidden_block_count_y
      - .offset:         3224
        .size:           4
        .value_kind:     hidden_block_count_z
      - .offset:         3228
        .size:           2
        .value_kind:     hidden_group_size_x
      - .offset:         3230
        .size:           2
        .value_kind:     hidden_group_size_y
      - .offset:         3232
        .size:           2
        .value_kind:     hidden_group_size_z
      - .offset:         3234
        .size:           2
        .value_kind:     hidden_remainder_x
      - .offset:         3236
        .size:           2
        .value_kind:     hidden_remainder_y
      - .offset:         3238
        .size:           2
        .value_kind:     hidden_remainder_z
      - .offset:         3256
        .size:           8
        .value_kind:     hidden_global_offset_x
      - .offset:         3264
        .size:           8
        .value_kind:     hidden_global_offset_y
      - .offset:         3272
        .size:           8
        .value_kind:     hidden_global_offset_z
      - .offset:         3280
        .size:           2
        .value_kind:     hidden_grid_dims
    .group_segment_fixed_size: 2048
    .kernarg_segment_align: 8
    .kernarg_segment_size: 3472
    .language:       OpenCL C
    .language_version:
      - 2
      - 0
    .max_flat_workgroup_size: 1024
    .name:           _ZN2at6native14lpnorm_cleanupIN3c104HalfELNS0_8NormTypeE0ENS2_8BFloat16ELb1EfEEvPKT3_NS0_19TensorListAddressesEi
    .private_segment_fixed_size: 0
    .sgpr_count:     14
    .sgpr_spill_count: 0
    .symbol:         _ZN2at6native14lpnorm_cleanupIN3c104HalfELNS0_8NormTypeE0ENS2_8BFloat16ELb1EfEEvPKT3_NS0_19TensorListAddressesEi.kd
    .uniform_work_group_size: 1
    .uses_dynamic_stack: false
    .vgpr_count:     9
    .vgpr_spill_count: 0
    .wavefront_size: 32
  - .args:
      - .address_space:  global
        .offset:         0
        .size:           8
        .value_kind:     global_buffer
      - .offset:         8
        .size:           3200
        .value_kind:     by_value
      - .offset:         3208
        .size:           4
        .value_kind:     by_value
      - .offset:         3216
        .size:           4
        .value_kind:     hidden_block_count_x
      - .offset:         3220
        .size:           4
        .value_kind:     hidden_block_count_y
      - .offset:         3224
        .size:           4
        .value_kind:     hidden_block_count_z
      - .offset:         3228
        .size:           2
        .value_kind:     hidden_group_size_x
      - .offset:         3230
        .size:           2
        .value_kind:     hidden_group_size_y
      - .offset:         3232
        .size:           2
        .value_kind:     hidden_group_size_z
      - .offset:         3234
        .size:           2
        .value_kind:     hidden_remainder_x
      - .offset:         3236
        .size:           2
        .value_kind:     hidden_remainder_y
      - .offset:         3238
        .size:           2
        .value_kind:     hidden_remainder_z
      - .offset:         3256
        .size:           8
        .value_kind:     hidden_global_offset_x
      - .offset:         3264
        .size:           8
        .value_kind:     hidden_global_offset_y
      - .offset:         3272
        .size:           8
        .value_kind:     hidden_global_offset_z
      - .offset:         3280
        .size:           2
        .value_kind:     hidden_grid_dims
    .group_segment_fixed_size: 2048
    .kernarg_segment_align: 8
    .kernarg_segment_size: 3472
    .language:       OpenCL C
    .language_version:
      - 2
      - 0
    .max_flat_workgroup_size: 1024
    .name:           _ZN2at6native14lpnorm_cleanupIN3c104HalfELNS0_8NormTypeE1ENS2_8BFloat16ELb1EfEEvPKT3_NS0_19TensorListAddressesEi
    .private_segment_fixed_size: 0
    .sgpr_count:     14
    .sgpr_spill_count: 0
    .symbol:         _ZN2at6native14lpnorm_cleanupIN3c104HalfELNS0_8NormTypeE1ENS2_8BFloat16ELb1EfEEvPKT3_NS0_19TensorListAddressesEi.kd
    .uniform_work_group_size: 1
    .uses_dynamic_stack: false
    .vgpr_count:     9
    .vgpr_spill_count: 0
    .wavefront_size: 32
  - .args:
      - .address_space:  global
        .offset:         0
        .size:           8
        .value_kind:     global_buffer
      - .offset:         8
        .size:           3200
        .value_kind:     by_value
      - .offset:         3208
        .size:           4
        .value_kind:     by_value
      - .offset:         3216
        .size:           4
        .value_kind:     hidden_block_count_x
      - .offset:         3220
        .size:           4
        .value_kind:     hidden_block_count_y
      - .offset:         3224
        .size:           4
        .value_kind:     hidden_block_count_z
      - .offset:         3228
        .size:           2
        .value_kind:     hidden_group_size_x
      - .offset:         3230
        .size:           2
        .value_kind:     hidden_group_size_y
      - .offset:         3232
        .size:           2
        .value_kind:     hidden_group_size_z
      - .offset:         3234
        .size:           2
        .value_kind:     hidden_remainder_x
      - .offset:         3236
        .size:           2
        .value_kind:     hidden_remainder_y
      - .offset:         3238
        .size:           2
        .value_kind:     hidden_remainder_z
      - .offset:         3256
        .size:           8
        .value_kind:     hidden_global_offset_x
      - .offset:         3264
        .size:           8
        .value_kind:     hidden_global_offset_y
      - .offset:         3272
        .size:           8
        .value_kind:     hidden_global_offset_z
      - .offset:         3280
        .size:           2
        .value_kind:     hidden_grid_dims
    .group_segment_fixed_size: 2048
    .kernarg_segment_align: 8
    .kernarg_segment_size: 3472
    .language:       OpenCL C
    .language_version:
      - 2
      - 0
    .max_flat_workgroup_size: 1024
    .name:           _ZN2at6native14lpnorm_cleanupIN3c104HalfELNS0_8NormTypeE2ENS2_8BFloat16ELb1EfEEvPKT3_NS0_19TensorListAddressesEi
    .private_segment_fixed_size: 0
    .sgpr_count:     14
    .sgpr_spill_count: 0
    .symbol:         _ZN2at6native14lpnorm_cleanupIN3c104HalfELNS0_8NormTypeE2ENS2_8BFloat16ELb1EfEEvPKT3_NS0_19TensorListAddressesEi.kd
    .uniform_work_group_size: 1
    .uses_dynamic_stack: false
    .vgpr_count:     9
    .vgpr_spill_count: 0
    .wavefront_size: 32
  - .args:
      - .address_space:  global
        .offset:         0
        .size:           8
        .value_kind:     global_buffer
      - .offset:         8
        .size:           3200
        .value_kind:     by_value
      - .offset:         3208
        .size:           4
        .value_kind:     by_value
      - .offset:         3216
        .size:           4
        .value_kind:     hidden_block_count_x
      - .offset:         3220
        .size:           4
        .value_kind:     hidden_block_count_y
      - .offset:         3224
        .size:           4
        .value_kind:     hidden_block_count_z
      - .offset:         3228
        .size:           2
        .value_kind:     hidden_group_size_x
      - .offset:         3230
        .size:           2
        .value_kind:     hidden_group_size_y
      - .offset:         3232
        .size:           2
        .value_kind:     hidden_group_size_z
      - .offset:         3234
        .size:           2
        .value_kind:     hidden_remainder_x
      - .offset:         3236
        .size:           2
        .value_kind:     hidden_remainder_y
      - .offset:         3238
        .size:           2
        .value_kind:     hidden_remainder_z
      - .offset:         3256
        .size:           8
        .value_kind:     hidden_global_offset_x
      - .offset:         3264
        .size:           8
        .value_kind:     hidden_global_offset_y
      - .offset:         3272
        .size:           8
        .value_kind:     hidden_global_offset_z
      - .offset:         3280
        .size:           2
        .value_kind:     hidden_grid_dims
    .group_segment_fixed_size: 2048
    .kernarg_segment_align: 8
    .kernarg_segment_size: 3472
    .language:       OpenCL C
    .language_version:
      - 2
      - 0
    .max_flat_workgroup_size: 1024
    .name:           _ZN2at6native14lpnorm_cleanupIN3c104HalfELNS0_8NormTypeE3ENS2_8BFloat16ELb1EfEEvPKT3_NS0_19TensorListAddressesEi
    .private_segment_fixed_size: 0
    .sgpr_count:     15
    .sgpr_spill_count: 0
    .symbol:         _ZN2at6native14lpnorm_cleanupIN3c104HalfELNS0_8NormTypeE3ENS2_8BFloat16ELb1EfEEvPKT3_NS0_19TensorListAddressesEi.kd
    .uniform_work_group_size: 1
    .uses_dynamic_stack: false
    .vgpr_count:     9
    .vgpr_spill_count: 0
    .wavefront_size: 32
  - .args:
      - .offset:         0
        .size:           3368
        .value_kind:     by_value
      - .offset:         3368
        .size:           1
        .value_kind:     by_value
      - .address_space:  global
        .offset:         3376
        .size:           8
        .value_kind:     global_buffer
      - .offset:         3384
        .size:           4
        .value_kind:     by_value
      - .offset:         3392
        .size:           4
        .value_kind:     hidden_block_count_x
      - .offset:         3396
        .size:           4
        .value_kind:     hidden_block_count_y
      - .offset:         3400
        .size:           4
        .value_kind:     hidden_block_count_z
      - .offset:         3404
        .size:           2
        .value_kind:     hidden_group_size_x
      - .offset:         3406
        .size:           2
        .value_kind:     hidden_group_size_y
      - .offset:         3408
        .size:           2
        .value_kind:     hidden_group_size_z
      - .offset:         3410
        .size:           2
        .value_kind:     hidden_remainder_x
      - .offset:         3412
        .size:           2
        .value_kind:     hidden_remainder_y
      - .offset:         3414
        .size:           2
        .value_kind:     hidden_remainder_z
      - .offset:         3432
        .size:           8
        .value_kind:     hidden_global_offset_x
      - .offset:         3440
        .size:           8
        .value_kind:     hidden_global_offset_y
      - .offset:         3448
        .size:           8
        .value_kind:     hidden_global_offset_z
      - .offset:         3456
        .size:           2
        .value_kind:     hidden_grid_dims
    .group_segment_fixed_size: 4096
    .kernarg_segment_align: 8
    .kernarg_segment_size: 3648
    .language:       OpenCL C
    .language_version:
      - 2
      - 0
    .max_flat_workgroup_size: 512
    .name:           _ZN2at6native12_GLOBAL__N_125multi_tensor_apply_kernelINS1_18TensorListMetadataILi1EEENS0_13LpNormFunctorIN3c108BFloat16ELNS0_8NormTypeE0EdLi1ELi1ELi0EEEJPdiEEEvT_T0_DpT1_
    .private_segment_fixed_size: 0
    .sgpr_count:     16
    .sgpr_spill_count: 0
    .symbol:         _ZN2at6native12_GLOBAL__N_125multi_tensor_apply_kernelINS1_18TensorListMetadataILi1EEENS0_13LpNormFunctorIN3c108BFloat16ELNS0_8NormTypeE0EdLi1ELi1ELi0EEEJPdiEEEvT_T0_DpT1_.kd
    .uniform_work_group_size: 1
    .uses_dynamic_stack: false
    .vgpr_count:     34
    .vgpr_spill_count: 0
    .wavefront_size: 32
  - .args:
      - .offset:         0
        .size:           3368
        .value_kind:     by_value
      - .offset:         3368
        .size:           1
        .value_kind:     by_value
      - .address_space:  global
        .offset:         3376
        .size:           8
        .value_kind:     global_buffer
      - .offset:         3384
        .size:           4
        .value_kind:     by_value
      - .offset:         3392
        .size:           4
        .value_kind:     hidden_block_count_x
      - .offset:         3396
        .size:           4
        .value_kind:     hidden_block_count_y
      - .offset:         3400
        .size:           4
        .value_kind:     hidden_block_count_z
      - .offset:         3404
        .size:           2
        .value_kind:     hidden_group_size_x
      - .offset:         3406
        .size:           2
        .value_kind:     hidden_group_size_y
      - .offset:         3408
        .size:           2
        .value_kind:     hidden_group_size_z
      - .offset:         3410
        .size:           2
        .value_kind:     hidden_remainder_x
      - .offset:         3412
        .size:           2
        .value_kind:     hidden_remainder_y
      - .offset:         3414
        .size:           2
        .value_kind:     hidden_remainder_z
      - .offset:         3432
        .size:           8
        .value_kind:     hidden_global_offset_x
      - .offset:         3440
        .size:           8
        .value_kind:     hidden_global_offset_y
      - .offset:         3448
        .size:           8
        .value_kind:     hidden_global_offset_z
      - .offset:         3456
        .size:           2
        .value_kind:     hidden_grid_dims
    .group_segment_fixed_size: 4096
    .kernarg_segment_align: 8
    .kernarg_segment_size: 3648
    .language:       OpenCL C
    .language_version:
      - 2
      - 0
    .max_flat_workgroup_size: 512
    .name:           _ZN2at6native12_GLOBAL__N_125multi_tensor_apply_kernelINS1_18TensorListMetadataILi1EEENS0_13LpNormFunctorIN3c108BFloat16ELNS0_8NormTypeE1EdLi1ELi1ELi0EEEJPdiEEEvT_T0_DpT1_
    .private_segment_fixed_size: 0
    .sgpr_count:     16
    .sgpr_spill_count: 0
    .symbol:         _ZN2at6native12_GLOBAL__N_125multi_tensor_apply_kernelINS1_18TensorListMetadataILi1EEENS0_13LpNormFunctorIN3c108BFloat16ELNS0_8NormTypeE1EdLi1ELi1ELi0EEEJPdiEEEvT_T0_DpT1_.kd
    .uniform_work_group_size: 1
    .uses_dynamic_stack: false
    .vgpr_count:     26
    .vgpr_spill_count: 0
    .wavefront_size: 32
  - .args:
      - .offset:         0
        .size:           3368
        .value_kind:     by_value
      - .offset:         3368
        .size:           1
        .value_kind:     by_value
      - .address_space:  global
        .offset:         3376
        .size:           8
        .value_kind:     global_buffer
      - .offset:         3384
        .size:           4
        .value_kind:     by_value
      - .offset:         3392
        .size:           4
        .value_kind:     hidden_block_count_x
      - .offset:         3396
        .size:           4
        .value_kind:     hidden_block_count_y
      - .offset:         3400
        .size:           4
        .value_kind:     hidden_block_count_z
      - .offset:         3404
        .size:           2
        .value_kind:     hidden_group_size_x
      - .offset:         3406
        .size:           2
        .value_kind:     hidden_group_size_y
      - .offset:         3408
        .size:           2
        .value_kind:     hidden_group_size_z
      - .offset:         3410
        .size:           2
        .value_kind:     hidden_remainder_x
      - .offset:         3412
        .size:           2
        .value_kind:     hidden_remainder_y
      - .offset:         3414
        .size:           2
        .value_kind:     hidden_remainder_z
      - .offset:         3432
        .size:           8
        .value_kind:     hidden_global_offset_x
      - .offset:         3440
        .size:           8
        .value_kind:     hidden_global_offset_y
      - .offset:         3448
        .size:           8
        .value_kind:     hidden_global_offset_z
      - .offset:         3456
        .size:           2
        .value_kind:     hidden_grid_dims
    .group_segment_fixed_size: 4096
    .kernarg_segment_align: 8
    .kernarg_segment_size: 3648
    .language:       OpenCL C
    .language_version:
      - 2
      - 0
    .max_flat_workgroup_size: 512
    .name:           _ZN2at6native12_GLOBAL__N_125multi_tensor_apply_kernelINS1_18TensorListMetadataILi1EEENS0_13LpNormFunctorIN3c108BFloat16ELNS0_8NormTypeE2EdLi1ELi1ELi0EEEJPdiEEEvT_T0_DpT1_
    .private_segment_fixed_size: 0
    .sgpr_count:     16
    .sgpr_spill_count: 0
    .symbol:         _ZN2at6native12_GLOBAL__N_125multi_tensor_apply_kernelINS1_18TensorListMetadataILi1EEENS0_13LpNormFunctorIN3c108BFloat16ELNS0_8NormTypeE2EdLi1ELi1ELi0EEEJPdiEEEvT_T0_DpT1_.kd
    .uniform_work_group_size: 1
    .uses_dynamic_stack: false
    .vgpr_count:     26
    .vgpr_spill_count: 0
    .wavefront_size: 32
  - .args:
      - .offset:         0
        .size:           3368
        .value_kind:     by_value
      - .offset:         3368
        .size:           1
        .value_kind:     by_value
      - .address_space:  global
        .offset:         3376
        .size:           8
        .value_kind:     global_buffer
      - .offset:         3384
        .size:           4
        .value_kind:     by_value
      - .offset:         3392
        .size:           4
        .value_kind:     hidden_block_count_x
      - .offset:         3396
        .size:           4
        .value_kind:     hidden_block_count_y
      - .offset:         3400
        .size:           4
        .value_kind:     hidden_block_count_z
      - .offset:         3404
        .size:           2
        .value_kind:     hidden_group_size_x
      - .offset:         3406
        .size:           2
        .value_kind:     hidden_group_size_y
      - .offset:         3408
        .size:           2
        .value_kind:     hidden_group_size_z
      - .offset:         3410
        .size:           2
        .value_kind:     hidden_remainder_x
      - .offset:         3412
        .size:           2
        .value_kind:     hidden_remainder_y
      - .offset:         3414
        .size:           2
        .value_kind:     hidden_remainder_z
      - .offset:         3432
        .size:           8
        .value_kind:     hidden_global_offset_x
      - .offset:         3440
        .size:           8
        .value_kind:     hidden_global_offset_y
      - .offset:         3448
        .size:           8
        .value_kind:     hidden_global_offset_z
      - .offset:         3456
        .size:           2
        .value_kind:     hidden_grid_dims
    .group_segment_fixed_size: 4096
    .kernarg_segment_align: 8
    .kernarg_segment_size: 3648
    .language:       OpenCL C
    .language_version:
      - 2
      - 0
    .max_flat_workgroup_size: 512
    .name:           _ZN2at6native12_GLOBAL__N_125multi_tensor_apply_kernelINS1_18TensorListMetadataILi1EEENS0_13LpNormFunctorIN3c108BFloat16ELNS0_8NormTypeE3EdLi1ELi1ELi0EEEJPdiEEEvT_T0_DpT1_
    .private_segment_fixed_size: 0
    .sgpr_count:     19
    .sgpr_spill_count: 0
    .symbol:         _ZN2at6native12_GLOBAL__N_125multi_tensor_apply_kernelINS1_18TensorListMetadataILi1EEENS0_13LpNormFunctorIN3c108BFloat16ELNS0_8NormTypeE3EdLi1ELi1ELi0EEEJPdiEEEvT_T0_DpT1_.kd
    .uniform_work_group_size: 1
    .uses_dynamic_stack: false
    .vgpr_count:     30
    .vgpr_spill_count: 0
    .wavefront_size: 32
  - .args:
      - .address_space:  global
        .offset:         0
        .size:           8
        .value_kind:     global_buffer
      - .offset:         8
        .size:           3200
        .value_kind:     by_value
      - .offset:         3208
        .size:           4
        .value_kind:     by_value
      - .offset:         3216
        .size:           4
        .value_kind:     hidden_block_count_x
      - .offset:         3220
        .size:           4
        .value_kind:     hidden_block_count_y
      - .offset:         3224
        .size:           4
        .value_kind:     hidden_block_count_z
      - .offset:         3228
        .size:           2
        .value_kind:     hidden_group_size_x
      - .offset:         3230
        .size:           2
        .value_kind:     hidden_group_size_y
      - .offset:         3232
        .size:           2
        .value_kind:     hidden_group_size_z
      - .offset:         3234
        .size:           2
        .value_kind:     hidden_remainder_x
      - .offset:         3236
        .size:           2
        .value_kind:     hidden_remainder_y
      - .offset:         3238
        .size:           2
        .value_kind:     hidden_remainder_z
      - .offset:         3256
        .size:           8
        .value_kind:     hidden_global_offset_x
      - .offset:         3264
        .size:           8
        .value_kind:     hidden_global_offset_y
      - .offset:         3272
        .size:           8
        .value_kind:     hidden_global_offset_z
      - .offset:         3280
        .size:           2
        .value_kind:     hidden_grid_dims
    .group_segment_fixed_size: 4096
    .kernarg_segment_align: 8
    .kernarg_segment_size: 3472
    .language:       OpenCL C
    .language_version:
      - 2
      - 0
    .max_flat_workgroup_size: 1024
    .name:           _ZN2at6native14lpnorm_cleanupIN3c108BFloat16ELNS0_8NormTypeE0EdLb1EdEEvPKT3_NS0_19TensorListAddressesEi
    .private_segment_fixed_size: 0
    .sgpr_count:     14
    .sgpr_spill_count: 0
    .symbol:         _ZN2at6native14lpnorm_cleanupIN3c108BFloat16ELNS0_8NormTypeE0EdLb1EdEEvPKT3_NS0_19TensorListAddressesEi.kd
    .uniform_work_group_size: 1
    .uses_dynamic_stack: false
    .vgpr_count:     11
    .vgpr_spill_count: 0
    .wavefront_size: 32
  - .args:
      - .address_space:  global
        .offset:         0
        .size:           8
        .value_kind:     global_buffer
      - .offset:         8
        .size:           3200
        .value_kind:     by_value
      - .offset:         3208
        .size:           4
        .value_kind:     by_value
      - .offset:         3216
        .size:           4
        .value_kind:     hidden_block_count_x
      - .offset:         3220
        .size:           4
        .value_kind:     hidden_block_count_y
      - .offset:         3224
        .size:           4
        .value_kind:     hidden_block_count_z
      - .offset:         3228
        .size:           2
        .value_kind:     hidden_group_size_x
      - .offset:         3230
        .size:           2
        .value_kind:     hidden_group_size_y
      - .offset:         3232
        .size:           2
        .value_kind:     hidden_group_size_z
      - .offset:         3234
        .size:           2
        .value_kind:     hidden_remainder_x
      - .offset:         3236
        .size:           2
        .value_kind:     hidden_remainder_y
      - .offset:         3238
        .size:           2
        .value_kind:     hidden_remainder_z
      - .offset:         3256
        .size:           8
        .value_kind:     hidden_global_offset_x
      - .offset:         3264
        .size:           8
        .value_kind:     hidden_global_offset_y
      - .offset:         3272
        .size:           8
        .value_kind:     hidden_global_offset_z
      - .offset:         3280
        .size:           2
        .value_kind:     hidden_grid_dims
    .group_segment_fixed_size: 4096
    .kernarg_segment_align: 8
    .kernarg_segment_size: 3472
    .language:       OpenCL C
    .language_version:
      - 2
      - 0
    .max_flat_workgroup_size: 1024
    .name:           _ZN2at6native14lpnorm_cleanupIN3c108BFloat16ELNS0_8NormTypeE1EdLb1EdEEvPKT3_NS0_19TensorListAddressesEi
    .private_segment_fixed_size: 0
    .sgpr_count:     14
    .sgpr_spill_count: 0
    .symbol:         _ZN2at6native14lpnorm_cleanupIN3c108BFloat16ELNS0_8NormTypeE1EdLb1EdEEvPKT3_NS0_19TensorListAddressesEi.kd
    .uniform_work_group_size: 1
    .uses_dynamic_stack: false
    .vgpr_count:     11
    .vgpr_spill_count: 0
    .wavefront_size: 32
  - .args:
      - .address_space:  global
        .offset:         0
        .size:           8
        .value_kind:     global_buffer
      - .offset:         8
        .size:           3200
        .value_kind:     by_value
      - .offset:         3208
        .size:           4
        .value_kind:     by_value
      - .offset:         3216
        .size:           4
        .value_kind:     hidden_block_count_x
      - .offset:         3220
        .size:           4
        .value_kind:     hidden_block_count_y
      - .offset:         3224
        .size:           4
        .value_kind:     hidden_block_count_z
      - .offset:         3228
        .size:           2
        .value_kind:     hidden_group_size_x
      - .offset:         3230
        .size:           2
        .value_kind:     hidden_group_size_y
      - .offset:         3232
        .size:           2
        .value_kind:     hidden_group_size_z
      - .offset:         3234
        .size:           2
        .value_kind:     hidden_remainder_x
      - .offset:         3236
        .size:           2
        .value_kind:     hidden_remainder_y
      - .offset:         3238
        .size:           2
        .value_kind:     hidden_remainder_z
      - .offset:         3256
        .size:           8
        .value_kind:     hidden_global_offset_x
      - .offset:         3264
        .size:           8
        .value_kind:     hidden_global_offset_y
      - .offset:         3272
        .size:           8
        .value_kind:     hidden_global_offset_z
      - .offset:         3280
        .size:           2
        .value_kind:     hidden_grid_dims
    .group_segment_fixed_size: 4096
    .kernarg_segment_align: 8
    .kernarg_segment_size: 3472
    .language:       OpenCL C
    .language_version:
      - 2
      - 0
    .max_flat_workgroup_size: 1024
    .name:           _ZN2at6native14lpnorm_cleanupIN3c108BFloat16ELNS0_8NormTypeE2EdLb1EdEEvPKT3_NS0_19TensorListAddressesEi
    .private_segment_fixed_size: 0
    .sgpr_count:     14
    .sgpr_spill_count: 0
    .symbol:         _ZN2at6native14lpnorm_cleanupIN3c108BFloat16ELNS0_8NormTypeE2EdLb1EdEEvPKT3_NS0_19TensorListAddressesEi.kd
    .uniform_work_group_size: 1
    .uses_dynamic_stack: false
    .vgpr_count:     11
    .vgpr_spill_count: 0
    .wavefront_size: 32
  - .args:
      - .address_space:  global
        .offset:         0
        .size:           8
        .value_kind:     global_buffer
      - .offset:         8
        .size:           3200
        .value_kind:     by_value
      - .offset:         3208
        .size:           4
        .value_kind:     by_value
      - .offset:         3216
        .size:           4
        .value_kind:     hidden_block_count_x
      - .offset:         3220
        .size:           4
        .value_kind:     hidden_block_count_y
      - .offset:         3224
        .size:           4
        .value_kind:     hidden_block_count_z
      - .offset:         3228
        .size:           2
        .value_kind:     hidden_group_size_x
      - .offset:         3230
        .size:           2
        .value_kind:     hidden_group_size_y
      - .offset:         3232
        .size:           2
        .value_kind:     hidden_group_size_z
      - .offset:         3234
        .size:           2
        .value_kind:     hidden_remainder_x
      - .offset:         3236
        .size:           2
        .value_kind:     hidden_remainder_y
      - .offset:         3238
        .size:           2
        .value_kind:     hidden_remainder_z
      - .offset:         3256
        .size:           8
        .value_kind:     hidden_global_offset_x
      - .offset:         3264
        .size:           8
        .value_kind:     hidden_global_offset_y
      - .offset:         3272
        .size:           8
        .value_kind:     hidden_global_offset_z
      - .offset:         3280
        .size:           2
        .value_kind:     hidden_grid_dims
    .group_segment_fixed_size: 4096
    .kernarg_segment_align: 8
    .kernarg_segment_size: 3472
    .language:       OpenCL C
    .language_version:
      - 2
      - 0
    .max_flat_workgroup_size: 1024
    .name:           _ZN2at6native14lpnorm_cleanupIN3c108BFloat16ELNS0_8NormTypeE3EdLb1EdEEvPKT3_NS0_19TensorListAddressesEi
    .private_segment_fixed_size: 0
    .sgpr_count:     15
    .sgpr_spill_count: 0
    .symbol:         _ZN2at6native14lpnorm_cleanupIN3c108BFloat16ELNS0_8NormTypeE3EdLb1EdEEvPKT3_NS0_19TensorListAddressesEi.kd
    .uniform_work_group_size: 1
    .uses_dynamic_stack: false
    .vgpr_count:     12
    .vgpr_spill_count: 0
    .wavefront_size: 32
  - .args:
      - .offset:         0
        .size:           3368
        .value_kind:     by_value
      - .offset:         3368
        .size:           1
        .value_kind:     by_value
      - .address_space:  global
        .offset:         3376
        .size:           8
        .value_kind:     global_buffer
      - .offset:         3384
        .size:           4
        .value_kind:     by_value
      - .offset:         3392
        .size:           4
        .value_kind:     hidden_block_count_x
      - .offset:         3396
        .size:           4
        .value_kind:     hidden_block_count_y
      - .offset:         3400
        .size:           4
        .value_kind:     hidden_block_count_z
      - .offset:         3404
        .size:           2
        .value_kind:     hidden_group_size_x
      - .offset:         3406
        .size:           2
        .value_kind:     hidden_group_size_y
      - .offset:         3408
        .size:           2
        .value_kind:     hidden_group_size_z
      - .offset:         3410
        .size:           2
        .value_kind:     hidden_remainder_x
      - .offset:         3412
        .size:           2
        .value_kind:     hidden_remainder_y
      - .offset:         3414
        .size:           2
        .value_kind:     hidden_remainder_z
      - .offset:         3432
        .size:           8
        .value_kind:     hidden_global_offset_x
      - .offset:         3440
        .size:           8
        .value_kind:     hidden_global_offset_y
      - .offset:         3448
        .size:           8
        .value_kind:     hidden_global_offset_z
      - .offset:         3456
        .size:           2
        .value_kind:     hidden_grid_dims
    .group_segment_fixed_size: 2048
    .kernarg_segment_align: 8
    .kernarg_segment_size: 3648
    .language:       OpenCL C
    .language_version:
      - 2
      - 0
    .max_flat_workgroup_size: 512
    .name:           _ZN2at6native12_GLOBAL__N_125multi_tensor_apply_kernelINS1_18TensorListMetadataILi1EEENS0_13LpNormFunctorIN3c108BFloat16ELNS0_8NormTypeE0EfLi1ELi1ELi0EEEJPfiEEEvT_T0_DpT1_
    .private_segment_fixed_size: 0
    .sgpr_count:     16
    .sgpr_spill_count: 0
    .symbol:         _ZN2at6native12_GLOBAL__N_125multi_tensor_apply_kernelINS1_18TensorListMetadataILi1EEENS0_13LpNormFunctorIN3c108BFloat16ELNS0_8NormTypeE0EfLi1ELi1ELi0EEEJPfiEEEvT_T0_DpT1_.kd
    .uniform_work_group_size: 1
    .uses_dynamic_stack: false
    .vgpr_count:     24
    .vgpr_spill_count: 0
    .wavefront_size: 32
  - .args:
      - .offset:         0
        .size:           3368
        .value_kind:     by_value
      - .offset:         3368
        .size:           1
        .value_kind:     by_value
      - .address_space:  global
        .offset:         3376
        .size:           8
        .value_kind:     global_buffer
      - .offset:         3384
        .size:           4
        .value_kind:     by_value
      - .offset:         3392
        .size:           4
        .value_kind:     hidden_block_count_x
      - .offset:         3396
        .size:           4
        .value_kind:     hidden_block_count_y
      - .offset:         3400
        .size:           4
        .value_kind:     hidden_block_count_z
      - .offset:         3404
        .size:           2
        .value_kind:     hidden_group_size_x
      - .offset:         3406
        .size:           2
        .value_kind:     hidden_group_size_y
      - .offset:         3408
        .size:           2
        .value_kind:     hidden_group_size_z
      - .offset:         3410
        .size:           2
        .value_kind:     hidden_remainder_x
      - .offset:         3412
        .size:           2
        .value_kind:     hidden_remainder_y
      - .offset:         3414
        .size:           2
        .value_kind:     hidden_remainder_z
      - .offset:         3432
        .size:           8
        .value_kind:     hidden_global_offset_x
      - .offset:         3440
        .size:           8
        .value_kind:     hidden_global_offset_y
      - .offset:         3448
        .size:           8
        .value_kind:     hidden_global_offset_z
      - .offset:         3456
        .size:           2
        .value_kind:     hidden_grid_dims
    .group_segment_fixed_size: 2048
    .kernarg_segment_align: 8
    .kernarg_segment_size: 3648
    .language:       OpenCL C
    .language_version:
      - 2
      - 0
    .max_flat_workgroup_size: 512
    .name:           _ZN2at6native12_GLOBAL__N_125multi_tensor_apply_kernelINS1_18TensorListMetadataILi1EEENS0_13LpNormFunctorIN3c108BFloat16ELNS0_8NormTypeE1EfLi1ELi1ELi0EEEJPfiEEEvT_T0_DpT1_
    .private_segment_fixed_size: 0
    .sgpr_count:     16
    .sgpr_spill_count: 0
    .symbol:         _ZN2at6native12_GLOBAL__N_125multi_tensor_apply_kernelINS1_18TensorListMetadataILi1EEENS0_13LpNormFunctorIN3c108BFloat16ELNS0_8NormTypeE1EfLi1ELi1ELi0EEEJPfiEEEvT_T0_DpT1_.kd
    .uniform_work_group_size: 1
    .uses_dynamic_stack: false
    .vgpr_count:     19
    .vgpr_spill_count: 0
    .wavefront_size: 32
  - .args:
      - .offset:         0
        .size:           3368
        .value_kind:     by_value
      - .offset:         3368
        .size:           1
        .value_kind:     by_value
      - .address_space:  global
        .offset:         3376
        .size:           8
        .value_kind:     global_buffer
      - .offset:         3384
        .size:           4
        .value_kind:     by_value
      - .offset:         3392
        .size:           4
        .value_kind:     hidden_block_count_x
      - .offset:         3396
        .size:           4
        .value_kind:     hidden_block_count_y
      - .offset:         3400
        .size:           4
        .value_kind:     hidden_block_count_z
      - .offset:         3404
        .size:           2
        .value_kind:     hidden_group_size_x
      - .offset:         3406
        .size:           2
        .value_kind:     hidden_group_size_y
      - .offset:         3408
        .size:           2
        .value_kind:     hidden_group_size_z
      - .offset:         3410
        .size:           2
        .value_kind:     hidden_remainder_x
      - .offset:         3412
        .size:           2
        .value_kind:     hidden_remainder_y
      - .offset:         3414
        .size:           2
        .value_kind:     hidden_remainder_z
      - .offset:         3432
        .size:           8
        .value_kind:     hidden_global_offset_x
      - .offset:         3440
        .size:           8
        .value_kind:     hidden_global_offset_y
      - .offset:         3448
        .size:           8
        .value_kind:     hidden_global_offset_z
      - .offset:         3456
        .size:           2
        .value_kind:     hidden_grid_dims
    .group_segment_fixed_size: 2048
    .kernarg_segment_align: 8
    .kernarg_segment_size: 3648
    .language:       OpenCL C
    .language_version:
      - 2
      - 0
    .max_flat_workgroup_size: 512
    .name:           _ZN2at6native12_GLOBAL__N_125multi_tensor_apply_kernelINS1_18TensorListMetadataILi1EEENS0_13LpNormFunctorIN3c108BFloat16ELNS0_8NormTypeE2EfLi1ELi1ELi0EEEJPfiEEEvT_T0_DpT1_
    .private_segment_fixed_size: 0
    .sgpr_count:     16
    .sgpr_spill_count: 0
    .symbol:         _ZN2at6native12_GLOBAL__N_125multi_tensor_apply_kernelINS1_18TensorListMetadataILi1EEENS0_13LpNormFunctorIN3c108BFloat16ELNS0_8NormTypeE2EfLi1ELi1ELi0EEEJPfiEEEvT_T0_DpT1_.kd
    .uniform_work_group_size: 1
    .uses_dynamic_stack: false
    .vgpr_count:     20
    .vgpr_spill_count: 0
    .wavefront_size: 32
  - .args:
      - .offset:         0
        .size:           3368
        .value_kind:     by_value
      - .offset:         3368
        .size:           1
        .value_kind:     by_value
      - .address_space:  global
        .offset:         3376
        .size:           8
        .value_kind:     global_buffer
      - .offset:         3384
        .size:           4
        .value_kind:     by_value
      - .offset:         3392
        .size:           4
        .value_kind:     hidden_block_count_x
      - .offset:         3396
        .size:           4
        .value_kind:     hidden_block_count_y
      - .offset:         3400
        .size:           4
        .value_kind:     hidden_block_count_z
      - .offset:         3404
        .size:           2
        .value_kind:     hidden_group_size_x
      - .offset:         3406
        .size:           2
        .value_kind:     hidden_group_size_y
      - .offset:         3408
        .size:           2
        .value_kind:     hidden_group_size_z
      - .offset:         3410
        .size:           2
        .value_kind:     hidden_remainder_x
      - .offset:         3412
        .size:           2
        .value_kind:     hidden_remainder_y
      - .offset:         3414
        .size:           2
        .value_kind:     hidden_remainder_z
      - .offset:         3432
        .size:           8
        .value_kind:     hidden_global_offset_x
      - .offset:         3440
        .size:           8
        .value_kind:     hidden_global_offset_y
      - .offset:         3448
        .size:           8
        .value_kind:     hidden_global_offset_z
      - .offset:         3456
        .size:           2
        .value_kind:     hidden_grid_dims
    .group_segment_fixed_size: 2048
    .kernarg_segment_align: 8
    .kernarg_segment_size: 3648
    .language:       OpenCL C
    .language_version:
      - 2
      - 0
    .max_flat_workgroup_size: 512
    .name:           _ZN2at6native12_GLOBAL__N_125multi_tensor_apply_kernelINS1_18TensorListMetadataILi1EEENS0_13LpNormFunctorIN3c108BFloat16ELNS0_8NormTypeE3EfLi1ELi1ELi0EEEJPfiEEEvT_T0_DpT1_
    .private_segment_fixed_size: 0
    .sgpr_count:     19
    .sgpr_spill_count: 0
    .symbol:         _ZN2at6native12_GLOBAL__N_125multi_tensor_apply_kernelINS1_18TensorListMetadataILi1EEENS0_13LpNormFunctorIN3c108BFloat16ELNS0_8NormTypeE3EfLi1ELi1ELi0EEEJPfiEEEvT_T0_DpT1_.kd
    .uniform_work_group_size: 1
    .uses_dynamic_stack: false
    .vgpr_count:     20
    .vgpr_spill_count: 0
    .wavefront_size: 32
  - .args:
      - .address_space:  global
        .offset:         0
        .size:           8
        .value_kind:     global_buffer
      - .offset:         8
        .size:           3200
        .value_kind:     by_value
      - .offset:         3208
        .size:           4
        .value_kind:     by_value
      - .offset:         3216
        .size:           4
        .value_kind:     hidden_block_count_x
      - .offset:         3220
        .size:           4
        .value_kind:     hidden_block_count_y
      - .offset:         3224
        .size:           4
        .value_kind:     hidden_block_count_z
      - .offset:         3228
        .size:           2
        .value_kind:     hidden_group_size_x
      - .offset:         3230
        .size:           2
        .value_kind:     hidden_group_size_y
      - .offset:         3232
        .size:           2
        .value_kind:     hidden_group_size_z
      - .offset:         3234
        .size:           2
        .value_kind:     hidden_remainder_x
      - .offset:         3236
        .size:           2
        .value_kind:     hidden_remainder_y
      - .offset:         3238
        .size:           2
        .value_kind:     hidden_remainder_z
      - .offset:         3256
        .size:           8
        .value_kind:     hidden_global_offset_x
      - .offset:         3264
        .size:           8
        .value_kind:     hidden_global_offset_y
      - .offset:         3272
        .size:           8
        .value_kind:     hidden_global_offset_z
      - .offset:         3280
        .size:           2
        .value_kind:     hidden_grid_dims
    .group_segment_fixed_size: 2048
    .kernarg_segment_align: 8
    .kernarg_segment_size: 3472
    .language:       OpenCL C
    .language_version:
      - 2
      - 0
    .max_flat_workgroup_size: 1024
    .name:           _ZN2at6native14lpnorm_cleanupIN3c108BFloat16ELNS0_8NormTypeE0EfLb1EfEEvPKT3_NS0_19TensorListAddressesEi
    .private_segment_fixed_size: 0
    .sgpr_count:     14
    .sgpr_spill_count: 0
    .symbol:         _ZN2at6native14lpnorm_cleanupIN3c108BFloat16ELNS0_8NormTypeE0EfLb1EfEEvPKT3_NS0_19TensorListAddressesEi.kd
    .uniform_work_group_size: 1
    .uses_dynamic_stack: false
    .vgpr_count:     9
    .vgpr_spill_count: 0
    .wavefront_size: 32
  - .args:
      - .address_space:  global
        .offset:         0
        .size:           8
        .value_kind:     global_buffer
      - .offset:         8
        .size:           3200
        .value_kind:     by_value
      - .offset:         3208
        .size:           4
        .value_kind:     by_value
      - .offset:         3216
        .size:           4
        .value_kind:     hidden_block_count_x
      - .offset:         3220
        .size:           4
        .value_kind:     hidden_block_count_y
      - .offset:         3224
        .size:           4
        .value_kind:     hidden_block_count_z
      - .offset:         3228
        .size:           2
        .value_kind:     hidden_group_size_x
      - .offset:         3230
        .size:           2
        .value_kind:     hidden_group_size_y
      - .offset:         3232
        .size:           2
        .value_kind:     hidden_group_size_z
      - .offset:         3234
        .size:           2
        .value_kind:     hidden_remainder_x
      - .offset:         3236
        .size:           2
        .value_kind:     hidden_remainder_y
      - .offset:         3238
        .size:           2
        .value_kind:     hidden_remainder_z
      - .offset:         3256
        .size:           8
        .value_kind:     hidden_global_offset_x
      - .offset:         3264
        .size:           8
        .value_kind:     hidden_global_offset_y
      - .offset:         3272
        .size:           8
        .value_kind:     hidden_global_offset_z
      - .offset:         3280
        .size:           2
        .value_kind:     hidden_grid_dims
    .group_segment_fixed_size: 2048
    .kernarg_segment_align: 8
    .kernarg_segment_size: 3472
    .language:       OpenCL C
    .language_version:
      - 2
      - 0
    .max_flat_workgroup_size: 1024
    .name:           _ZN2at6native14lpnorm_cleanupIN3c108BFloat16ELNS0_8NormTypeE1EfLb1EfEEvPKT3_NS0_19TensorListAddressesEi
    .private_segment_fixed_size: 0
    .sgpr_count:     14
    .sgpr_spill_count: 0
    .symbol:         _ZN2at6native14lpnorm_cleanupIN3c108BFloat16ELNS0_8NormTypeE1EfLb1EfEEvPKT3_NS0_19TensorListAddressesEi.kd
    .uniform_work_group_size: 1
    .uses_dynamic_stack: false
    .vgpr_count:     9
    .vgpr_spill_count: 0
    .wavefront_size: 32
  - .args:
      - .address_space:  global
        .offset:         0
        .size:           8
        .value_kind:     global_buffer
      - .offset:         8
        .size:           3200
        .value_kind:     by_value
      - .offset:         3208
        .size:           4
        .value_kind:     by_value
      - .offset:         3216
        .size:           4
        .value_kind:     hidden_block_count_x
      - .offset:         3220
        .size:           4
        .value_kind:     hidden_block_count_y
      - .offset:         3224
        .size:           4
        .value_kind:     hidden_block_count_z
      - .offset:         3228
        .size:           2
        .value_kind:     hidden_group_size_x
      - .offset:         3230
        .size:           2
        .value_kind:     hidden_group_size_y
      - .offset:         3232
        .size:           2
        .value_kind:     hidden_group_size_z
      - .offset:         3234
        .size:           2
        .value_kind:     hidden_remainder_x
      - .offset:         3236
        .size:           2
        .value_kind:     hidden_remainder_y
      - .offset:         3238
        .size:           2
        .value_kind:     hidden_remainder_z
      - .offset:         3256
        .size:           8
        .value_kind:     hidden_global_offset_x
      - .offset:         3264
        .size:           8
        .value_kind:     hidden_global_offset_y
      - .offset:         3272
        .size:           8
        .value_kind:     hidden_global_offset_z
      - .offset:         3280
        .size:           2
        .value_kind:     hidden_grid_dims
    .group_segment_fixed_size: 2048
    .kernarg_segment_align: 8
    .kernarg_segment_size: 3472
    .language:       OpenCL C
    .language_version:
      - 2
      - 0
    .max_flat_workgroup_size: 1024
    .name:           _ZN2at6native14lpnorm_cleanupIN3c108BFloat16ELNS0_8NormTypeE2EfLb1EfEEvPKT3_NS0_19TensorListAddressesEi
    .private_segment_fixed_size: 0
    .sgpr_count:     14
    .sgpr_spill_count: 0
    .symbol:         _ZN2at6native14lpnorm_cleanupIN3c108BFloat16ELNS0_8NormTypeE2EfLb1EfEEvPKT3_NS0_19TensorListAddressesEi.kd
    .uniform_work_group_size: 1
    .uses_dynamic_stack: false
    .vgpr_count:     9
    .vgpr_spill_count: 0
    .wavefront_size: 32
  - .args:
      - .address_space:  global
        .offset:         0
        .size:           8
        .value_kind:     global_buffer
      - .offset:         8
        .size:           3200
        .value_kind:     by_value
      - .offset:         3208
        .size:           4
        .value_kind:     by_value
      - .offset:         3216
        .size:           4
        .value_kind:     hidden_block_count_x
      - .offset:         3220
        .size:           4
        .value_kind:     hidden_block_count_y
      - .offset:         3224
        .size:           4
        .value_kind:     hidden_block_count_z
      - .offset:         3228
        .size:           2
        .value_kind:     hidden_group_size_x
      - .offset:         3230
        .size:           2
        .value_kind:     hidden_group_size_y
      - .offset:         3232
        .size:           2
        .value_kind:     hidden_group_size_z
      - .offset:         3234
        .size:           2
        .value_kind:     hidden_remainder_x
      - .offset:         3236
        .size:           2
        .value_kind:     hidden_remainder_y
      - .offset:         3238
        .size:           2
        .value_kind:     hidden_remainder_z
      - .offset:         3256
        .size:           8
        .value_kind:     hidden_global_offset_x
      - .offset:         3264
        .size:           8
        .value_kind:     hidden_global_offset_y
      - .offset:         3272
        .size:           8
        .value_kind:     hidden_global_offset_z
      - .offset:         3280
        .size:           2
        .value_kind:     hidden_grid_dims
    .group_segment_fixed_size: 2048
    .kernarg_segment_align: 8
    .kernarg_segment_size: 3472
    .language:       OpenCL C
    .language_version:
      - 2
      - 0
    .max_flat_workgroup_size: 1024
    .name:           _ZN2at6native14lpnorm_cleanupIN3c108BFloat16ELNS0_8NormTypeE3EfLb1EfEEvPKT3_NS0_19TensorListAddressesEi
    .private_segment_fixed_size: 0
    .sgpr_count:     15
    .sgpr_spill_count: 0
    .symbol:         _ZN2at6native14lpnorm_cleanupIN3c108BFloat16ELNS0_8NormTypeE3EfLb1EfEEvPKT3_NS0_19TensorListAddressesEi.kd
    .uniform_work_group_size: 1
    .uses_dynamic_stack: false
    .vgpr_count:     9
    .vgpr_spill_count: 0
    .wavefront_size: 32
  - .args:
      - .offset:         0
        .size:           3368
        .value_kind:     by_value
      - .offset:         3368
        .size:           1
        .value_kind:     by_value
      - .address_space:  global
        .offset:         3376
        .size:           8
        .value_kind:     global_buffer
      - .offset:         3384
        .size:           4
        .value_kind:     by_value
      - .offset:         3392
        .size:           4
        .value_kind:     hidden_block_count_x
      - .offset:         3396
        .size:           4
        .value_kind:     hidden_block_count_y
      - .offset:         3400
        .size:           4
        .value_kind:     hidden_block_count_z
      - .offset:         3404
        .size:           2
        .value_kind:     hidden_group_size_x
      - .offset:         3406
        .size:           2
        .value_kind:     hidden_group_size_y
      - .offset:         3408
        .size:           2
        .value_kind:     hidden_group_size_z
      - .offset:         3410
        .size:           2
        .value_kind:     hidden_remainder_x
      - .offset:         3412
        .size:           2
        .value_kind:     hidden_remainder_y
      - .offset:         3414
        .size:           2
        .value_kind:     hidden_remainder_z
      - .offset:         3432
        .size:           8
        .value_kind:     hidden_global_offset_x
      - .offset:         3440
        .size:           8
        .value_kind:     hidden_global_offset_y
      - .offset:         3448
        .size:           8
        .value_kind:     hidden_global_offset_z
      - .offset:         3456
        .size:           2
        .value_kind:     hidden_grid_dims
    .group_segment_fixed_size: 2048
    .kernarg_segment_align: 8
    .kernarg_segment_size: 3648
    .language:       OpenCL C
    .language_version:
      - 2
      - 0
    .max_flat_workgroup_size: 512
    .name:           _ZN2at6native12_GLOBAL__N_125multi_tensor_apply_kernelINS1_18TensorListMetadataILi1EEENS0_13LpNormFunctorIN3c108BFloat16ELNS0_8NormTypeE0ENS6_4HalfELi1ELi1ELi0EEEJPfiEEEvT_T0_DpT1_
    .private_segment_fixed_size: 0
    .sgpr_count:     16
    .sgpr_spill_count: 0
    .symbol:         _ZN2at6native12_GLOBAL__N_125multi_tensor_apply_kernelINS1_18TensorListMetadataILi1EEENS0_13LpNormFunctorIN3c108BFloat16ELNS0_8NormTypeE0ENS6_4HalfELi1ELi1ELi0EEEJPfiEEEvT_T0_DpT1_.kd
    .uniform_work_group_size: 1
    .uses_dynamic_stack: false
    .vgpr_count:     24
    .vgpr_spill_count: 0
    .wavefront_size: 32
  - .args:
      - .offset:         0
        .size:           3368
        .value_kind:     by_value
      - .offset:         3368
        .size:           1
        .value_kind:     by_value
      - .address_space:  global
        .offset:         3376
        .size:           8
        .value_kind:     global_buffer
      - .offset:         3384
        .size:           4
        .value_kind:     by_value
      - .offset:         3392
        .size:           4
        .value_kind:     hidden_block_count_x
      - .offset:         3396
        .size:           4
        .value_kind:     hidden_block_count_y
      - .offset:         3400
        .size:           4
        .value_kind:     hidden_block_count_z
      - .offset:         3404
        .size:           2
        .value_kind:     hidden_group_size_x
      - .offset:         3406
        .size:           2
        .value_kind:     hidden_group_size_y
      - .offset:         3408
        .size:           2
        .value_kind:     hidden_group_size_z
      - .offset:         3410
        .size:           2
        .value_kind:     hidden_remainder_x
      - .offset:         3412
        .size:           2
        .value_kind:     hidden_remainder_y
      - .offset:         3414
        .size:           2
        .value_kind:     hidden_remainder_z
      - .offset:         3432
        .size:           8
        .value_kind:     hidden_global_offset_x
      - .offset:         3440
        .size:           8
        .value_kind:     hidden_global_offset_y
      - .offset:         3448
        .size:           8
        .value_kind:     hidden_global_offset_z
      - .offset:         3456
        .size:           2
        .value_kind:     hidden_grid_dims
    .group_segment_fixed_size: 2048
    .kernarg_segment_align: 8
    .kernarg_segment_size: 3648
    .language:       OpenCL C
    .language_version:
      - 2
      - 0
    .max_flat_workgroup_size: 512
    .name:           _ZN2at6native12_GLOBAL__N_125multi_tensor_apply_kernelINS1_18TensorListMetadataILi1EEENS0_13LpNormFunctorIN3c108BFloat16ELNS0_8NormTypeE1ENS6_4HalfELi1ELi1ELi0EEEJPfiEEEvT_T0_DpT1_
    .private_segment_fixed_size: 0
    .sgpr_count:     16
    .sgpr_spill_count: 0
    .symbol:         _ZN2at6native12_GLOBAL__N_125multi_tensor_apply_kernelINS1_18TensorListMetadataILi1EEENS0_13LpNormFunctorIN3c108BFloat16ELNS0_8NormTypeE1ENS6_4HalfELi1ELi1ELi0EEEJPfiEEEvT_T0_DpT1_.kd
    .uniform_work_group_size: 1
    .uses_dynamic_stack: false
    .vgpr_count:     19
    .vgpr_spill_count: 0
    .wavefront_size: 32
  - .args:
      - .offset:         0
        .size:           3368
        .value_kind:     by_value
      - .offset:         3368
        .size:           1
        .value_kind:     by_value
      - .address_space:  global
        .offset:         3376
        .size:           8
        .value_kind:     global_buffer
      - .offset:         3384
        .size:           4
        .value_kind:     by_value
      - .offset:         3392
        .size:           4
        .value_kind:     hidden_block_count_x
      - .offset:         3396
        .size:           4
        .value_kind:     hidden_block_count_y
      - .offset:         3400
        .size:           4
        .value_kind:     hidden_block_count_z
      - .offset:         3404
        .size:           2
        .value_kind:     hidden_group_size_x
      - .offset:         3406
        .size:           2
        .value_kind:     hidden_group_size_y
      - .offset:         3408
        .size:           2
        .value_kind:     hidden_group_size_z
      - .offset:         3410
        .size:           2
        .value_kind:     hidden_remainder_x
      - .offset:         3412
        .size:           2
        .value_kind:     hidden_remainder_y
      - .offset:         3414
        .size:           2
        .value_kind:     hidden_remainder_z
      - .offset:         3432
        .size:           8
        .value_kind:     hidden_global_offset_x
      - .offset:         3440
        .size:           8
        .value_kind:     hidden_global_offset_y
      - .offset:         3448
        .size:           8
        .value_kind:     hidden_global_offset_z
      - .offset:         3456
        .size:           2
        .value_kind:     hidden_grid_dims
    .group_segment_fixed_size: 2048
    .kernarg_segment_align: 8
    .kernarg_segment_size: 3648
    .language:       OpenCL C
    .language_version:
      - 2
      - 0
    .max_flat_workgroup_size: 512
    .name:           _ZN2at6native12_GLOBAL__N_125multi_tensor_apply_kernelINS1_18TensorListMetadataILi1EEENS0_13LpNormFunctorIN3c108BFloat16ELNS0_8NormTypeE2ENS6_4HalfELi1ELi1ELi0EEEJPfiEEEvT_T0_DpT1_
    .private_segment_fixed_size: 0
    .sgpr_count:     16
    .sgpr_spill_count: 0
    .symbol:         _ZN2at6native12_GLOBAL__N_125multi_tensor_apply_kernelINS1_18TensorListMetadataILi1EEENS0_13LpNormFunctorIN3c108BFloat16ELNS0_8NormTypeE2ENS6_4HalfELi1ELi1ELi0EEEJPfiEEEvT_T0_DpT1_.kd
    .uniform_work_group_size: 1
    .uses_dynamic_stack: false
    .vgpr_count:     20
    .vgpr_spill_count: 0
    .wavefront_size: 32
  - .args:
      - .offset:         0
        .size:           3368
        .value_kind:     by_value
      - .offset:         3368
        .size:           1
        .value_kind:     by_value
      - .address_space:  global
        .offset:         3376
        .size:           8
        .value_kind:     global_buffer
      - .offset:         3384
        .size:           4
        .value_kind:     by_value
      - .offset:         3392
        .size:           4
        .value_kind:     hidden_block_count_x
      - .offset:         3396
        .size:           4
        .value_kind:     hidden_block_count_y
      - .offset:         3400
        .size:           4
        .value_kind:     hidden_block_count_z
      - .offset:         3404
        .size:           2
        .value_kind:     hidden_group_size_x
      - .offset:         3406
        .size:           2
        .value_kind:     hidden_group_size_y
      - .offset:         3408
        .size:           2
        .value_kind:     hidden_group_size_z
      - .offset:         3410
        .size:           2
        .value_kind:     hidden_remainder_x
      - .offset:         3412
        .size:           2
        .value_kind:     hidden_remainder_y
      - .offset:         3414
        .size:           2
        .value_kind:     hidden_remainder_z
      - .offset:         3432
        .size:           8
        .value_kind:     hidden_global_offset_x
      - .offset:         3440
        .size:           8
        .value_kind:     hidden_global_offset_y
      - .offset:         3448
        .size:           8
        .value_kind:     hidden_global_offset_z
      - .offset:         3456
        .size:           2
        .value_kind:     hidden_grid_dims
    .group_segment_fixed_size: 2048
    .kernarg_segment_align: 8
    .kernarg_segment_size: 3648
    .language:       OpenCL C
    .language_version:
      - 2
      - 0
    .max_flat_workgroup_size: 512
    .name:           _ZN2at6native12_GLOBAL__N_125multi_tensor_apply_kernelINS1_18TensorListMetadataILi1EEENS0_13LpNormFunctorIN3c108BFloat16ELNS0_8NormTypeE3ENS6_4HalfELi1ELi1ELi0EEEJPfiEEEvT_T0_DpT1_
    .private_segment_fixed_size: 0
    .sgpr_count:     19
    .sgpr_spill_count: 0
    .symbol:         _ZN2at6native12_GLOBAL__N_125multi_tensor_apply_kernelINS1_18TensorListMetadataILi1EEENS0_13LpNormFunctorIN3c108BFloat16ELNS0_8NormTypeE3ENS6_4HalfELi1ELi1ELi0EEEJPfiEEEvT_T0_DpT1_.kd
    .uniform_work_group_size: 1
    .uses_dynamic_stack: false
    .vgpr_count:     20
    .vgpr_spill_count: 0
    .wavefront_size: 32
  - .args:
      - .address_space:  global
        .offset:         0
        .size:           8
        .value_kind:     global_buffer
      - .offset:         8
        .size:           3200
        .value_kind:     by_value
      - .offset:         3208
        .size:           4
        .value_kind:     by_value
      - .offset:         3216
        .size:           4
        .value_kind:     hidden_block_count_x
      - .offset:         3220
        .size:           4
        .value_kind:     hidden_block_count_y
      - .offset:         3224
        .size:           4
        .value_kind:     hidden_block_count_z
      - .offset:         3228
        .size:           2
        .value_kind:     hidden_group_size_x
      - .offset:         3230
        .size:           2
        .value_kind:     hidden_group_size_y
      - .offset:         3232
        .size:           2
        .value_kind:     hidden_group_size_z
      - .offset:         3234
        .size:           2
        .value_kind:     hidden_remainder_x
      - .offset:         3236
        .size:           2
        .value_kind:     hidden_remainder_y
      - .offset:         3238
        .size:           2
        .value_kind:     hidden_remainder_z
      - .offset:         3256
        .size:           8
        .value_kind:     hidden_global_offset_x
      - .offset:         3264
        .size:           8
        .value_kind:     hidden_global_offset_y
      - .offset:         3272
        .size:           8
        .value_kind:     hidden_global_offset_z
      - .offset:         3280
        .size:           2
        .value_kind:     hidden_grid_dims
    .group_segment_fixed_size: 2048
    .kernarg_segment_align: 8
    .kernarg_segment_size: 3472
    .language:       OpenCL C
    .language_version:
      - 2
      - 0
    .max_flat_workgroup_size: 1024
    .name:           _ZN2at6native14lpnorm_cleanupIN3c108BFloat16ELNS0_8NormTypeE0ENS2_4HalfELb1EfEEvPKT3_NS0_19TensorListAddressesEi
    .private_segment_fixed_size: 0
    .sgpr_count:     14
    .sgpr_spill_count: 0
    .symbol:         _ZN2at6native14lpnorm_cleanupIN3c108BFloat16ELNS0_8NormTypeE0ENS2_4HalfELb1EfEEvPKT3_NS0_19TensorListAddressesEi.kd
    .uniform_work_group_size: 1
    .uses_dynamic_stack: false
    .vgpr_count:     9
    .vgpr_spill_count: 0
    .wavefront_size: 32
  - .args:
      - .address_space:  global
        .offset:         0
        .size:           8
        .value_kind:     global_buffer
      - .offset:         8
        .size:           3200
        .value_kind:     by_value
      - .offset:         3208
        .size:           4
        .value_kind:     by_value
      - .offset:         3216
        .size:           4
        .value_kind:     hidden_block_count_x
      - .offset:         3220
        .size:           4
        .value_kind:     hidden_block_count_y
      - .offset:         3224
        .size:           4
        .value_kind:     hidden_block_count_z
      - .offset:         3228
        .size:           2
        .value_kind:     hidden_group_size_x
      - .offset:         3230
        .size:           2
        .value_kind:     hidden_group_size_y
      - .offset:         3232
        .size:           2
        .value_kind:     hidden_group_size_z
      - .offset:         3234
        .size:           2
        .value_kind:     hidden_remainder_x
      - .offset:         3236
        .size:           2
        .value_kind:     hidden_remainder_y
      - .offset:         3238
        .size:           2
        .value_kind:     hidden_remainder_z
      - .offset:         3256
        .size:           8
        .value_kind:     hidden_global_offset_x
      - .offset:         3264
        .size:           8
        .value_kind:     hidden_global_offset_y
      - .offset:         3272
        .size:           8
        .value_kind:     hidden_global_offset_z
      - .offset:         3280
        .size:           2
        .value_kind:     hidden_grid_dims
    .group_segment_fixed_size: 2048
    .kernarg_segment_align: 8
    .kernarg_segment_size: 3472
    .language:       OpenCL C
    .language_version:
      - 2
      - 0
    .max_flat_workgroup_size: 1024
    .name:           _ZN2at6native14lpnorm_cleanupIN3c108BFloat16ELNS0_8NormTypeE1ENS2_4HalfELb1EfEEvPKT3_NS0_19TensorListAddressesEi
    .private_segment_fixed_size: 0
    .sgpr_count:     14
    .sgpr_spill_count: 0
    .symbol:         _ZN2at6native14lpnorm_cleanupIN3c108BFloat16ELNS0_8NormTypeE1ENS2_4HalfELb1EfEEvPKT3_NS0_19TensorListAddressesEi.kd
    .uniform_work_group_size: 1
    .uses_dynamic_stack: false
    .vgpr_count:     9
    .vgpr_spill_count: 0
    .wavefront_size: 32
  - .args:
      - .address_space:  global
        .offset:         0
        .size:           8
        .value_kind:     global_buffer
      - .offset:         8
        .size:           3200
        .value_kind:     by_value
      - .offset:         3208
        .size:           4
        .value_kind:     by_value
      - .offset:         3216
        .size:           4
        .value_kind:     hidden_block_count_x
      - .offset:         3220
        .size:           4
        .value_kind:     hidden_block_count_y
      - .offset:         3224
        .size:           4
        .value_kind:     hidden_block_count_z
      - .offset:         3228
        .size:           2
        .value_kind:     hidden_group_size_x
      - .offset:         3230
        .size:           2
        .value_kind:     hidden_group_size_y
      - .offset:         3232
        .size:           2
        .value_kind:     hidden_group_size_z
      - .offset:         3234
        .size:           2
        .value_kind:     hidden_remainder_x
      - .offset:         3236
        .size:           2
        .value_kind:     hidden_remainder_y
      - .offset:         3238
        .size:           2
        .value_kind:     hidden_remainder_z
      - .offset:         3256
        .size:           8
        .value_kind:     hidden_global_offset_x
      - .offset:         3264
        .size:           8
        .value_kind:     hidden_global_offset_y
      - .offset:         3272
        .size:           8
        .value_kind:     hidden_global_offset_z
      - .offset:         3280
        .size:           2
        .value_kind:     hidden_grid_dims
    .group_segment_fixed_size: 2048
    .kernarg_segment_align: 8
    .kernarg_segment_size: 3472
    .language:       OpenCL C
    .language_version:
      - 2
      - 0
    .max_flat_workgroup_size: 1024
    .name:           _ZN2at6native14lpnorm_cleanupIN3c108BFloat16ELNS0_8NormTypeE2ENS2_4HalfELb1EfEEvPKT3_NS0_19TensorListAddressesEi
    .private_segment_fixed_size: 0
    .sgpr_count:     14
    .sgpr_spill_count: 0
    .symbol:         _ZN2at6native14lpnorm_cleanupIN3c108BFloat16ELNS0_8NormTypeE2ENS2_4HalfELb1EfEEvPKT3_NS0_19TensorListAddressesEi.kd
    .uniform_work_group_size: 1
    .uses_dynamic_stack: false
    .vgpr_count:     9
    .vgpr_spill_count: 0
    .wavefront_size: 32
  - .args:
      - .address_space:  global
        .offset:         0
        .size:           8
        .value_kind:     global_buffer
      - .offset:         8
        .size:           3200
        .value_kind:     by_value
      - .offset:         3208
        .size:           4
        .value_kind:     by_value
      - .offset:         3216
        .size:           4
        .value_kind:     hidden_block_count_x
      - .offset:         3220
        .size:           4
        .value_kind:     hidden_block_count_y
      - .offset:         3224
        .size:           4
        .value_kind:     hidden_block_count_z
      - .offset:         3228
        .size:           2
        .value_kind:     hidden_group_size_x
      - .offset:         3230
        .size:           2
        .value_kind:     hidden_group_size_y
      - .offset:         3232
        .size:           2
        .value_kind:     hidden_group_size_z
      - .offset:         3234
        .size:           2
        .value_kind:     hidden_remainder_x
      - .offset:         3236
        .size:           2
        .value_kind:     hidden_remainder_y
      - .offset:         3238
        .size:           2
        .value_kind:     hidden_remainder_z
      - .offset:         3256
        .size:           8
        .value_kind:     hidden_global_offset_x
      - .offset:         3264
        .size:           8
        .value_kind:     hidden_global_offset_y
      - .offset:         3272
        .size:           8
        .value_kind:     hidden_global_offset_z
      - .offset:         3280
        .size:           2
        .value_kind:     hidden_grid_dims
    .group_segment_fixed_size: 2048
    .kernarg_segment_align: 8
    .kernarg_segment_size: 3472
    .language:       OpenCL C
    .language_version:
      - 2
      - 0
    .max_flat_workgroup_size: 1024
    .name:           _ZN2at6native14lpnorm_cleanupIN3c108BFloat16ELNS0_8NormTypeE3ENS2_4HalfELb1EfEEvPKT3_NS0_19TensorListAddressesEi
    .private_segment_fixed_size: 0
    .sgpr_count:     15
    .sgpr_spill_count: 0
    .symbol:         _ZN2at6native14lpnorm_cleanupIN3c108BFloat16ELNS0_8NormTypeE3ENS2_4HalfELb1EfEEvPKT3_NS0_19TensorListAddressesEi.kd
    .uniform_work_group_size: 1
    .uses_dynamic_stack: false
    .vgpr_count:     9
    .vgpr_spill_count: 0
    .wavefront_size: 32
  - .args:
      - .offset:         0
        .size:           3368
        .value_kind:     by_value
      - .offset:         3368
        .size:           1
        .value_kind:     by_value
      - .address_space:  global
        .offset:         3376
        .size:           8
        .value_kind:     global_buffer
      - .offset:         3384
        .size:           4
        .value_kind:     by_value
      - .offset:         3392
        .size:           4
        .value_kind:     hidden_block_count_x
      - .offset:         3396
        .size:           4
        .value_kind:     hidden_block_count_y
      - .offset:         3400
        .size:           4
        .value_kind:     hidden_block_count_z
      - .offset:         3404
        .size:           2
        .value_kind:     hidden_group_size_x
      - .offset:         3406
        .size:           2
        .value_kind:     hidden_group_size_y
      - .offset:         3408
        .size:           2
        .value_kind:     hidden_group_size_z
      - .offset:         3410
        .size:           2
        .value_kind:     hidden_remainder_x
      - .offset:         3412
        .size:           2
        .value_kind:     hidden_remainder_y
      - .offset:         3414
        .size:           2
        .value_kind:     hidden_remainder_z
      - .offset:         3432
        .size:           8
        .value_kind:     hidden_global_offset_x
      - .offset:         3440
        .size:           8
        .value_kind:     hidden_global_offset_y
      - .offset:         3448
        .size:           8
        .value_kind:     hidden_global_offset_z
      - .offset:         3456
        .size:           2
        .value_kind:     hidden_grid_dims
    .group_segment_fixed_size: 2048
    .kernarg_segment_align: 8
    .kernarg_segment_size: 3648
    .language:       OpenCL C
    .language_version:
      - 2
      - 0
    .max_flat_workgroup_size: 512
    .name:           _ZN2at6native12_GLOBAL__N_125multi_tensor_apply_kernelINS1_18TensorListMetadataILi1EEENS0_13LpNormFunctorIN3c108BFloat16ELNS0_8NormTypeE0ES7_Li1ELi1ELi0EEEJPfiEEEvT_T0_DpT1_
    .private_segment_fixed_size: 0
    .sgpr_count:     16
    .sgpr_spill_count: 0
    .symbol:         _ZN2at6native12_GLOBAL__N_125multi_tensor_apply_kernelINS1_18TensorListMetadataILi1EEENS0_13LpNormFunctorIN3c108BFloat16ELNS0_8NormTypeE0ES7_Li1ELi1ELi0EEEJPfiEEEvT_T0_DpT1_.kd
    .uniform_work_group_size: 1
    .uses_dynamic_stack: false
    .vgpr_count:     24
    .vgpr_spill_count: 0
    .wavefront_size: 32
  - .args:
      - .offset:         0
        .size:           3368
        .value_kind:     by_value
      - .offset:         3368
        .size:           1
        .value_kind:     by_value
      - .address_space:  global
        .offset:         3376
        .size:           8
        .value_kind:     global_buffer
      - .offset:         3384
        .size:           4
        .value_kind:     by_value
      - .offset:         3392
        .size:           4
        .value_kind:     hidden_block_count_x
      - .offset:         3396
        .size:           4
        .value_kind:     hidden_block_count_y
      - .offset:         3400
        .size:           4
        .value_kind:     hidden_block_count_z
      - .offset:         3404
        .size:           2
        .value_kind:     hidden_group_size_x
      - .offset:         3406
        .size:           2
        .value_kind:     hidden_group_size_y
      - .offset:         3408
        .size:           2
        .value_kind:     hidden_group_size_z
      - .offset:         3410
        .size:           2
        .value_kind:     hidden_remainder_x
      - .offset:         3412
        .size:           2
        .value_kind:     hidden_remainder_y
      - .offset:         3414
        .size:           2
        .value_kind:     hidden_remainder_z
      - .offset:         3432
        .size:           8
        .value_kind:     hidden_global_offset_x
      - .offset:         3440
        .size:           8
        .value_kind:     hidden_global_offset_y
      - .offset:         3448
        .size:           8
        .value_kind:     hidden_global_offset_z
      - .offset:         3456
        .size:           2
        .value_kind:     hidden_grid_dims
    .group_segment_fixed_size: 2048
    .kernarg_segment_align: 8
    .kernarg_segment_size: 3648
    .language:       OpenCL C
    .language_version:
      - 2
      - 0
    .max_flat_workgroup_size: 512
    .name:           _ZN2at6native12_GLOBAL__N_125multi_tensor_apply_kernelINS1_18TensorListMetadataILi1EEENS0_13LpNormFunctorIN3c108BFloat16ELNS0_8NormTypeE1ES7_Li1ELi1ELi0EEEJPfiEEEvT_T0_DpT1_
    .private_segment_fixed_size: 0
    .sgpr_count:     16
    .sgpr_spill_count: 0
    .symbol:         _ZN2at6native12_GLOBAL__N_125multi_tensor_apply_kernelINS1_18TensorListMetadataILi1EEENS0_13LpNormFunctorIN3c108BFloat16ELNS0_8NormTypeE1ES7_Li1ELi1ELi0EEEJPfiEEEvT_T0_DpT1_.kd
    .uniform_work_group_size: 1
    .uses_dynamic_stack: false
    .vgpr_count:     19
    .vgpr_spill_count: 0
    .wavefront_size: 32
  - .args:
      - .offset:         0
        .size:           3368
        .value_kind:     by_value
      - .offset:         3368
        .size:           1
        .value_kind:     by_value
      - .address_space:  global
        .offset:         3376
        .size:           8
        .value_kind:     global_buffer
      - .offset:         3384
        .size:           4
        .value_kind:     by_value
      - .offset:         3392
        .size:           4
        .value_kind:     hidden_block_count_x
      - .offset:         3396
        .size:           4
        .value_kind:     hidden_block_count_y
      - .offset:         3400
        .size:           4
        .value_kind:     hidden_block_count_z
      - .offset:         3404
        .size:           2
        .value_kind:     hidden_group_size_x
      - .offset:         3406
        .size:           2
        .value_kind:     hidden_group_size_y
      - .offset:         3408
        .size:           2
        .value_kind:     hidden_group_size_z
      - .offset:         3410
        .size:           2
        .value_kind:     hidden_remainder_x
      - .offset:         3412
        .size:           2
        .value_kind:     hidden_remainder_y
      - .offset:         3414
        .size:           2
        .value_kind:     hidden_remainder_z
      - .offset:         3432
        .size:           8
        .value_kind:     hidden_global_offset_x
      - .offset:         3440
        .size:           8
        .value_kind:     hidden_global_offset_y
      - .offset:         3448
        .size:           8
        .value_kind:     hidden_global_offset_z
      - .offset:         3456
        .size:           2
        .value_kind:     hidden_grid_dims
    .group_segment_fixed_size: 2048
    .kernarg_segment_align: 8
    .kernarg_segment_size: 3648
    .language:       OpenCL C
    .language_version:
      - 2
      - 0
    .max_flat_workgroup_size: 512
    .name:           _ZN2at6native12_GLOBAL__N_125multi_tensor_apply_kernelINS1_18TensorListMetadataILi1EEENS0_13LpNormFunctorIN3c108BFloat16ELNS0_8NormTypeE2ES7_Li1ELi1ELi0EEEJPfiEEEvT_T0_DpT1_
    .private_segment_fixed_size: 0
    .sgpr_count:     16
    .sgpr_spill_count: 0
    .symbol:         _ZN2at6native12_GLOBAL__N_125multi_tensor_apply_kernelINS1_18TensorListMetadataILi1EEENS0_13LpNormFunctorIN3c108BFloat16ELNS0_8NormTypeE2ES7_Li1ELi1ELi0EEEJPfiEEEvT_T0_DpT1_.kd
    .uniform_work_group_size: 1
    .uses_dynamic_stack: false
    .vgpr_count:     20
    .vgpr_spill_count: 0
    .wavefront_size: 32
  - .args:
      - .offset:         0
        .size:           3368
        .value_kind:     by_value
      - .offset:         3368
        .size:           1
        .value_kind:     by_value
      - .address_space:  global
        .offset:         3376
        .size:           8
        .value_kind:     global_buffer
      - .offset:         3384
        .size:           4
        .value_kind:     by_value
      - .offset:         3392
        .size:           4
        .value_kind:     hidden_block_count_x
      - .offset:         3396
        .size:           4
        .value_kind:     hidden_block_count_y
      - .offset:         3400
        .size:           4
        .value_kind:     hidden_block_count_z
      - .offset:         3404
        .size:           2
        .value_kind:     hidden_group_size_x
      - .offset:         3406
        .size:           2
        .value_kind:     hidden_group_size_y
      - .offset:         3408
        .size:           2
        .value_kind:     hidden_group_size_z
      - .offset:         3410
        .size:           2
        .value_kind:     hidden_remainder_x
      - .offset:         3412
        .size:           2
        .value_kind:     hidden_remainder_y
      - .offset:         3414
        .size:           2
        .value_kind:     hidden_remainder_z
      - .offset:         3432
        .size:           8
        .value_kind:     hidden_global_offset_x
      - .offset:         3440
        .size:           8
        .value_kind:     hidden_global_offset_y
      - .offset:         3448
        .size:           8
        .value_kind:     hidden_global_offset_z
      - .offset:         3456
        .size:           2
        .value_kind:     hidden_grid_dims
    .group_segment_fixed_size: 2048
    .kernarg_segment_align: 8
    .kernarg_segment_size: 3648
    .language:       OpenCL C
    .language_version:
      - 2
      - 0
    .max_flat_workgroup_size: 512
    .name:           _ZN2at6native12_GLOBAL__N_125multi_tensor_apply_kernelINS1_18TensorListMetadataILi1EEENS0_13LpNormFunctorIN3c108BFloat16ELNS0_8NormTypeE3ES7_Li1ELi1ELi0EEEJPfiEEEvT_T0_DpT1_
    .private_segment_fixed_size: 0
    .sgpr_count:     19
    .sgpr_spill_count: 0
    .symbol:         _ZN2at6native12_GLOBAL__N_125multi_tensor_apply_kernelINS1_18TensorListMetadataILi1EEENS0_13LpNormFunctorIN3c108BFloat16ELNS0_8NormTypeE3ES7_Li1ELi1ELi0EEEJPfiEEEvT_T0_DpT1_.kd
    .uniform_work_group_size: 1
    .uses_dynamic_stack: false
    .vgpr_count:     20
    .vgpr_spill_count: 0
    .wavefront_size: 32
  - .args:
      - .address_space:  global
        .offset:         0
        .size:           8
        .value_kind:     global_buffer
      - .offset:         8
        .size:           3200
        .value_kind:     by_value
      - .offset:         3208
        .size:           4
        .value_kind:     by_value
      - .offset:         3216
        .size:           4
        .value_kind:     hidden_block_count_x
      - .offset:         3220
        .size:           4
        .value_kind:     hidden_block_count_y
      - .offset:         3224
        .size:           4
        .value_kind:     hidden_block_count_z
      - .offset:         3228
        .size:           2
        .value_kind:     hidden_group_size_x
      - .offset:         3230
        .size:           2
        .value_kind:     hidden_group_size_y
      - .offset:         3232
        .size:           2
        .value_kind:     hidden_group_size_z
      - .offset:         3234
        .size:           2
        .value_kind:     hidden_remainder_x
      - .offset:         3236
        .size:           2
        .value_kind:     hidden_remainder_y
      - .offset:         3238
        .size:           2
        .value_kind:     hidden_remainder_z
      - .offset:         3256
        .size:           8
        .value_kind:     hidden_global_offset_x
      - .offset:         3264
        .size:           8
        .value_kind:     hidden_global_offset_y
      - .offset:         3272
        .size:           8
        .value_kind:     hidden_global_offset_z
      - .offset:         3280
        .size:           2
        .value_kind:     hidden_grid_dims
    .group_segment_fixed_size: 2048
    .kernarg_segment_align: 8
    .kernarg_segment_size: 3472
    .language:       OpenCL C
    .language_version:
      - 2
      - 0
    .max_flat_workgroup_size: 1024
    .name:           _ZN2at6native14lpnorm_cleanupIN3c108BFloat16ELNS0_8NormTypeE0ES3_Lb1EfEEvPKT3_NS0_19TensorListAddressesEi
    .private_segment_fixed_size: 0
    .sgpr_count:     14
    .sgpr_spill_count: 0
    .symbol:         _ZN2at6native14lpnorm_cleanupIN3c108BFloat16ELNS0_8NormTypeE0ES3_Lb1EfEEvPKT3_NS0_19TensorListAddressesEi.kd
    .uniform_work_group_size: 1
    .uses_dynamic_stack: false
    .vgpr_count:     9
    .vgpr_spill_count: 0
    .wavefront_size: 32
  - .args:
      - .address_space:  global
        .offset:         0
        .size:           8
        .value_kind:     global_buffer
      - .offset:         8
        .size:           3200
        .value_kind:     by_value
      - .offset:         3208
        .size:           4
        .value_kind:     by_value
      - .offset:         3216
        .size:           4
        .value_kind:     hidden_block_count_x
      - .offset:         3220
        .size:           4
        .value_kind:     hidden_block_count_y
      - .offset:         3224
        .size:           4
        .value_kind:     hidden_block_count_z
      - .offset:         3228
        .size:           2
        .value_kind:     hidden_group_size_x
      - .offset:         3230
        .size:           2
        .value_kind:     hidden_group_size_y
      - .offset:         3232
        .size:           2
        .value_kind:     hidden_group_size_z
      - .offset:         3234
        .size:           2
        .value_kind:     hidden_remainder_x
      - .offset:         3236
        .size:           2
        .value_kind:     hidden_remainder_y
      - .offset:         3238
        .size:           2
        .value_kind:     hidden_remainder_z
      - .offset:         3256
        .size:           8
        .value_kind:     hidden_global_offset_x
      - .offset:         3264
        .size:           8
        .value_kind:     hidden_global_offset_y
      - .offset:         3272
        .size:           8
        .value_kind:     hidden_global_offset_z
      - .offset:         3280
        .size:           2
        .value_kind:     hidden_grid_dims
    .group_segment_fixed_size: 2048
    .kernarg_segment_align: 8
    .kernarg_segment_size: 3472
    .language:       OpenCL C
    .language_version:
      - 2
      - 0
    .max_flat_workgroup_size: 1024
    .name:           _ZN2at6native14lpnorm_cleanupIN3c108BFloat16ELNS0_8NormTypeE1ES3_Lb1EfEEvPKT3_NS0_19TensorListAddressesEi
    .private_segment_fixed_size: 0
    .sgpr_count:     14
    .sgpr_spill_count: 0
    .symbol:         _ZN2at6native14lpnorm_cleanupIN3c108BFloat16ELNS0_8NormTypeE1ES3_Lb1EfEEvPKT3_NS0_19TensorListAddressesEi.kd
    .uniform_work_group_size: 1
    .uses_dynamic_stack: false
    .vgpr_count:     9
    .vgpr_spill_count: 0
    .wavefront_size: 32
  - .args:
      - .address_space:  global
        .offset:         0
        .size:           8
        .value_kind:     global_buffer
      - .offset:         8
        .size:           3200
        .value_kind:     by_value
      - .offset:         3208
        .size:           4
        .value_kind:     by_value
      - .offset:         3216
        .size:           4
        .value_kind:     hidden_block_count_x
      - .offset:         3220
        .size:           4
        .value_kind:     hidden_block_count_y
      - .offset:         3224
        .size:           4
        .value_kind:     hidden_block_count_z
      - .offset:         3228
        .size:           2
        .value_kind:     hidden_group_size_x
      - .offset:         3230
        .size:           2
        .value_kind:     hidden_group_size_y
      - .offset:         3232
        .size:           2
        .value_kind:     hidden_group_size_z
      - .offset:         3234
        .size:           2
        .value_kind:     hidden_remainder_x
      - .offset:         3236
        .size:           2
        .value_kind:     hidden_remainder_y
      - .offset:         3238
        .size:           2
        .value_kind:     hidden_remainder_z
      - .offset:         3256
        .size:           8
        .value_kind:     hidden_global_offset_x
      - .offset:         3264
        .size:           8
        .value_kind:     hidden_global_offset_y
      - .offset:         3272
        .size:           8
        .value_kind:     hidden_global_offset_z
      - .offset:         3280
        .size:           2
        .value_kind:     hidden_grid_dims
    .group_segment_fixed_size: 2048
    .kernarg_segment_align: 8
    .kernarg_segment_size: 3472
    .language:       OpenCL C
    .language_version:
      - 2
      - 0
    .max_flat_workgroup_size: 1024
    .name:           _ZN2at6native14lpnorm_cleanupIN3c108BFloat16ELNS0_8NormTypeE2ES3_Lb1EfEEvPKT3_NS0_19TensorListAddressesEi
    .private_segment_fixed_size: 0
    .sgpr_count:     14
    .sgpr_spill_count: 0
    .symbol:         _ZN2at6native14lpnorm_cleanupIN3c108BFloat16ELNS0_8NormTypeE2ES3_Lb1EfEEvPKT3_NS0_19TensorListAddressesEi.kd
    .uniform_work_group_size: 1
    .uses_dynamic_stack: false
    .vgpr_count:     9
    .vgpr_spill_count: 0
    .wavefront_size: 32
  - .args:
      - .address_space:  global
        .offset:         0
        .size:           8
        .value_kind:     global_buffer
      - .offset:         8
        .size:           3200
        .value_kind:     by_value
      - .offset:         3208
        .size:           4
        .value_kind:     by_value
      - .offset:         3216
        .size:           4
        .value_kind:     hidden_block_count_x
      - .offset:         3220
        .size:           4
        .value_kind:     hidden_block_count_y
      - .offset:         3224
        .size:           4
        .value_kind:     hidden_block_count_z
      - .offset:         3228
        .size:           2
        .value_kind:     hidden_group_size_x
      - .offset:         3230
        .size:           2
        .value_kind:     hidden_group_size_y
      - .offset:         3232
        .size:           2
        .value_kind:     hidden_group_size_z
      - .offset:         3234
        .size:           2
        .value_kind:     hidden_remainder_x
      - .offset:         3236
        .size:           2
        .value_kind:     hidden_remainder_y
      - .offset:         3238
        .size:           2
        .value_kind:     hidden_remainder_z
      - .offset:         3256
        .size:           8
        .value_kind:     hidden_global_offset_x
      - .offset:         3264
        .size:           8
        .value_kind:     hidden_global_offset_y
      - .offset:         3272
        .size:           8
        .value_kind:     hidden_global_offset_z
      - .offset:         3280
        .size:           2
        .value_kind:     hidden_grid_dims
    .group_segment_fixed_size: 2048
    .kernarg_segment_align: 8
    .kernarg_segment_size: 3472
    .language:       OpenCL C
    .language_version:
      - 2
      - 0
    .max_flat_workgroup_size: 1024
    .name:           _ZN2at6native14lpnorm_cleanupIN3c108BFloat16ELNS0_8NormTypeE3ES3_Lb1EfEEvPKT3_NS0_19TensorListAddressesEi
    .private_segment_fixed_size: 0
    .sgpr_count:     15
    .sgpr_spill_count: 0
    .symbol:         _ZN2at6native14lpnorm_cleanupIN3c108BFloat16ELNS0_8NormTypeE3ES3_Lb1EfEEvPKT3_NS0_19TensorListAddressesEi.kd
    .uniform_work_group_size: 1
    .uses_dynamic_stack: false
    .vgpr_count:     9
    .vgpr_spill_count: 0
    .wavefront_size: 32
  - .args:
      - .address_space:  global
        .offset:         0
        .size:           8
        .value_kind:     global_buffer
      - .offset:         8
        .size:           3200
        .value_kind:     by_value
      - .offset:         3208
        .size:           4
        .value_kind:     by_value
      - .offset:         3216
        .size:           4
        .value_kind:     hidden_block_count_x
      - .offset:         3220
        .size:           4
        .value_kind:     hidden_block_count_y
      - .offset:         3224
        .size:           4
        .value_kind:     hidden_block_count_z
      - .offset:         3228
        .size:           2
        .value_kind:     hidden_group_size_x
      - .offset:         3230
        .size:           2
        .value_kind:     hidden_group_size_y
      - .offset:         3232
        .size:           2
        .value_kind:     hidden_group_size_z
      - .offset:         3234
        .size:           2
        .value_kind:     hidden_remainder_x
      - .offset:         3236
        .size:           2
        .value_kind:     hidden_remainder_y
      - .offset:         3238
        .size:           2
        .value_kind:     hidden_remainder_z
      - .offset:         3256
        .size:           8
        .value_kind:     hidden_global_offset_x
      - .offset:         3264
        .size:           8
        .value_kind:     hidden_global_offset_y
      - .offset:         3272
        .size:           8
        .value_kind:     hidden_global_offset_z
      - .offset:         3280
        .size:           2
        .value_kind:     hidden_grid_dims
    .group_segment_fixed_size: 4096
    .kernarg_segment_align: 8
    .kernarg_segment_size: 3472
    .language:       OpenCL C
    .language_version:
      - 2
      - 0
    .max_flat_workgroup_size: 1024
    .name:           _ZN2at6native14lpnorm_cleanupIdLNS0_8NormTypeE0EdLb0EdEEvPKT3_NS0_19TensorListAddressesEi
    .private_segment_fixed_size: 0
    .sgpr_count:     14
    .sgpr_spill_count: 0
    .symbol:         _ZN2at6native14lpnorm_cleanupIdLNS0_8NormTypeE0EdLb0EdEEvPKT3_NS0_19TensorListAddressesEi.kd
    .uniform_work_group_size: 1
    .uses_dynamic_stack: false
    .vgpr_count:     11
    .vgpr_spill_count: 0
    .wavefront_size: 32
  - .args:
      - .address_space:  global
        .offset:         0
        .size:           8
        .value_kind:     global_buffer
      - .offset:         8
        .size:           3200
        .value_kind:     by_value
      - .offset:         3208
        .size:           4
        .value_kind:     by_value
      - .offset:         3216
        .size:           4
        .value_kind:     hidden_block_count_x
      - .offset:         3220
        .size:           4
        .value_kind:     hidden_block_count_y
      - .offset:         3224
        .size:           4
        .value_kind:     hidden_block_count_z
      - .offset:         3228
        .size:           2
        .value_kind:     hidden_group_size_x
      - .offset:         3230
        .size:           2
        .value_kind:     hidden_group_size_y
      - .offset:         3232
        .size:           2
        .value_kind:     hidden_group_size_z
      - .offset:         3234
        .size:           2
        .value_kind:     hidden_remainder_x
      - .offset:         3236
        .size:           2
        .value_kind:     hidden_remainder_y
      - .offset:         3238
        .size:           2
        .value_kind:     hidden_remainder_z
      - .offset:         3256
        .size:           8
        .value_kind:     hidden_global_offset_x
      - .offset:         3264
        .size:           8
        .value_kind:     hidden_global_offset_y
      - .offset:         3272
        .size:           8
        .value_kind:     hidden_global_offset_z
      - .offset:         3280
        .size:           2
        .value_kind:     hidden_grid_dims
    .group_segment_fixed_size: 4096
    .kernarg_segment_align: 8
    .kernarg_segment_size: 3472
    .language:       OpenCL C
    .language_version:
      - 2
      - 0
    .max_flat_workgroup_size: 1024
    .name:           _ZN2at6native14lpnorm_cleanupIdLNS0_8NormTypeE1EdLb0EdEEvPKT3_NS0_19TensorListAddressesEi
    .private_segment_fixed_size: 0
    .sgpr_count:     14
    .sgpr_spill_count: 0
    .symbol:         _ZN2at6native14lpnorm_cleanupIdLNS0_8NormTypeE1EdLb0EdEEvPKT3_NS0_19TensorListAddressesEi.kd
    .uniform_work_group_size: 1
    .uses_dynamic_stack: false
    .vgpr_count:     11
    .vgpr_spill_count: 0
    .wavefront_size: 32
  - .args:
      - .address_space:  global
        .offset:         0
        .size:           8
        .value_kind:     global_buffer
      - .offset:         8
        .size:           3200
        .value_kind:     by_value
      - .offset:         3208
        .size:           4
        .value_kind:     by_value
      - .offset:         3216
        .size:           4
        .value_kind:     hidden_block_count_x
      - .offset:         3220
        .size:           4
        .value_kind:     hidden_block_count_y
      - .offset:         3224
        .size:           4
        .value_kind:     hidden_block_count_z
      - .offset:         3228
        .size:           2
        .value_kind:     hidden_group_size_x
      - .offset:         3230
        .size:           2
        .value_kind:     hidden_group_size_y
      - .offset:         3232
        .size:           2
        .value_kind:     hidden_group_size_z
      - .offset:         3234
        .size:           2
        .value_kind:     hidden_remainder_x
      - .offset:         3236
        .size:           2
        .value_kind:     hidden_remainder_y
      - .offset:         3238
        .size:           2
        .value_kind:     hidden_remainder_z
      - .offset:         3256
        .size:           8
        .value_kind:     hidden_global_offset_x
      - .offset:         3264
        .size:           8
        .value_kind:     hidden_global_offset_y
      - .offset:         3272
        .size:           8
        .value_kind:     hidden_global_offset_z
      - .offset:         3280
        .size:           2
        .value_kind:     hidden_grid_dims
    .group_segment_fixed_size: 4096
    .kernarg_segment_align: 8
    .kernarg_segment_size: 3472
    .language:       OpenCL C
    .language_version:
      - 2
      - 0
    .max_flat_workgroup_size: 1024
    .name:           _ZN2at6native14lpnorm_cleanupIdLNS0_8NormTypeE2EdLb0EdEEvPKT3_NS0_19TensorListAddressesEi
    .private_segment_fixed_size: 0
    .sgpr_count:     14
    .sgpr_spill_count: 0
    .symbol:         _ZN2at6native14lpnorm_cleanupIdLNS0_8NormTypeE2EdLb0EdEEvPKT3_NS0_19TensorListAddressesEi.kd
    .uniform_work_group_size: 1
    .uses_dynamic_stack: false
    .vgpr_count:     11
    .vgpr_spill_count: 0
    .wavefront_size: 32
  - .args:
      - .address_space:  global
        .offset:         0
        .size:           8
        .value_kind:     global_buffer
      - .offset:         8
        .size:           3200
        .value_kind:     by_value
      - .offset:         3208
        .size:           4
        .value_kind:     by_value
      - .offset:         3216
        .size:           4
        .value_kind:     hidden_block_count_x
      - .offset:         3220
        .size:           4
        .value_kind:     hidden_block_count_y
      - .offset:         3224
        .size:           4
        .value_kind:     hidden_block_count_z
      - .offset:         3228
        .size:           2
        .value_kind:     hidden_group_size_x
      - .offset:         3230
        .size:           2
        .value_kind:     hidden_group_size_y
      - .offset:         3232
        .size:           2
        .value_kind:     hidden_group_size_z
      - .offset:         3234
        .size:           2
        .value_kind:     hidden_remainder_x
      - .offset:         3236
        .size:           2
        .value_kind:     hidden_remainder_y
      - .offset:         3238
        .size:           2
        .value_kind:     hidden_remainder_z
      - .offset:         3256
        .size:           8
        .value_kind:     hidden_global_offset_x
      - .offset:         3264
        .size:           8
        .value_kind:     hidden_global_offset_y
      - .offset:         3272
        .size:           8
        .value_kind:     hidden_global_offset_z
      - .offset:         3280
        .size:           2
        .value_kind:     hidden_grid_dims
    .group_segment_fixed_size: 2048
    .kernarg_segment_align: 8
    .kernarg_segment_size: 3472
    .language:       OpenCL C
    .language_version:
      - 2
      - 0
    .max_flat_workgroup_size: 1024
    .name:           _ZN2at6native14lpnorm_cleanupIdLNS0_8NormTypeE0EfLb0EfEEvPKT3_NS0_19TensorListAddressesEi
    .private_segment_fixed_size: 0
    .sgpr_count:     14
    .sgpr_spill_count: 0
    .symbol:         _ZN2at6native14lpnorm_cleanupIdLNS0_8NormTypeE0EfLb0EfEEvPKT3_NS0_19TensorListAddressesEi.kd
    .uniform_work_group_size: 1
    .uses_dynamic_stack: false
    .vgpr_count:     9
    .vgpr_spill_count: 0
    .wavefront_size: 32
  - .args:
      - .address_space:  global
        .offset:         0
        .size:           8
        .value_kind:     global_buffer
      - .offset:         8
        .size:           3200
        .value_kind:     by_value
      - .offset:         3208
        .size:           4
        .value_kind:     by_value
      - .offset:         3216
        .size:           4
        .value_kind:     hidden_block_count_x
      - .offset:         3220
        .size:           4
        .value_kind:     hidden_block_count_y
      - .offset:         3224
        .size:           4
        .value_kind:     hidden_block_count_z
      - .offset:         3228
        .size:           2
        .value_kind:     hidden_group_size_x
      - .offset:         3230
        .size:           2
        .value_kind:     hidden_group_size_y
      - .offset:         3232
        .size:           2
        .value_kind:     hidden_group_size_z
      - .offset:         3234
        .size:           2
        .value_kind:     hidden_remainder_x
      - .offset:         3236
        .size:           2
        .value_kind:     hidden_remainder_y
      - .offset:         3238
        .size:           2
        .value_kind:     hidden_remainder_z
      - .offset:         3256
        .size:           8
        .value_kind:     hidden_global_offset_x
      - .offset:         3264
        .size:           8
        .value_kind:     hidden_global_offset_y
      - .offset:         3272
        .size:           8
        .value_kind:     hidden_global_offset_z
      - .offset:         3280
        .size:           2
        .value_kind:     hidden_grid_dims
    .group_segment_fixed_size: 2048
    .kernarg_segment_align: 8
    .kernarg_segment_size: 3472
    .language:       OpenCL C
    .language_version:
      - 2
      - 0
    .max_flat_workgroup_size: 1024
    .name:           _ZN2at6native14lpnorm_cleanupIdLNS0_8NormTypeE1EfLb0EfEEvPKT3_NS0_19TensorListAddressesEi
    .private_segment_fixed_size: 0
    .sgpr_count:     14
    .sgpr_spill_count: 0
    .symbol:         _ZN2at6native14lpnorm_cleanupIdLNS0_8NormTypeE1EfLb0EfEEvPKT3_NS0_19TensorListAddressesEi.kd
    .uniform_work_group_size: 1
    .uses_dynamic_stack: false
    .vgpr_count:     9
    .vgpr_spill_count: 0
    .wavefront_size: 32
  - .args:
      - .address_space:  global
        .offset:         0
        .size:           8
        .value_kind:     global_buffer
      - .offset:         8
        .size:           3200
        .value_kind:     by_value
      - .offset:         3208
        .size:           4
        .value_kind:     by_value
      - .offset:         3216
        .size:           4
        .value_kind:     hidden_block_count_x
      - .offset:         3220
        .size:           4
        .value_kind:     hidden_block_count_y
      - .offset:         3224
        .size:           4
        .value_kind:     hidden_block_count_z
      - .offset:         3228
        .size:           2
        .value_kind:     hidden_group_size_x
      - .offset:         3230
        .size:           2
        .value_kind:     hidden_group_size_y
      - .offset:         3232
        .size:           2
        .value_kind:     hidden_group_size_z
      - .offset:         3234
        .size:           2
        .value_kind:     hidden_remainder_x
      - .offset:         3236
        .size:           2
        .value_kind:     hidden_remainder_y
      - .offset:         3238
        .size:           2
        .value_kind:     hidden_remainder_z
      - .offset:         3256
        .size:           8
        .value_kind:     hidden_global_offset_x
      - .offset:         3264
        .size:           8
        .value_kind:     hidden_global_offset_y
      - .offset:         3272
        .size:           8
        .value_kind:     hidden_global_offset_z
      - .offset:         3280
        .size:           2
        .value_kind:     hidden_grid_dims
    .group_segment_fixed_size: 2048
    .kernarg_segment_align: 8
    .kernarg_segment_size: 3472
    .language:       OpenCL C
    .language_version:
      - 2
      - 0
    .max_flat_workgroup_size: 1024
    .name:           _ZN2at6native14lpnorm_cleanupIdLNS0_8NormTypeE2EfLb0EfEEvPKT3_NS0_19TensorListAddressesEi
    .private_segment_fixed_size: 0
    .sgpr_count:     14
    .sgpr_spill_count: 0
    .symbol:         _ZN2at6native14lpnorm_cleanupIdLNS0_8NormTypeE2EfLb0EfEEvPKT3_NS0_19TensorListAddressesEi.kd
    .uniform_work_group_size: 1
    .uses_dynamic_stack: false
    .vgpr_count:     9
    .vgpr_spill_count: 0
    .wavefront_size: 32
  - .args:
      - .address_space:  global
        .offset:         0
        .size:           8
        .value_kind:     global_buffer
      - .offset:         8
        .size:           3200
        .value_kind:     by_value
      - .offset:         3208
        .size:           4
        .value_kind:     by_value
      - .offset:         3216
        .size:           4
        .value_kind:     hidden_block_count_x
      - .offset:         3220
        .size:           4
        .value_kind:     hidden_block_count_y
      - .offset:         3224
        .size:           4
        .value_kind:     hidden_block_count_z
      - .offset:         3228
        .size:           2
        .value_kind:     hidden_group_size_x
      - .offset:         3230
        .size:           2
        .value_kind:     hidden_group_size_y
      - .offset:         3232
        .size:           2
        .value_kind:     hidden_group_size_z
      - .offset:         3234
        .size:           2
        .value_kind:     hidden_remainder_x
      - .offset:         3236
        .size:           2
        .value_kind:     hidden_remainder_y
      - .offset:         3238
        .size:           2
        .value_kind:     hidden_remainder_z
      - .offset:         3256
        .size:           8
        .value_kind:     hidden_global_offset_x
      - .offset:         3264
        .size:           8
        .value_kind:     hidden_global_offset_y
      - .offset:         3272
        .size:           8
        .value_kind:     hidden_global_offset_z
      - .offset:         3280
        .size:           2
        .value_kind:     hidden_grid_dims
    .group_segment_fixed_size: 2048
    .kernarg_segment_align: 8
    .kernarg_segment_size: 3472
    .language:       OpenCL C
    .language_version:
      - 2
      - 0
    .max_flat_workgroup_size: 1024
    .name:           _ZN2at6native14lpnorm_cleanupIdLNS0_8NormTypeE0EN3c104HalfELb0EfEEvPKT3_NS0_19TensorListAddressesEi
    .private_segment_fixed_size: 0
    .sgpr_count:     14
    .sgpr_spill_count: 0
    .symbol:         _ZN2at6native14lpnorm_cleanupIdLNS0_8NormTypeE0EN3c104HalfELb0EfEEvPKT3_NS0_19TensorListAddressesEi.kd
    .uniform_work_group_size: 1
    .uses_dynamic_stack: false
    .vgpr_count:     9
    .vgpr_spill_count: 0
    .wavefront_size: 32
  - .args:
      - .address_space:  global
        .offset:         0
        .size:           8
        .value_kind:     global_buffer
      - .offset:         8
        .size:           3200
        .value_kind:     by_value
      - .offset:         3208
        .size:           4
        .value_kind:     by_value
      - .offset:         3216
        .size:           4
        .value_kind:     hidden_block_count_x
      - .offset:         3220
        .size:           4
        .value_kind:     hidden_block_count_y
      - .offset:         3224
        .size:           4
        .value_kind:     hidden_block_count_z
      - .offset:         3228
        .size:           2
        .value_kind:     hidden_group_size_x
      - .offset:         3230
        .size:           2
        .value_kind:     hidden_group_size_y
      - .offset:         3232
        .size:           2
        .value_kind:     hidden_group_size_z
      - .offset:         3234
        .size:           2
        .value_kind:     hidden_remainder_x
      - .offset:         3236
        .size:           2
        .value_kind:     hidden_remainder_y
      - .offset:         3238
        .size:           2
        .value_kind:     hidden_remainder_z
      - .offset:         3256
        .size:           8
        .value_kind:     hidden_global_offset_x
      - .offset:         3264
        .size:           8
        .value_kind:     hidden_global_offset_y
      - .offset:         3272
        .size:           8
        .value_kind:     hidden_global_offset_z
      - .offset:         3280
        .size:           2
        .value_kind:     hidden_grid_dims
    .group_segment_fixed_size: 2048
    .kernarg_segment_align: 8
    .kernarg_segment_size: 3472
    .language:       OpenCL C
    .language_version:
      - 2
      - 0
    .max_flat_workgroup_size: 1024
    .name:           _ZN2at6native14lpnorm_cleanupIdLNS0_8NormTypeE1EN3c104HalfELb0EfEEvPKT3_NS0_19TensorListAddressesEi
    .private_segment_fixed_size: 0
    .sgpr_count:     14
    .sgpr_spill_count: 0
    .symbol:         _ZN2at6native14lpnorm_cleanupIdLNS0_8NormTypeE1EN3c104HalfELb0EfEEvPKT3_NS0_19TensorListAddressesEi.kd
    .uniform_work_group_size: 1
    .uses_dynamic_stack: false
    .vgpr_count:     9
    .vgpr_spill_count: 0
    .wavefront_size: 32
  - .args:
      - .address_space:  global
        .offset:         0
        .size:           8
        .value_kind:     global_buffer
      - .offset:         8
        .size:           3200
        .value_kind:     by_value
      - .offset:         3208
        .size:           4
        .value_kind:     by_value
      - .offset:         3216
        .size:           4
        .value_kind:     hidden_block_count_x
      - .offset:         3220
        .size:           4
        .value_kind:     hidden_block_count_y
      - .offset:         3224
        .size:           4
        .value_kind:     hidden_block_count_z
      - .offset:         3228
        .size:           2
        .value_kind:     hidden_group_size_x
      - .offset:         3230
        .size:           2
        .value_kind:     hidden_group_size_y
      - .offset:         3232
        .size:           2
        .value_kind:     hidden_group_size_z
      - .offset:         3234
        .size:           2
        .value_kind:     hidden_remainder_x
      - .offset:         3236
        .size:           2
        .value_kind:     hidden_remainder_y
      - .offset:         3238
        .size:           2
        .value_kind:     hidden_remainder_z
      - .offset:         3256
        .size:           8
        .value_kind:     hidden_global_offset_x
      - .offset:         3264
        .size:           8
        .value_kind:     hidden_global_offset_y
      - .offset:         3272
        .size:           8
        .value_kind:     hidden_global_offset_z
      - .offset:         3280
        .size:           2
        .value_kind:     hidden_grid_dims
    .group_segment_fixed_size: 2048
    .kernarg_segment_align: 8
    .kernarg_segment_size: 3472
    .language:       OpenCL C
    .language_version:
      - 2
      - 0
    .max_flat_workgroup_size: 1024
    .name:           _ZN2at6native14lpnorm_cleanupIdLNS0_8NormTypeE2EN3c104HalfELb0EfEEvPKT3_NS0_19TensorListAddressesEi
    .private_segment_fixed_size: 0
    .sgpr_count:     14
    .sgpr_spill_count: 0
    .symbol:         _ZN2at6native14lpnorm_cleanupIdLNS0_8NormTypeE2EN3c104HalfELb0EfEEvPKT3_NS0_19TensorListAddressesEi.kd
    .uniform_work_group_size: 1
    .uses_dynamic_stack: false
    .vgpr_count:     9
    .vgpr_spill_count: 0
    .wavefront_size: 32
  - .args:
      - .address_space:  global
        .offset:         0
        .size:           8
        .value_kind:     global_buffer
      - .offset:         8
        .size:           3200
        .value_kind:     by_value
      - .offset:         3208
        .size:           4
        .value_kind:     by_value
      - .offset:         3216
        .size:           4
        .value_kind:     hidden_block_count_x
      - .offset:         3220
        .size:           4
        .value_kind:     hidden_block_count_y
      - .offset:         3224
        .size:           4
        .value_kind:     hidden_block_count_z
      - .offset:         3228
        .size:           2
        .value_kind:     hidden_group_size_x
      - .offset:         3230
        .size:           2
        .value_kind:     hidden_group_size_y
      - .offset:         3232
        .size:           2
        .value_kind:     hidden_group_size_z
      - .offset:         3234
        .size:           2
        .value_kind:     hidden_remainder_x
      - .offset:         3236
        .size:           2
        .value_kind:     hidden_remainder_y
      - .offset:         3238
        .size:           2
        .value_kind:     hidden_remainder_z
      - .offset:         3256
        .size:           8
        .value_kind:     hidden_global_offset_x
      - .offset:         3264
        .size:           8
        .value_kind:     hidden_global_offset_y
      - .offset:         3272
        .size:           8
        .value_kind:     hidden_global_offset_z
      - .offset:         3280
        .size:           2
        .value_kind:     hidden_grid_dims
    .group_segment_fixed_size: 2048
    .kernarg_segment_align: 8
    .kernarg_segment_size: 3472
    .language:       OpenCL C
    .language_version:
      - 2
      - 0
    .max_flat_workgroup_size: 1024
    .name:           _ZN2at6native14lpnorm_cleanupIdLNS0_8NormTypeE0EN3c108BFloat16ELb0EfEEvPKT3_NS0_19TensorListAddressesEi
    .private_segment_fixed_size: 0
    .sgpr_count:     14
    .sgpr_spill_count: 0
    .symbol:         _ZN2at6native14lpnorm_cleanupIdLNS0_8NormTypeE0EN3c108BFloat16ELb0EfEEvPKT3_NS0_19TensorListAddressesEi.kd
    .uniform_work_group_size: 1
    .uses_dynamic_stack: false
    .vgpr_count:     9
    .vgpr_spill_count: 0
    .wavefront_size: 32
  - .args:
      - .address_space:  global
        .offset:         0
        .size:           8
        .value_kind:     global_buffer
      - .offset:         8
        .size:           3200
        .value_kind:     by_value
      - .offset:         3208
        .size:           4
        .value_kind:     by_value
      - .offset:         3216
        .size:           4
        .value_kind:     hidden_block_count_x
      - .offset:         3220
        .size:           4
        .value_kind:     hidden_block_count_y
      - .offset:         3224
        .size:           4
        .value_kind:     hidden_block_count_z
      - .offset:         3228
        .size:           2
        .value_kind:     hidden_group_size_x
      - .offset:         3230
        .size:           2
        .value_kind:     hidden_group_size_y
      - .offset:         3232
        .size:           2
        .value_kind:     hidden_group_size_z
      - .offset:         3234
        .size:           2
        .value_kind:     hidden_remainder_x
      - .offset:         3236
        .size:           2
        .value_kind:     hidden_remainder_y
      - .offset:         3238
        .size:           2
        .value_kind:     hidden_remainder_z
      - .offset:         3256
        .size:           8
        .value_kind:     hidden_global_offset_x
      - .offset:         3264
        .size:           8
        .value_kind:     hidden_global_offset_y
      - .offset:         3272
        .size:           8
        .value_kind:     hidden_global_offset_z
      - .offset:         3280
        .size:           2
        .value_kind:     hidden_grid_dims
    .group_segment_fixed_size: 2048
    .kernarg_segment_align: 8
    .kernarg_segment_size: 3472
    .language:       OpenCL C
    .language_version:
      - 2
      - 0
    .max_flat_workgroup_size: 1024
    .name:           _ZN2at6native14lpnorm_cleanupIdLNS0_8NormTypeE1EN3c108BFloat16ELb0EfEEvPKT3_NS0_19TensorListAddressesEi
    .private_segment_fixed_size: 0
    .sgpr_count:     14
    .sgpr_spill_count: 0
    .symbol:         _ZN2at6native14lpnorm_cleanupIdLNS0_8NormTypeE1EN3c108BFloat16ELb0EfEEvPKT3_NS0_19TensorListAddressesEi.kd
    .uniform_work_group_size: 1
    .uses_dynamic_stack: false
    .vgpr_count:     9
    .vgpr_spill_count: 0
    .wavefront_size: 32
  - .args:
      - .address_space:  global
        .offset:         0
        .size:           8
        .value_kind:     global_buffer
      - .offset:         8
        .size:           3200
        .value_kind:     by_value
      - .offset:         3208
        .size:           4
        .value_kind:     by_value
      - .offset:         3216
        .size:           4
        .value_kind:     hidden_block_count_x
      - .offset:         3220
        .size:           4
        .value_kind:     hidden_block_count_y
      - .offset:         3224
        .size:           4
        .value_kind:     hidden_block_count_z
      - .offset:         3228
        .size:           2
        .value_kind:     hidden_group_size_x
      - .offset:         3230
        .size:           2
        .value_kind:     hidden_group_size_y
      - .offset:         3232
        .size:           2
        .value_kind:     hidden_group_size_z
      - .offset:         3234
        .size:           2
        .value_kind:     hidden_remainder_x
      - .offset:         3236
        .size:           2
        .value_kind:     hidden_remainder_y
      - .offset:         3238
        .size:           2
        .value_kind:     hidden_remainder_z
      - .offset:         3256
        .size:           8
        .value_kind:     hidden_global_offset_x
      - .offset:         3264
        .size:           8
        .value_kind:     hidden_global_offset_y
      - .offset:         3272
        .size:           8
        .value_kind:     hidden_global_offset_z
      - .offset:         3280
        .size:           2
        .value_kind:     hidden_grid_dims
    .group_segment_fixed_size: 2048
    .kernarg_segment_align: 8
    .kernarg_segment_size: 3472
    .language:       OpenCL C
    .language_version:
      - 2
      - 0
    .max_flat_workgroup_size: 1024
    .name:           _ZN2at6native14lpnorm_cleanupIdLNS0_8NormTypeE2EN3c108BFloat16ELb0EfEEvPKT3_NS0_19TensorListAddressesEi
    .private_segment_fixed_size: 0
    .sgpr_count:     14
    .sgpr_spill_count: 0
    .symbol:         _ZN2at6native14lpnorm_cleanupIdLNS0_8NormTypeE2EN3c108BFloat16ELb0EfEEvPKT3_NS0_19TensorListAddressesEi.kd
    .uniform_work_group_size: 1
    .uses_dynamic_stack: false
    .vgpr_count:     9
    .vgpr_spill_count: 0
    .wavefront_size: 32
  - .args:
      - .address_space:  global
        .offset:         0
        .size:           8
        .value_kind:     global_buffer
      - .offset:         8
        .size:           3200
        .value_kind:     by_value
      - .offset:         3208
        .size:           4
        .value_kind:     by_value
      - .offset:         3216
        .size:           4
        .value_kind:     hidden_block_count_x
      - .offset:         3220
        .size:           4
        .value_kind:     hidden_block_count_y
      - .offset:         3224
        .size:           4
        .value_kind:     hidden_block_count_z
      - .offset:         3228
        .size:           2
        .value_kind:     hidden_group_size_x
      - .offset:         3230
        .size:           2
        .value_kind:     hidden_group_size_y
      - .offset:         3232
        .size:           2
        .value_kind:     hidden_group_size_z
      - .offset:         3234
        .size:           2
        .value_kind:     hidden_remainder_x
      - .offset:         3236
        .size:           2
        .value_kind:     hidden_remainder_y
      - .offset:         3238
        .size:           2
        .value_kind:     hidden_remainder_z
      - .offset:         3256
        .size:           8
        .value_kind:     hidden_global_offset_x
      - .offset:         3264
        .size:           8
        .value_kind:     hidden_global_offset_y
      - .offset:         3272
        .size:           8
        .value_kind:     hidden_global_offset_z
      - .offset:         3280
        .size:           2
        .value_kind:     hidden_grid_dims
    .group_segment_fixed_size: 4096
    .kernarg_segment_align: 8
    .kernarg_segment_size: 3472
    .language:       OpenCL C
    .language_version:
      - 2
      - 0
    .max_flat_workgroup_size: 1024
    .name:           _ZN2at6native14lpnorm_cleanupIfLNS0_8NormTypeE0EdLb0EdEEvPKT3_NS0_19TensorListAddressesEi
    .private_segment_fixed_size: 0
    .sgpr_count:     14
    .sgpr_spill_count: 0
    .symbol:         _ZN2at6native14lpnorm_cleanupIfLNS0_8NormTypeE0EdLb0EdEEvPKT3_NS0_19TensorListAddressesEi.kd
    .uniform_work_group_size: 1
    .uses_dynamic_stack: false
    .vgpr_count:     11
    .vgpr_spill_count: 0
    .wavefront_size: 32
  - .args:
      - .address_space:  global
        .offset:         0
        .size:           8
        .value_kind:     global_buffer
      - .offset:         8
        .size:           3200
        .value_kind:     by_value
      - .offset:         3208
        .size:           4
        .value_kind:     by_value
      - .offset:         3216
        .size:           4
        .value_kind:     hidden_block_count_x
      - .offset:         3220
        .size:           4
        .value_kind:     hidden_block_count_y
      - .offset:         3224
        .size:           4
        .value_kind:     hidden_block_count_z
      - .offset:         3228
        .size:           2
        .value_kind:     hidden_group_size_x
      - .offset:         3230
        .size:           2
        .value_kind:     hidden_group_size_y
      - .offset:         3232
        .size:           2
        .value_kind:     hidden_group_size_z
      - .offset:         3234
        .size:           2
        .value_kind:     hidden_remainder_x
      - .offset:         3236
        .size:           2
        .value_kind:     hidden_remainder_y
      - .offset:         3238
        .size:           2
        .value_kind:     hidden_remainder_z
      - .offset:         3256
        .size:           8
        .value_kind:     hidden_global_offset_x
      - .offset:         3264
        .size:           8
        .value_kind:     hidden_global_offset_y
      - .offset:         3272
        .size:           8
        .value_kind:     hidden_global_offset_z
      - .offset:         3280
        .size:           2
        .value_kind:     hidden_grid_dims
    .group_segment_fixed_size: 4096
    .kernarg_segment_align: 8
    .kernarg_segment_size: 3472
    .language:       OpenCL C
    .language_version:
      - 2
      - 0
    .max_flat_workgroup_size: 1024
    .name:           _ZN2at6native14lpnorm_cleanupIfLNS0_8NormTypeE1EdLb0EdEEvPKT3_NS0_19TensorListAddressesEi
    .private_segment_fixed_size: 0
    .sgpr_count:     14
    .sgpr_spill_count: 0
    .symbol:         _ZN2at6native14lpnorm_cleanupIfLNS0_8NormTypeE1EdLb0EdEEvPKT3_NS0_19TensorListAddressesEi.kd
    .uniform_work_group_size: 1
    .uses_dynamic_stack: false
    .vgpr_count:     11
    .vgpr_spill_count: 0
    .wavefront_size: 32
  - .args:
      - .address_space:  global
        .offset:         0
        .size:           8
        .value_kind:     global_buffer
      - .offset:         8
        .size:           3200
        .value_kind:     by_value
      - .offset:         3208
        .size:           4
        .value_kind:     by_value
      - .offset:         3216
        .size:           4
        .value_kind:     hidden_block_count_x
      - .offset:         3220
        .size:           4
        .value_kind:     hidden_block_count_y
      - .offset:         3224
        .size:           4
        .value_kind:     hidden_block_count_z
      - .offset:         3228
        .size:           2
        .value_kind:     hidden_group_size_x
      - .offset:         3230
        .size:           2
        .value_kind:     hidden_group_size_y
      - .offset:         3232
        .size:           2
        .value_kind:     hidden_group_size_z
      - .offset:         3234
        .size:           2
        .value_kind:     hidden_remainder_x
      - .offset:         3236
        .size:           2
        .value_kind:     hidden_remainder_y
      - .offset:         3238
        .size:           2
        .value_kind:     hidden_remainder_z
      - .offset:         3256
        .size:           8
        .value_kind:     hidden_global_offset_x
      - .offset:         3264
        .size:           8
        .value_kind:     hidden_global_offset_y
      - .offset:         3272
        .size:           8
        .value_kind:     hidden_global_offset_z
      - .offset:         3280
        .size:           2
        .value_kind:     hidden_grid_dims
    .group_segment_fixed_size: 4096
    .kernarg_segment_align: 8
    .kernarg_segment_size: 3472
    .language:       OpenCL C
    .language_version:
      - 2
      - 0
    .max_flat_workgroup_size: 1024
    .name:           _ZN2at6native14lpnorm_cleanupIfLNS0_8NormTypeE2EdLb0EdEEvPKT3_NS0_19TensorListAddressesEi
    .private_segment_fixed_size: 0
    .sgpr_count:     14
    .sgpr_spill_count: 0
    .symbol:         _ZN2at6native14lpnorm_cleanupIfLNS0_8NormTypeE2EdLb0EdEEvPKT3_NS0_19TensorListAddressesEi.kd
    .uniform_work_group_size: 1
    .uses_dynamic_stack: false
    .vgpr_count:     11
    .vgpr_spill_count: 0
    .wavefront_size: 32
  - .args:
      - .address_space:  global
        .offset:         0
        .size:           8
        .value_kind:     global_buffer
      - .offset:         8
        .size:           3200
        .value_kind:     by_value
      - .offset:         3208
        .size:           4
        .value_kind:     by_value
      - .offset:         3216
        .size:           4
        .value_kind:     hidden_block_count_x
      - .offset:         3220
        .size:           4
        .value_kind:     hidden_block_count_y
      - .offset:         3224
        .size:           4
        .value_kind:     hidden_block_count_z
      - .offset:         3228
        .size:           2
        .value_kind:     hidden_group_size_x
      - .offset:         3230
        .size:           2
        .value_kind:     hidden_group_size_y
      - .offset:         3232
        .size:           2
        .value_kind:     hidden_group_size_z
      - .offset:         3234
        .size:           2
        .value_kind:     hidden_remainder_x
      - .offset:         3236
        .size:           2
        .value_kind:     hidden_remainder_y
      - .offset:         3238
        .size:           2
        .value_kind:     hidden_remainder_z
      - .offset:         3256
        .size:           8
        .value_kind:     hidden_global_offset_x
      - .offset:         3264
        .size:           8
        .value_kind:     hidden_global_offset_y
      - .offset:         3272
        .size:           8
        .value_kind:     hidden_global_offset_z
      - .offset:         3280
        .size:           2
        .value_kind:     hidden_grid_dims
    .group_segment_fixed_size: 2048
    .kernarg_segment_align: 8
    .kernarg_segment_size: 3472
    .language:       OpenCL C
    .language_version:
      - 2
      - 0
    .max_flat_workgroup_size: 1024
    .name:           _ZN2at6native14lpnorm_cleanupIfLNS0_8NormTypeE0EfLb0EfEEvPKT3_NS0_19TensorListAddressesEi
    .private_segment_fixed_size: 0
    .sgpr_count:     14
    .sgpr_spill_count: 0
    .symbol:         _ZN2at6native14lpnorm_cleanupIfLNS0_8NormTypeE0EfLb0EfEEvPKT3_NS0_19TensorListAddressesEi.kd
    .uniform_work_group_size: 1
    .uses_dynamic_stack: false
    .vgpr_count:     9
    .vgpr_spill_count: 0
    .wavefront_size: 32
  - .args:
      - .address_space:  global
        .offset:         0
        .size:           8
        .value_kind:     global_buffer
      - .offset:         8
        .size:           3200
        .value_kind:     by_value
      - .offset:         3208
        .size:           4
        .value_kind:     by_value
      - .offset:         3216
        .size:           4
        .value_kind:     hidden_block_count_x
      - .offset:         3220
        .size:           4
        .value_kind:     hidden_block_count_y
      - .offset:         3224
        .size:           4
        .value_kind:     hidden_block_count_z
      - .offset:         3228
        .size:           2
        .value_kind:     hidden_group_size_x
      - .offset:         3230
        .size:           2
        .value_kind:     hidden_group_size_y
      - .offset:         3232
        .size:           2
        .value_kind:     hidden_group_size_z
      - .offset:         3234
        .size:           2
        .value_kind:     hidden_remainder_x
      - .offset:         3236
        .size:           2
        .value_kind:     hidden_remainder_y
      - .offset:         3238
        .size:           2
        .value_kind:     hidden_remainder_z
      - .offset:         3256
        .size:           8
        .value_kind:     hidden_global_offset_x
      - .offset:         3264
        .size:           8
        .value_kind:     hidden_global_offset_y
      - .offset:         3272
        .size:           8
        .value_kind:     hidden_global_offset_z
      - .offset:         3280
        .size:           2
        .value_kind:     hidden_grid_dims
    .group_segment_fixed_size: 2048
    .kernarg_segment_align: 8
    .kernarg_segment_size: 3472
    .language:       OpenCL C
    .language_version:
      - 2
      - 0
    .max_flat_workgroup_size: 1024
    .name:           _ZN2at6native14lpnorm_cleanupIfLNS0_8NormTypeE1EfLb0EfEEvPKT3_NS0_19TensorListAddressesEi
    .private_segment_fixed_size: 0
    .sgpr_count:     14
    .sgpr_spill_count: 0
    .symbol:         _ZN2at6native14lpnorm_cleanupIfLNS0_8NormTypeE1EfLb0EfEEvPKT3_NS0_19TensorListAddressesEi.kd
    .uniform_work_group_size: 1
    .uses_dynamic_stack: false
    .vgpr_count:     9
    .vgpr_spill_count: 0
    .wavefront_size: 32
  - .args:
      - .address_space:  global
        .offset:         0
        .size:           8
        .value_kind:     global_buffer
      - .offset:         8
        .size:           3200
        .value_kind:     by_value
      - .offset:         3208
        .size:           4
        .value_kind:     by_value
      - .offset:         3216
        .size:           4
        .value_kind:     hidden_block_count_x
      - .offset:         3220
        .size:           4
        .value_kind:     hidden_block_count_y
      - .offset:         3224
        .size:           4
        .value_kind:     hidden_block_count_z
      - .offset:         3228
        .size:           2
        .value_kind:     hidden_group_size_x
      - .offset:         3230
        .size:           2
        .value_kind:     hidden_group_size_y
      - .offset:         3232
        .size:           2
        .value_kind:     hidden_group_size_z
      - .offset:         3234
        .size:           2
        .value_kind:     hidden_remainder_x
      - .offset:         3236
        .size:           2
        .value_kind:     hidden_remainder_y
      - .offset:         3238
        .size:           2
        .value_kind:     hidden_remainder_z
      - .offset:         3256
        .size:           8
        .value_kind:     hidden_global_offset_x
      - .offset:         3264
        .size:           8
        .value_kind:     hidden_global_offset_y
      - .offset:         3272
        .size:           8
        .value_kind:     hidden_global_offset_z
      - .offset:         3280
        .size:           2
        .value_kind:     hidden_grid_dims
    .group_segment_fixed_size: 2048
    .kernarg_segment_align: 8
    .kernarg_segment_size: 3472
    .language:       OpenCL C
    .language_version:
      - 2
      - 0
    .max_flat_workgroup_size: 1024
    .name:           _ZN2at6native14lpnorm_cleanupIfLNS0_8NormTypeE2EfLb0EfEEvPKT3_NS0_19TensorListAddressesEi
    .private_segment_fixed_size: 0
    .sgpr_count:     14
    .sgpr_spill_count: 0
    .symbol:         _ZN2at6native14lpnorm_cleanupIfLNS0_8NormTypeE2EfLb0EfEEvPKT3_NS0_19TensorListAddressesEi.kd
    .uniform_work_group_size: 1
    .uses_dynamic_stack: false
    .vgpr_count:     9
    .vgpr_spill_count: 0
    .wavefront_size: 32
  - .args:
      - .address_space:  global
        .offset:         0
        .size:           8
        .value_kind:     global_buffer
      - .offset:         8
        .size:           3200
        .value_kind:     by_value
      - .offset:         3208
        .size:           4
        .value_kind:     by_value
      - .offset:         3216
        .size:           4
        .value_kind:     hidden_block_count_x
      - .offset:         3220
        .size:           4
        .value_kind:     hidden_block_count_y
      - .offset:         3224
        .size:           4
        .value_kind:     hidden_block_count_z
      - .offset:         3228
        .size:           2
        .value_kind:     hidden_group_size_x
      - .offset:         3230
        .size:           2
        .value_kind:     hidden_group_size_y
      - .offset:         3232
        .size:           2
        .value_kind:     hidden_group_size_z
      - .offset:         3234
        .size:           2
        .value_kind:     hidden_remainder_x
      - .offset:         3236
        .size:           2
        .value_kind:     hidden_remainder_y
      - .offset:         3238
        .size:           2
        .value_kind:     hidden_remainder_z
      - .offset:         3256
        .size:           8
        .value_kind:     hidden_global_offset_x
      - .offset:         3264
        .size:           8
        .value_kind:     hidden_global_offset_y
      - .offset:         3272
        .size:           8
        .value_kind:     hidden_global_offset_z
      - .offset:         3280
        .size:           2
        .value_kind:     hidden_grid_dims
    .group_segment_fixed_size: 2048
    .kernarg_segment_align: 8
    .kernarg_segment_size: 3472
    .language:       OpenCL C
    .language_version:
      - 2
      - 0
    .max_flat_workgroup_size: 1024
    .name:           _ZN2at6native14lpnorm_cleanupIfLNS0_8NormTypeE0EN3c104HalfELb0EfEEvPKT3_NS0_19TensorListAddressesEi
    .private_segment_fixed_size: 0
    .sgpr_count:     14
    .sgpr_spill_count: 0
    .symbol:         _ZN2at6native14lpnorm_cleanupIfLNS0_8NormTypeE0EN3c104HalfELb0EfEEvPKT3_NS0_19TensorListAddressesEi.kd
    .uniform_work_group_size: 1
    .uses_dynamic_stack: false
    .vgpr_count:     9
    .vgpr_spill_count: 0
    .wavefront_size: 32
  - .args:
      - .address_space:  global
        .offset:         0
        .size:           8
        .value_kind:     global_buffer
      - .offset:         8
        .size:           3200
        .value_kind:     by_value
      - .offset:         3208
        .size:           4
        .value_kind:     by_value
      - .offset:         3216
        .size:           4
        .value_kind:     hidden_block_count_x
      - .offset:         3220
        .size:           4
        .value_kind:     hidden_block_count_y
      - .offset:         3224
        .size:           4
        .value_kind:     hidden_block_count_z
      - .offset:         3228
        .size:           2
        .value_kind:     hidden_group_size_x
      - .offset:         3230
        .size:           2
        .value_kind:     hidden_group_size_y
      - .offset:         3232
        .size:           2
        .value_kind:     hidden_group_size_z
      - .offset:         3234
        .size:           2
        .value_kind:     hidden_remainder_x
      - .offset:         3236
        .size:           2
        .value_kind:     hidden_remainder_y
      - .offset:         3238
        .size:           2
        .value_kind:     hidden_remainder_z
      - .offset:         3256
        .size:           8
        .value_kind:     hidden_global_offset_x
      - .offset:         3264
        .size:           8
        .value_kind:     hidden_global_offset_y
      - .offset:         3272
        .size:           8
        .value_kind:     hidden_global_offset_z
      - .offset:         3280
        .size:           2
        .value_kind:     hidden_grid_dims
    .group_segment_fixed_size: 2048
    .kernarg_segment_align: 8
    .kernarg_segment_size: 3472
    .language:       OpenCL C
    .language_version:
      - 2
      - 0
    .max_flat_workgroup_size: 1024
    .name:           _ZN2at6native14lpnorm_cleanupIfLNS0_8NormTypeE1EN3c104HalfELb0EfEEvPKT3_NS0_19TensorListAddressesEi
    .private_segment_fixed_size: 0
    .sgpr_count:     14
    .sgpr_spill_count: 0
    .symbol:         _ZN2at6native14lpnorm_cleanupIfLNS0_8NormTypeE1EN3c104HalfELb0EfEEvPKT3_NS0_19TensorListAddressesEi.kd
    .uniform_work_group_size: 1
    .uses_dynamic_stack: false
    .vgpr_count:     9
    .vgpr_spill_count: 0
    .wavefront_size: 32
  - .args:
      - .address_space:  global
        .offset:         0
        .size:           8
        .value_kind:     global_buffer
      - .offset:         8
        .size:           3200
        .value_kind:     by_value
      - .offset:         3208
        .size:           4
        .value_kind:     by_value
      - .offset:         3216
        .size:           4
        .value_kind:     hidden_block_count_x
      - .offset:         3220
        .size:           4
        .value_kind:     hidden_block_count_y
      - .offset:         3224
        .size:           4
        .value_kind:     hidden_block_count_z
      - .offset:         3228
        .size:           2
        .value_kind:     hidden_group_size_x
      - .offset:         3230
        .size:           2
        .value_kind:     hidden_group_size_y
      - .offset:         3232
        .size:           2
        .value_kind:     hidden_group_size_z
      - .offset:         3234
        .size:           2
        .value_kind:     hidden_remainder_x
      - .offset:         3236
        .size:           2
        .value_kind:     hidden_remainder_y
      - .offset:         3238
        .size:           2
        .value_kind:     hidden_remainder_z
      - .offset:         3256
        .size:           8
        .value_kind:     hidden_global_offset_x
      - .offset:         3264
        .size:           8
        .value_kind:     hidden_global_offset_y
      - .offset:         3272
        .size:           8
        .value_kind:     hidden_global_offset_z
      - .offset:         3280
        .size:           2
        .value_kind:     hidden_grid_dims
    .group_segment_fixed_size: 2048
    .kernarg_segment_align: 8
    .kernarg_segment_size: 3472
    .language:       OpenCL C
    .language_version:
      - 2
      - 0
    .max_flat_workgroup_size: 1024
    .name:           _ZN2at6native14lpnorm_cleanupIfLNS0_8NormTypeE2EN3c104HalfELb0EfEEvPKT3_NS0_19TensorListAddressesEi
    .private_segment_fixed_size: 0
    .sgpr_count:     14
    .sgpr_spill_count: 0
    .symbol:         _ZN2at6native14lpnorm_cleanupIfLNS0_8NormTypeE2EN3c104HalfELb0EfEEvPKT3_NS0_19TensorListAddressesEi.kd
    .uniform_work_group_size: 1
    .uses_dynamic_stack: false
    .vgpr_count:     9
    .vgpr_spill_count: 0
    .wavefront_size: 32
  - .args:
      - .address_space:  global
        .offset:         0
        .size:           8
        .value_kind:     global_buffer
      - .offset:         8
        .size:           3200
        .value_kind:     by_value
      - .offset:         3208
        .size:           4
        .value_kind:     by_value
      - .offset:         3216
        .size:           4
        .value_kind:     hidden_block_count_x
      - .offset:         3220
        .size:           4
        .value_kind:     hidden_block_count_y
      - .offset:         3224
        .size:           4
        .value_kind:     hidden_block_count_z
      - .offset:         3228
        .size:           2
        .value_kind:     hidden_group_size_x
      - .offset:         3230
        .size:           2
        .value_kind:     hidden_group_size_y
      - .offset:         3232
        .size:           2
        .value_kind:     hidden_group_size_z
      - .offset:         3234
        .size:           2
        .value_kind:     hidden_remainder_x
      - .offset:         3236
        .size:           2
        .value_kind:     hidden_remainder_y
      - .offset:         3238
        .size:           2
        .value_kind:     hidden_remainder_z
      - .offset:         3256
        .size:           8
        .value_kind:     hidden_global_offset_x
      - .offset:         3264
        .size:           8
        .value_kind:     hidden_global_offset_y
      - .offset:         3272
        .size:           8
        .value_kind:     hidden_global_offset_z
      - .offset:         3280
        .size:           2
        .value_kind:     hidden_grid_dims
    .group_segment_fixed_size: 2048
    .kernarg_segment_align: 8
    .kernarg_segment_size: 3472
    .language:       OpenCL C
    .language_version:
      - 2
      - 0
    .max_flat_workgroup_size: 1024
    .name:           _ZN2at6native14lpnorm_cleanupIfLNS0_8NormTypeE0EN3c108BFloat16ELb0EfEEvPKT3_NS0_19TensorListAddressesEi
    .private_segment_fixed_size: 0
    .sgpr_count:     14
    .sgpr_spill_count: 0
    .symbol:         _ZN2at6native14lpnorm_cleanupIfLNS0_8NormTypeE0EN3c108BFloat16ELb0EfEEvPKT3_NS0_19TensorListAddressesEi.kd
    .uniform_work_group_size: 1
    .uses_dynamic_stack: false
    .vgpr_count:     9
    .vgpr_spill_count: 0
    .wavefront_size: 32
  - .args:
      - .address_space:  global
        .offset:         0
        .size:           8
        .value_kind:     global_buffer
      - .offset:         8
        .size:           3200
        .value_kind:     by_value
      - .offset:         3208
        .size:           4
        .value_kind:     by_value
      - .offset:         3216
        .size:           4
        .value_kind:     hidden_block_count_x
      - .offset:         3220
        .size:           4
        .value_kind:     hidden_block_count_y
      - .offset:         3224
        .size:           4
        .value_kind:     hidden_block_count_z
      - .offset:         3228
        .size:           2
        .value_kind:     hidden_group_size_x
      - .offset:         3230
        .size:           2
        .value_kind:     hidden_group_size_y
      - .offset:         3232
        .size:           2
        .value_kind:     hidden_group_size_z
      - .offset:         3234
        .size:           2
        .value_kind:     hidden_remainder_x
      - .offset:         3236
        .size:           2
        .value_kind:     hidden_remainder_y
      - .offset:         3238
        .size:           2
        .value_kind:     hidden_remainder_z
      - .offset:         3256
        .size:           8
        .value_kind:     hidden_global_offset_x
      - .offset:         3264
        .size:           8
        .value_kind:     hidden_global_offset_y
      - .offset:         3272
        .size:           8
        .value_kind:     hidden_global_offset_z
      - .offset:         3280
        .size:           2
        .value_kind:     hidden_grid_dims
    .group_segment_fixed_size: 2048
    .kernarg_segment_align: 8
    .kernarg_segment_size: 3472
    .language:       OpenCL C
    .language_version:
      - 2
      - 0
    .max_flat_workgroup_size: 1024
    .name:           _ZN2at6native14lpnorm_cleanupIfLNS0_8NormTypeE1EN3c108BFloat16ELb0EfEEvPKT3_NS0_19TensorListAddressesEi
    .private_segment_fixed_size: 0
    .sgpr_count:     14
    .sgpr_spill_count: 0
    .symbol:         _ZN2at6native14lpnorm_cleanupIfLNS0_8NormTypeE1EN3c108BFloat16ELb0EfEEvPKT3_NS0_19TensorListAddressesEi.kd
    .uniform_work_group_size: 1
    .uses_dynamic_stack: false
    .vgpr_count:     9
    .vgpr_spill_count: 0
    .wavefront_size: 32
  - .args:
      - .address_space:  global
        .offset:         0
        .size:           8
        .value_kind:     global_buffer
      - .offset:         8
        .size:           3200
        .value_kind:     by_value
      - .offset:         3208
        .size:           4
        .value_kind:     by_value
      - .offset:         3216
        .size:           4
        .value_kind:     hidden_block_count_x
      - .offset:         3220
        .size:           4
        .value_kind:     hidden_block_count_y
      - .offset:         3224
        .size:           4
        .value_kind:     hidden_block_count_z
      - .offset:         3228
        .size:           2
        .value_kind:     hidden_group_size_x
      - .offset:         3230
        .size:           2
        .value_kind:     hidden_group_size_y
      - .offset:         3232
        .size:           2
        .value_kind:     hidden_group_size_z
      - .offset:         3234
        .size:           2
        .value_kind:     hidden_remainder_x
      - .offset:         3236
        .size:           2
        .value_kind:     hidden_remainder_y
      - .offset:         3238
        .size:           2
        .value_kind:     hidden_remainder_z
      - .offset:         3256
        .size:           8
        .value_kind:     hidden_global_offset_x
      - .offset:         3264
        .size:           8
        .value_kind:     hidden_global_offset_y
      - .offset:         3272
        .size:           8
        .value_kind:     hidden_global_offset_z
      - .offset:         3280
        .size:           2
        .value_kind:     hidden_grid_dims
    .group_segment_fixed_size: 2048
    .kernarg_segment_align: 8
    .kernarg_segment_size: 3472
    .language:       OpenCL C
    .language_version:
      - 2
      - 0
    .max_flat_workgroup_size: 1024
    .name:           _ZN2at6native14lpnorm_cleanupIfLNS0_8NormTypeE2EN3c108BFloat16ELb0EfEEvPKT3_NS0_19TensorListAddressesEi
    .private_segment_fixed_size: 0
    .sgpr_count:     14
    .sgpr_spill_count: 0
    .symbol:         _ZN2at6native14lpnorm_cleanupIfLNS0_8NormTypeE2EN3c108BFloat16ELb0EfEEvPKT3_NS0_19TensorListAddressesEi.kd
    .uniform_work_group_size: 1
    .uses_dynamic_stack: false
    .vgpr_count:     9
    .vgpr_spill_count: 0
    .wavefront_size: 32
  - .args:
      - .address_space:  global
        .offset:         0
        .size:           8
        .value_kind:     global_buffer
      - .offset:         8
        .size:           3200
        .value_kind:     by_value
      - .offset:         3208
        .size:           4
        .value_kind:     by_value
      - .offset:         3216
        .size:           4
        .value_kind:     hidden_block_count_x
      - .offset:         3220
        .size:           4
        .value_kind:     hidden_block_count_y
      - .offset:         3224
        .size:           4
        .value_kind:     hidden_block_count_z
      - .offset:         3228
        .size:           2
        .value_kind:     hidden_group_size_x
      - .offset:         3230
        .size:           2
        .value_kind:     hidden_group_size_y
      - .offset:         3232
        .size:           2
        .value_kind:     hidden_group_size_z
      - .offset:         3234
        .size:           2
        .value_kind:     hidden_remainder_x
      - .offset:         3236
        .size:           2
        .value_kind:     hidden_remainder_y
      - .offset:         3238
        .size:           2
        .value_kind:     hidden_remainder_z
      - .offset:         3256
        .size:           8
        .value_kind:     hidden_global_offset_x
      - .offset:         3264
        .size:           8
        .value_kind:     hidden_global_offset_y
      - .offset:         3272
        .size:           8
        .value_kind:     hidden_global_offset_z
      - .offset:         3280
        .size:           2
        .value_kind:     hidden_grid_dims
    .group_segment_fixed_size: 4096
    .kernarg_segment_align: 8
    .kernarg_segment_size: 3472
    .language:       OpenCL C
    .language_version:
      - 2
      - 0
    .max_flat_workgroup_size: 1024
    .name:           _ZN2at6native14lpnorm_cleanupIN3c104HalfELNS0_8NormTypeE0EdLb0EdEEvPKT3_NS0_19TensorListAddressesEi
    .private_segment_fixed_size: 0
    .sgpr_count:     14
    .sgpr_spill_count: 0
    .symbol:         _ZN2at6native14lpnorm_cleanupIN3c104HalfELNS0_8NormTypeE0EdLb0EdEEvPKT3_NS0_19TensorListAddressesEi.kd
    .uniform_work_group_size: 1
    .uses_dynamic_stack: false
    .vgpr_count:     11
    .vgpr_spill_count: 0
    .wavefront_size: 32
  - .args:
      - .address_space:  global
        .offset:         0
        .size:           8
        .value_kind:     global_buffer
      - .offset:         8
        .size:           3200
        .value_kind:     by_value
      - .offset:         3208
        .size:           4
        .value_kind:     by_value
      - .offset:         3216
        .size:           4
        .value_kind:     hidden_block_count_x
      - .offset:         3220
        .size:           4
        .value_kind:     hidden_block_count_y
      - .offset:         3224
        .size:           4
        .value_kind:     hidden_block_count_z
      - .offset:         3228
        .size:           2
        .value_kind:     hidden_group_size_x
      - .offset:         3230
        .size:           2
        .value_kind:     hidden_group_size_y
      - .offset:         3232
        .size:           2
        .value_kind:     hidden_group_size_z
      - .offset:         3234
        .size:           2
        .value_kind:     hidden_remainder_x
      - .offset:         3236
        .size:           2
        .value_kind:     hidden_remainder_y
      - .offset:         3238
        .size:           2
        .value_kind:     hidden_remainder_z
      - .offset:         3256
        .size:           8
        .value_kind:     hidden_global_offset_x
      - .offset:         3264
        .size:           8
        .value_kind:     hidden_global_offset_y
      - .offset:         3272
        .size:           8
        .value_kind:     hidden_global_offset_z
      - .offset:         3280
        .size:           2
        .value_kind:     hidden_grid_dims
    .group_segment_fixed_size: 4096
    .kernarg_segment_align: 8
    .kernarg_segment_size: 3472
    .language:       OpenCL C
    .language_version:
      - 2
      - 0
    .max_flat_workgroup_size: 1024
    .name:           _ZN2at6native14lpnorm_cleanupIN3c104HalfELNS0_8NormTypeE1EdLb0EdEEvPKT3_NS0_19TensorListAddressesEi
    .private_segment_fixed_size: 0
    .sgpr_count:     14
    .sgpr_spill_count: 0
    .symbol:         _ZN2at6native14lpnorm_cleanupIN3c104HalfELNS0_8NormTypeE1EdLb0EdEEvPKT3_NS0_19TensorListAddressesEi.kd
    .uniform_work_group_size: 1
    .uses_dynamic_stack: false
    .vgpr_count:     11
    .vgpr_spill_count: 0
    .wavefront_size: 32
  - .args:
      - .address_space:  global
        .offset:         0
        .size:           8
        .value_kind:     global_buffer
      - .offset:         8
        .size:           3200
        .value_kind:     by_value
      - .offset:         3208
        .size:           4
        .value_kind:     by_value
      - .offset:         3216
        .size:           4
        .value_kind:     hidden_block_count_x
      - .offset:         3220
        .size:           4
        .value_kind:     hidden_block_count_y
      - .offset:         3224
        .size:           4
        .value_kind:     hidden_block_count_z
      - .offset:         3228
        .size:           2
        .value_kind:     hidden_group_size_x
      - .offset:         3230
        .size:           2
        .value_kind:     hidden_group_size_y
      - .offset:         3232
        .size:           2
        .value_kind:     hidden_group_size_z
      - .offset:         3234
        .size:           2
        .value_kind:     hidden_remainder_x
      - .offset:         3236
        .size:           2
        .value_kind:     hidden_remainder_y
      - .offset:         3238
        .size:           2
        .value_kind:     hidden_remainder_z
      - .offset:         3256
        .size:           8
        .value_kind:     hidden_global_offset_x
      - .offset:         3264
        .size:           8
        .value_kind:     hidden_global_offset_y
      - .offset:         3272
        .size:           8
        .value_kind:     hidden_global_offset_z
      - .offset:         3280
        .size:           2
        .value_kind:     hidden_grid_dims
    .group_segment_fixed_size: 4096
    .kernarg_segment_align: 8
    .kernarg_segment_size: 3472
    .language:       OpenCL C
    .language_version:
      - 2
      - 0
    .max_flat_workgroup_size: 1024
    .name:           _ZN2at6native14lpnorm_cleanupIN3c104HalfELNS0_8NormTypeE2EdLb0EdEEvPKT3_NS0_19TensorListAddressesEi
    .private_segment_fixed_size: 0
    .sgpr_count:     14
    .sgpr_spill_count: 0
    .symbol:         _ZN2at6native14lpnorm_cleanupIN3c104HalfELNS0_8NormTypeE2EdLb0EdEEvPKT3_NS0_19TensorListAddressesEi.kd
    .uniform_work_group_size: 1
    .uses_dynamic_stack: false
    .vgpr_count:     11
    .vgpr_spill_count: 0
    .wavefront_size: 32
  - .args:
      - .address_space:  global
        .offset:         0
        .size:           8
        .value_kind:     global_buffer
      - .offset:         8
        .size:           3200
        .value_kind:     by_value
      - .offset:         3208
        .size:           4
        .value_kind:     by_value
      - .offset:         3216
        .size:           4
        .value_kind:     hidden_block_count_x
      - .offset:         3220
        .size:           4
        .value_kind:     hidden_block_count_y
      - .offset:         3224
        .size:           4
        .value_kind:     hidden_block_count_z
      - .offset:         3228
        .size:           2
        .value_kind:     hidden_group_size_x
      - .offset:         3230
        .size:           2
        .value_kind:     hidden_group_size_y
      - .offset:         3232
        .size:           2
        .value_kind:     hidden_group_size_z
      - .offset:         3234
        .size:           2
        .value_kind:     hidden_remainder_x
      - .offset:         3236
        .size:           2
        .value_kind:     hidden_remainder_y
      - .offset:         3238
        .size:           2
        .value_kind:     hidden_remainder_z
      - .offset:         3256
        .size:           8
        .value_kind:     hidden_global_offset_x
      - .offset:         3264
        .size:           8
        .value_kind:     hidden_global_offset_y
      - .offset:         3272
        .size:           8
        .value_kind:     hidden_global_offset_z
      - .offset:         3280
        .size:           2
        .value_kind:     hidden_grid_dims
    .group_segment_fixed_size: 2048
    .kernarg_segment_align: 8
    .kernarg_segment_size: 3472
    .language:       OpenCL C
    .language_version:
      - 2
      - 0
    .max_flat_workgroup_size: 1024
    .name:           _ZN2at6native14lpnorm_cleanupIN3c104HalfELNS0_8NormTypeE0EfLb0EfEEvPKT3_NS0_19TensorListAddressesEi
    .private_segment_fixed_size: 0
    .sgpr_count:     14
    .sgpr_spill_count: 0
    .symbol:         _ZN2at6native14lpnorm_cleanupIN3c104HalfELNS0_8NormTypeE0EfLb0EfEEvPKT3_NS0_19TensorListAddressesEi.kd
    .uniform_work_group_size: 1
    .uses_dynamic_stack: false
    .vgpr_count:     9
    .vgpr_spill_count: 0
    .wavefront_size: 32
  - .args:
      - .address_space:  global
        .offset:         0
        .size:           8
        .value_kind:     global_buffer
      - .offset:         8
        .size:           3200
        .value_kind:     by_value
      - .offset:         3208
        .size:           4
        .value_kind:     by_value
      - .offset:         3216
        .size:           4
        .value_kind:     hidden_block_count_x
      - .offset:         3220
        .size:           4
        .value_kind:     hidden_block_count_y
      - .offset:         3224
        .size:           4
        .value_kind:     hidden_block_count_z
      - .offset:         3228
        .size:           2
        .value_kind:     hidden_group_size_x
      - .offset:         3230
        .size:           2
        .value_kind:     hidden_group_size_y
      - .offset:         3232
        .size:           2
        .value_kind:     hidden_group_size_z
      - .offset:         3234
        .size:           2
        .value_kind:     hidden_remainder_x
      - .offset:         3236
        .size:           2
        .value_kind:     hidden_remainder_y
      - .offset:         3238
        .size:           2
        .value_kind:     hidden_remainder_z
      - .offset:         3256
        .size:           8
        .value_kind:     hidden_global_offset_x
      - .offset:         3264
        .size:           8
        .value_kind:     hidden_global_offset_y
      - .offset:         3272
        .size:           8
        .value_kind:     hidden_global_offset_z
      - .offset:         3280
        .size:           2
        .value_kind:     hidden_grid_dims
    .group_segment_fixed_size: 2048
    .kernarg_segment_align: 8
    .kernarg_segment_size: 3472
    .language:       OpenCL C
    .language_version:
      - 2
      - 0
    .max_flat_workgroup_size: 1024
    .name:           _ZN2at6native14lpnorm_cleanupIN3c104HalfELNS0_8NormTypeE1EfLb0EfEEvPKT3_NS0_19TensorListAddressesEi
    .private_segment_fixed_size: 0
    .sgpr_count:     14
    .sgpr_spill_count: 0
    .symbol:         _ZN2at6native14lpnorm_cleanupIN3c104HalfELNS0_8NormTypeE1EfLb0EfEEvPKT3_NS0_19TensorListAddressesEi.kd
    .uniform_work_group_size: 1
    .uses_dynamic_stack: false
    .vgpr_count:     9
    .vgpr_spill_count: 0
    .wavefront_size: 32
  - .args:
      - .address_space:  global
        .offset:         0
        .size:           8
        .value_kind:     global_buffer
      - .offset:         8
        .size:           3200
        .value_kind:     by_value
      - .offset:         3208
        .size:           4
        .value_kind:     by_value
      - .offset:         3216
        .size:           4
        .value_kind:     hidden_block_count_x
      - .offset:         3220
        .size:           4
        .value_kind:     hidden_block_count_y
      - .offset:         3224
        .size:           4
        .value_kind:     hidden_block_count_z
      - .offset:         3228
        .size:           2
        .value_kind:     hidden_group_size_x
      - .offset:         3230
        .size:           2
        .value_kind:     hidden_group_size_y
      - .offset:         3232
        .size:           2
        .value_kind:     hidden_group_size_z
      - .offset:         3234
        .size:           2
        .value_kind:     hidden_remainder_x
      - .offset:         3236
        .size:           2
        .value_kind:     hidden_remainder_y
      - .offset:         3238
        .size:           2
        .value_kind:     hidden_remainder_z
      - .offset:         3256
        .size:           8
        .value_kind:     hidden_global_offset_x
      - .offset:         3264
        .size:           8
        .value_kind:     hidden_global_offset_y
      - .offset:         3272
        .size:           8
        .value_kind:     hidden_global_offset_z
      - .offset:         3280
        .size:           2
        .value_kind:     hidden_grid_dims
    .group_segment_fixed_size: 2048
    .kernarg_segment_align: 8
    .kernarg_segment_size: 3472
    .language:       OpenCL C
    .language_version:
      - 2
      - 0
    .max_flat_workgroup_size: 1024
    .name:           _ZN2at6native14lpnorm_cleanupIN3c104HalfELNS0_8NormTypeE2EfLb0EfEEvPKT3_NS0_19TensorListAddressesEi
    .private_segment_fixed_size: 0
    .sgpr_count:     14
    .sgpr_spill_count: 0
    .symbol:         _ZN2at6native14lpnorm_cleanupIN3c104HalfELNS0_8NormTypeE2EfLb0EfEEvPKT3_NS0_19TensorListAddressesEi.kd
    .uniform_work_group_size: 1
    .uses_dynamic_stack: false
    .vgpr_count:     9
    .vgpr_spill_count: 0
    .wavefront_size: 32
  - .args:
      - .address_space:  global
        .offset:         0
        .size:           8
        .value_kind:     global_buffer
      - .offset:         8
        .size:           3200
        .value_kind:     by_value
      - .offset:         3208
        .size:           4
        .value_kind:     by_value
      - .offset:         3216
        .size:           4
        .value_kind:     hidden_block_count_x
      - .offset:         3220
        .size:           4
        .value_kind:     hidden_block_count_y
      - .offset:         3224
        .size:           4
        .value_kind:     hidden_block_count_z
      - .offset:         3228
        .size:           2
        .value_kind:     hidden_group_size_x
      - .offset:         3230
        .size:           2
        .value_kind:     hidden_group_size_y
      - .offset:         3232
        .size:           2
        .value_kind:     hidden_group_size_z
      - .offset:         3234
        .size:           2
        .value_kind:     hidden_remainder_x
      - .offset:         3236
        .size:           2
        .value_kind:     hidden_remainder_y
      - .offset:         3238
        .size:           2
        .value_kind:     hidden_remainder_z
      - .offset:         3256
        .size:           8
        .value_kind:     hidden_global_offset_x
      - .offset:         3264
        .size:           8
        .value_kind:     hidden_global_offset_y
      - .offset:         3272
        .size:           8
        .value_kind:     hidden_global_offset_z
      - .offset:         3280
        .size:           2
        .value_kind:     hidden_grid_dims
    .group_segment_fixed_size: 2048
    .kernarg_segment_align: 8
    .kernarg_segment_size: 3472
    .language:       OpenCL C
    .language_version:
      - 2
      - 0
    .max_flat_workgroup_size: 1024
    .name:           _ZN2at6native14lpnorm_cleanupIN3c104HalfELNS0_8NormTypeE0ES3_Lb0EfEEvPKT3_NS0_19TensorListAddressesEi
    .private_segment_fixed_size: 0
    .sgpr_count:     14
    .sgpr_spill_count: 0
    .symbol:         _ZN2at6native14lpnorm_cleanupIN3c104HalfELNS0_8NormTypeE0ES3_Lb0EfEEvPKT3_NS0_19TensorListAddressesEi.kd
    .uniform_work_group_size: 1
    .uses_dynamic_stack: false
    .vgpr_count:     9
    .vgpr_spill_count: 0
    .wavefront_size: 32
  - .args:
      - .address_space:  global
        .offset:         0
        .size:           8
        .value_kind:     global_buffer
      - .offset:         8
        .size:           3200
        .value_kind:     by_value
      - .offset:         3208
        .size:           4
        .value_kind:     by_value
      - .offset:         3216
        .size:           4
        .value_kind:     hidden_block_count_x
      - .offset:         3220
        .size:           4
        .value_kind:     hidden_block_count_y
      - .offset:         3224
        .size:           4
        .value_kind:     hidden_block_count_z
      - .offset:         3228
        .size:           2
        .value_kind:     hidden_group_size_x
      - .offset:         3230
        .size:           2
        .value_kind:     hidden_group_size_y
      - .offset:         3232
        .size:           2
        .value_kind:     hidden_group_size_z
      - .offset:         3234
        .size:           2
        .value_kind:     hidden_remainder_x
      - .offset:         3236
        .size:           2
        .value_kind:     hidden_remainder_y
      - .offset:         3238
        .size:           2
        .value_kind:     hidden_remainder_z
      - .offset:         3256
        .size:           8
        .value_kind:     hidden_global_offset_x
      - .offset:         3264
        .size:           8
        .value_kind:     hidden_global_offset_y
      - .offset:         3272
        .size:           8
        .value_kind:     hidden_global_offset_z
      - .offset:         3280
        .size:           2
        .value_kind:     hidden_grid_dims
    .group_segment_fixed_size: 2048
    .kernarg_segment_align: 8
    .kernarg_segment_size: 3472
    .language:       OpenCL C
    .language_version:
      - 2
      - 0
    .max_flat_workgroup_size: 1024
    .name:           _ZN2at6native14lpnorm_cleanupIN3c104HalfELNS0_8NormTypeE1ES3_Lb0EfEEvPKT3_NS0_19TensorListAddressesEi
    .private_segment_fixed_size: 0
    .sgpr_count:     14
    .sgpr_spill_count: 0
    .symbol:         _ZN2at6native14lpnorm_cleanupIN3c104HalfELNS0_8NormTypeE1ES3_Lb0EfEEvPKT3_NS0_19TensorListAddressesEi.kd
    .uniform_work_group_size: 1
    .uses_dynamic_stack: false
    .vgpr_count:     9
    .vgpr_spill_count: 0
    .wavefront_size: 32
  - .args:
      - .address_space:  global
        .offset:         0
        .size:           8
        .value_kind:     global_buffer
      - .offset:         8
        .size:           3200
        .value_kind:     by_value
      - .offset:         3208
        .size:           4
        .value_kind:     by_value
      - .offset:         3216
        .size:           4
        .value_kind:     hidden_block_count_x
      - .offset:         3220
        .size:           4
        .value_kind:     hidden_block_count_y
      - .offset:         3224
        .size:           4
        .value_kind:     hidden_block_count_z
      - .offset:         3228
        .size:           2
        .value_kind:     hidden_group_size_x
      - .offset:         3230
        .size:           2
        .value_kind:     hidden_group_size_y
      - .offset:         3232
        .size:           2
        .value_kind:     hidden_group_size_z
      - .offset:         3234
        .size:           2
        .value_kind:     hidden_remainder_x
      - .offset:         3236
        .size:           2
        .value_kind:     hidden_remainder_y
      - .offset:         3238
        .size:           2
        .value_kind:     hidden_remainder_z
      - .offset:         3256
        .size:           8
        .value_kind:     hidden_global_offset_x
      - .offset:         3264
        .size:           8
        .value_kind:     hidden_global_offset_y
      - .offset:         3272
        .size:           8
        .value_kind:     hidden_global_offset_z
      - .offset:         3280
        .size:           2
        .value_kind:     hidden_grid_dims
    .group_segment_fixed_size: 2048
    .kernarg_segment_align: 8
    .kernarg_segment_size: 3472
    .language:       OpenCL C
    .language_version:
      - 2
      - 0
    .max_flat_workgroup_size: 1024
    .name:           _ZN2at6native14lpnorm_cleanupIN3c104HalfELNS0_8NormTypeE2ES3_Lb0EfEEvPKT3_NS0_19TensorListAddressesEi
    .private_segment_fixed_size: 0
    .sgpr_count:     14
    .sgpr_spill_count: 0
    .symbol:         _ZN2at6native14lpnorm_cleanupIN3c104HalfELNS0_8NormTypeE2ES3_Lb0EfEEvPKT3_NS0_19TensorListAddressesEi.kd
    .uniform_work_group_size: 1
    .uses_dynamic_stack: false
    .vgpr_count:     9
    .vgpr_spill_count: 0
    .wavefront_size: 32
  - .args:
      - .address_space:  global
        .offset:         0
        .size:           8
        .value_kind:     global_buffer
      - .offset:         8
        .size:           3200
        .value_kind:     by_value
      - .offset:         3208
        .size:           4
        .value_kind:     by_value
      - .offset:         3216
        .size:           4
        .value_kind:     hidden_block_count_x
      - .offset:         3220
        .size:           4
        .value_kind:     hidden_block_count_y
      - .offset:         3224
        .size:           4
        .value_kind:     hidden_block_count_z
      - .offset:         3228
        .size:           2
        .value_kind:     hidden_group_size_x
      - .offset:         3230
        .size:           2
        .value_kind:     hidden_group_size_y
      - .offset:         3232
        .size:           2
        .value_kind:     hidden_group_size_z
      - .offset:         3234
        .size:           2
        .value_kind:     hidden_remainder_x
      - .offset:         3236
        .size:           2
        .value_kind:     hidden_remainder_y
      - .offset:         3238
        .size:           2
        .value_kind:     hidden_remainder_z
      - .offset:         3256
        .size:           8
        .value_kind:     hidden_global_offset_x
      - .offset:         3264
        .size:           8
        .value_kind:     hidden_global_offset_y
      - .offset:         3272
        .size:           8
        .value_kind:     hidden_global_offset_z
      - .offset:         3280
        .size:           2
        .value_kind:     hidden_grid_dims
    .group_segment_fixed_size: 2048
    .kernarg_segment_align: 8
    .kernarg_segment_size: 3472
    .language:       OpenCL C
    .language_version:
      - 2
      - 0
    .max_flat_workgroup_size: 1024
    .name:           _ZN2at6native14lpnorm_cleanupIN3c104HalfELNS0_8NormTypeE0ENS2_8BFloat16ELb0EfEEvPKT3_NS0_19TensorListAddressesEi
    .private_segment_fixed_size: 0
    .sgpr_count:     14
    .sgpr_spill_count: 0
    .symbol:         _ZN2at6native14lpnorm_cleanupIN3c104HalfELNS0_8NormTypeE0ENS2_8BFloat16ELb0EfEEvPKT3_NS0_19TensorListAddressesEi.kd
    .uniform_work_group_size: 1
    .uses_dynamic_stack: false
    .vgpr_count:     9
    .vgpr_spill_count: 0
    .wavefront_size: 32
  - .args:
      - .address_space:  global
        .offset:         0
        .size:           8
        .value_kind:     global_buffer
      - .offset:         8
        .size:           3200
        .value_kind:     by_value
      - .offset:         3208
        .size:           4
        .value_kind:     by_value
      - .offset:         3216
        .size:           4
        .value_kind:     hidden_block_count_x
      - .offset:         3220
        .size:           4
        .value_kind:     hidden_block_count_y
      - .offset:         3224
        .size:           4
        .value_kind:     hidden_block_count_z
      - .offset:         3228
        .size:           2
        .value_kind:     hidden_group_size_x
      - .offset:         3230
        .size:           2
        .value_kind:     hidden_group_size_y
      - .offset:         3232
        .size:           2
        .value_kind:     hidden_group_size_z
      - .offset:         3234
        .size:           2
        .value_kind:     hidden_remainder_x
      - .offset:         3236
        .size:           2
        .value_kind:     hidden_remainder_y
      - .offset:         3238
        .size:           2
        .value_kind:     hidden_remainder_z
      - .offset:         3256
        .size:           8
        .value_kind:     hidden_global_offset_x
      - .offset:         3264
        .size:           8
        .value_kind:     hidden_global_offset_y
      - .offset:         3272
        .size:           8
        .value_kind:     hidden_global_offset_z
      - .offset:         3280
        .size:           2
        .value_kind:     hidden_grid_dims
    .group_segment_fixed_size: 2048
    .kernarg_segment_align: 8
    .kernarg_segment_size: 3472
    .language:       OpenCL C
    .language_version:
      - 2
      - 0
    .max_flat_workgroup_size: 1024
    .name:           _ZN2at6native14lpnorm_cleanupIN3c104HalfELNS0_8NormTypeE1ENS2_8BFloat16ELb0EfEEvPKT3_NS0_19TensorListAddressesEi
    .private_segment_fixed_size: 0
    .sgpr_count:     14
    .sgpr_spill_count: 0
    .symbol:         _ZN2at6native14lpnorm_cleanupIN3c104HalfELNS0_8NormTypeE1ENS2_8BFloat16ELb0EfEEvPKT3_NS0_19TensorListAddressesEi.kd
    .uniform_work_group_size: 1
    .uses_dynamic_stack: false
    .vgpr_count:     9
    .vgpr_spill_count: 0
    .wavefront_size: 32
  - .args:
      - .address_space:  global
        .offset:         0
        .size:           8
        .value_kind:     global_buffer
      - .offset:         8
        .size:           3200
        .value_kind:     by_value
      - .offset:         3208
        .size:           4
        .value_kind:     by_value
      - .offset:         3216
        .size:           4
        .value_kind:     hidden_block_count_x
      - .offset:         3220
        .size:           4
        .value_kind:     hidden_block_count_y
      - .offset:         3224
        .size:           4
        .value_kind:     hidden_block_count_z
      - .offset:         3228
        .size:           2
        .value_kind:     hidden_group_size_x
      - .offset:         3230
        .size:           2
        .value_kind:     hidden_group_size_y
      - .offset:         3232
        .size:           2
        .value_kind:     hidden_group_size_z
      - .offset:         3234
        .size:           2
        .value_kind:     hidden_remainder_x
      - .offset:         3236
        .size:           2
        .value_kind:     hidden_remainder_y
      - .offset:         3238
        .size:           2
        .value_kind:     hidden_remainder_z
      - .offset:         3256
        .size:           8
        .value_kind:     hidden_global_offset_x
      - .offset:         3264
        .size:           8
        .value_kind:     hidden_global_offset_y
      - .offset:         3272
        .size:           8
        .value_kind:     hidden_global_offset_z
      - .offset:         3280
        .size:           2
        .value_kind:     hidden_grid_dims
    .group_segment_fixed_size: 2048
    .kernarg_segment_align: 8
    .kernarg_segment_size: 3472
    .language:       OpenCL C
    .language_version:
      - 2
      - 0
    .max_flat_workgroup_size: 1024
    .name:           _ZN2at6native14lpnorm_cleanupIN3c104HalfELNS0_8NormTypeE2ENS2_8BFloat16ELb0EfEEvPKT3_NS0_19TensorListAddressesEi
    .private_segment_fixed_size: 0
    .sgpr_count:     14
    .sgpr_spill_count: 0
    .symbol:         _ZN2at6native14lpnorm_cleanupIN3c104HalfELNS0_8NormTypeE2ENS2_8BFloat16ELb0EfEEvPKT3_NS0_19TensorListAddressesEi.kd
    .uniform_work_group_size: 1
    .uses_dynamic_stack: false
    .vgpr_count:     9
    .vgpr_spill_count: 0
    .wavefront_size: 32
  - .args:
      - .address_space:  global
        .offset:         0
        .size:           8
        .value_kind:     global_buffer
      - .offset:         8
        .size:           3200
        .value_kind:     by_value
      - .offset:         3208
        .size:           4
        .value_kind:     by_value
      - .offset:         3216
        .size:           4
        .value_kind:     hidden_block_count_x
      - .offset:         3220
        .size:           4
        .value_kind:     hidden_block_count_y
      - .offset:         3224
        .size:           4
        .value_kind:     hidden_block_count_z
      - .offset:         3228
        .size:           2
        .value_kind:     hidden_group_size_x
      - .offset:         3230
        .size:           2
        .value_kind:     hidden_group_size_y
      - .offset:         3232
        .size:           2
        .value_kind:     hidden_group_size_z
      - .offset:         3234
        .size:           2
        .value_kind:     hidden_remainder_x
      - .offset:         3236
        .size:           2
        .value_kind:     hidden_remainder_y
      - .offset:         3238
        .size:           2
        .value_kind:     hidden_remainder_z
      - .offset:         3256
        .size:           8
        .value_kind:     hidden_global_offset_x
      - .offset:         3264
        .size:           8
        .value_kind:     hidden_global_offset_y
      - .offset:         3272
        .size:           8
        .value_kind:     hidden_global_offset_z
      - .offset:         3280
        .size:           2
        .value_kind:     hidden_grid_dims
    .group_segment_fixed_size: 4096
    .kernarg_segment_align: 8
    .kernarg_segment_size: 3472
    .language:       OpenCL C
    .language_version:
      - 2
      - 0
    .max_flat_workgroup_size: 1024
    .name:           _ZN2at6native14lpnorm_cleanupIN3c108BFloat16ELNS0_8NormTypeE0EdLb0EdEEvPKT3_NS0_19TensorListAddressesEi
    .private_segment_fixed_size: 0
    .sgpr_count:     14
    .sgpr_spill_count: 0
    .symbol:         _ZN2at6native14lpnorm_cleanupIN3c108BFloat16ELNS0_8NormTypeE0EdLb0EdEEvPKT3_NS0_19TensorListAddressesEi.kd
    .uniform_work_group_size: 1
    .uses_dynamic_stack: false
    .vgpr_count:     11
    .vgpr_spill_count: 0
    .wavefront_size: 32
  - .args:
      - .address_space:  global
        .offset:         0
        .size:           8
        .value_kind:     global_buffer
      - .offset:         8
        .size:           3200
        .value_kind:     by_value
      - .offset:         3208
        .size:           4
        .value_kind:     by_value
      - .offset:         3216
        .size:           4
        .value_kind:     hidden_block_count_x
      - .offset:         3220
        .size:           4
        .value_kind:     hidden_block_count_y
      - .offset:         3224
        .size:           4
        .value_kind:     hidden_block_count_z
      - .offset:         3228
        .size:           2
        .value_kind:     hidden_group_size_x
      - .offset:         3230
        .size:           2
        .value_kind:     hidden_group_size_y
      - .offset:         3232
        .size:           2
        .value_kind:     hidden_group_size_z
      - .offset:         3234
        .size:           2
        .value_kind:     hidden_remainder_x
      - .offset:         3236
        .size:           2
        .value_kind:     hidden_remainder_y
      - .offset:         3238
        .size:           2
        .value_kind:     hidden_remainder_z
      - .offset:         3256
        .size:           8
        .value_kind:     hidden_global_offset_x
      - .offset:         3264
        .size:           8
        .value_kind:     hidden_global_offset_y
      - .offset:         3272
        .size:           8
        .value_kind:     hidden_global_offset_z
      - .offset:         3280
        .size:           2
        .value_kind:     hidden_grid_dims
    .group_segment_fixed_size: 4096
    .kernarg_segment_align: 8
    .kernarg_segment_size: 3472
    .language:       OpenCL C
    .language_version:
      - 2
      - 0
    .max_flat_workgroup_size: 1024
    .name:           _ZN2at6native14lpnorm_cleanupIN3c108BFloat16ELNS0_8NormTypeE1EdLb0EdEEvPKT3_NS0_19TensorListAddressesEi
    .private_segment_fixed_size: 0
    .sgpr_count:     14
    .sgpr_spill_count: 0
    .symbol:         _ZN2at6native14lpnorm_cleanupIN3c108BFloat16ELNS0_8NormTypeE1EdLb0EdEEvPKT3_NS0_19TensorListAddressesEi.kd
    .uniform_work_group_size: 1
    .uses_dynamic_stack: false
    .vgpr_count:     11
    .vgpr_spill_count: 0
    .wavefront_size: 32
  - .args:
      - .address_space:  global
        .offset:         0
        .size:           8
        .value_kind:     global_buffer
      - .offset:         8
        .size:           3200
        .value_kind:     by_value
      - .offset:         3208
        .size:           4
        .value_kind:     by_value
      - .offset:         3216
        .size:           4
        .value_kind:     hidden_block_count_x
      - .offset:         3220
        .size:           4
        .value_kind:     hidden_block_count_y
      - .offset:         3224
        .size:           4
        .value_kind:     hidden_block_count_z
      - .offset:         3228
        .size:           2
        .value_kind:     hidden_group_size_x
      - .offset:         3230
        .size:           2
        .value_kind:     hidden_group_size_y
      - .offset:         3232
        .size:           2
        .value_kind:     hidden_group_size_z
      - .offset:         3234
        .size:           2
        .value_kind:     hidden_remainder_x
      - .offset:         3236
        .size:           2
        .value_kind:     hidden_remainder_y
      - .offset:         3238
        .size:           2
        .value_kind:     hidden_remainder_z
      - .offset:         3256
        .size:           8
        .value_kind:     hidden_global_offset_x
      - .offset:         3264
        .size:           8
        .value_kind:     hidden_global_offset_y
      - .offset:         3272
        .size:           8
        .value_kind:     hidden_global_offset_z
      - .offset:         3280
        .size:           2
        .value_kind:     hidden_grid_dims
    .group_segment_fixed_size: 4096
    .kernarg_segment_align: 8
    .kernarg_segment_size: 3472
    .language:       OpenCL C
    .language_version:
      - 2
      - 0
    .max_flat_workgroup_size: 1024
    .name:           _ZN2at6native14lpnorm_cleanupIN3c108BFloat16ELNS0_8NormTypeE2EdLb0EdEEvPKT3_NS0_19TensorListAddressesEi
    .private_segment_fixed_size: 0
    .sgpr_count:     14
    .sgpr_spill_count: 0
    .symbol:         _ZN2at6native14lpnorm_cleanupIN3c108BFloat16ELNS0_8NormTypeE2EdLb0EdEEvPKT3_NS0_19TensorListAddressesEi.kd
    .uniform_work_group_size: 1
    .uses_dynamic_stack: false
    .vgpr_count:     11
    .vgpr_spill_count: 0
    .wavefront_size: 32
  - .args:
      - .address_space:  global
        .offset:         0
        .size:           8
        .value_kind:     global_buffer
      - .offset:         8
        .size:           3200
        .value_kind:     by_value
      - .offset:         3208
        .size:           4
        .value_kind:     by_value
      - .offset:         3216
        .size:           4
        .value_kind:     hidden_block_count_x
      - .offset:         3220
        .size:           4
        .value_kind:     hidden_block_count_y
      - .offset:         3224
        .size:           4
        .value_kind:     hidden_block_count_z
      - .offset:         3228
        .size:           2
        .value_kind:     hidden_group_size_x
      - .offset:         3230
        .size:           2
        .value_kind:     hidden_group_size_y
      - .offset:         3232
        .size:           2
        .value_kind:     hidden_group_size_z
      - .offset:         3234
        .size:           2
        .value_kind:     hidden_remainder_x
      - .offset:         3236
        .size:           2
        .value_kind:     hidden_remainder_y
      - .offset:         3238
        .size:           2
        .value_kind:     hidden_remainder_z
      - .offset:         3256
        .size:           8
        .value_kind:     hidden_global_offset_x
      - .offset:         3264
        .size:           8
        .value_kind:     hidden_global_offset_y
      - .offset:         3272
        .size:           8
        .value_kind:     hidden_global_offset_z
      - .offset:         3280
        .size:           2
        .value_kind:     hidden_grid_dims
    .group_segment_fixed_size: 2048
    .kernarg_segment_align: 8
    .kernarg_segment_size: 3472
    .language:       OpenCL C
    .language_version:
      - 2
      - 0
    .max_flat_workgroup_size: 1024
    .name:           _ZN2at6native14lpnorm_cleanupIN3c108BFloat16ELNS0_8NormTypeE0EfLb0EfEEvPKT3_NS0_19TensorListAddressesEi
    .private_segment_fixed_size: 0
    .sgpr_count:     14
    .sgpr_spill_count: 0
    .symbol:         _ZN2at6native14lpnorm_cleanupIN3c108BFloat16ELNS0_8NormTypeE0EfLb0EfEEvPKT3_NS0_19TensorListAddressesEi.kd
    .uniform_work_group_size: 1
    .uses_dynamic_stack: false
    .vgpr_count:     9
    .vgpr_spill_count: 0
    .wavefront_size: 32
  - .args:
      - .address_space:  global
        .offset:         0
        .size:           8
        .value_kind:     global_buffer
      - .offset:         8
        .size:           3200
        .value_kind:     by_value
      - .offset:         3208
        .size:           4
        .value_kind:     by_value
      - .offset:         3216
        .size:           4
        .value_kind:     hidden_block_count_x
      - .offset:         3220
        .size:           4
        .value_kind:     hidden_block_count_y
      - .offset:         3224
        .size:           4
        .value_kind:     hidden_block_count_z
      - .offset:         3228
        .size:           2
        .value_kind:     hidden_group_size_x
      - .offset:         3230
        .size:           2
        .value_kind:     hidden_group_size_y
      - .offset:         3232
        .size:           2
        .value_kind:     hidden_group_size_z
      - .offset:         3234
        .size:           2
        .value_kind:     hidden_remainder_x
      - .offset:         3236
        .size:           2
        .value_kind:     hidden_remainder_y
      - .offset:         3238
        .size:           2
        .value_kind:     hidden_remainder_z
      - .offset:         3256
        .size:           8
        .value_kind:     hidden_global_offset_x
      - .offset:         3264
        .size:           8
        .value_kind:     hidden_global_offset_y
      - .offset:         3272
        .size:           8
        .value_kind:     hidden_global_offset_z
      - .offset:         3280
        .size:           2
        .value_kind:     hidden_grid_dims
    .group_segment_fixed_size: 2048
    .kernarg_segment_align: 8
    .kernarg_segment_size: 3472
    .language:       OpenCL C
    .language_version:
      - 2
      - 0
    .max_flat_workgroup_size: 1024
    .name:           _ZN2at6native14lpnorm_cleanupIN3c108BFloat16ELNS0_8NormTypeE1EfLb0EfEEvPKT3_NS0_19TensorListAddressesEi
    .private_segment_fixed_size: 0
    .sgpr_count:     14
    .sgpr_spill_count: 0
    .symbol:         _ZN2at6native14lpnorm_cleanupIN3c108BFloat16ELNS0_8NormTypeE1EfLb0EfEEvPKT3_NS0_19TensorListAddressesEi.kd
    .uniform_work_group_size: 1
    .uses_dynamic_stack: false
    .vgpr_count:     9
    .vgpr_spill_count: 0
    .wavefront_size: 32
  - .args:
      - .address_space:  global
        .offset:         0
        .size:           8
        .value_kind:     global_buffer
      - .offset:         8
        .size:           3200
        .value_kind:     by_value
      - .offset:         3208
        .size:           4
        .value_kind:     by_value
      - .offset:         3216
        .size:           4
        .value_kind:     hidden_block_count_x
      - .offset:         3220
        .size:           4
        .value_kind:     hidden_block_count_y
      - .offset:         3224
        .size:           4
        .value_kind:     hidden_block_count_z
      - .offset:         3228
        .size:           2
        .value_kind:     hidden_group_size_x
      - .offset:         3230
        .size:           2
        .value_kind:     hidden_group_size_y
      - .offset:         3232
        .size:           2
        .value_kind:     hidden_group_size_z
      - .offset:         3234
        .size:           2
        .value_kind:     hidden_remainder_x
      - .offset:         3236
        .size:           2
        .value_kind:     hidden_remainder_y
      - .offset:         3238
        .size:           2
        .value_kind:     hidden_remainder_z
      - .offset:         3256
        .size:           8
        .value_kind:     hidden_global_offset_x
      - .offset:         3264
        .size:           8
        .value_kind:     hidden_global_offset_y
      - .offset:         3272
        .size:           8
        .value_kind:     hidden_global_offset_z
      - .offset:         3280
        .size:           2
        .value_kind:     hidden_grid_dims
    .group_segment_fixed_size: 2048
    .kernarg_segment_align: 8
    .kernarg_segment_size: 3472
    .language:       OpenCL C
    .language_version:
      - 2
      - 0
    .max_flat_workgroup_size: 1024
    .name:           _ZN2at6native14lpnorm_cleanupIN3c108BFloat16ELNS0_8NormTypeE2EfLb0EfEEvPKT3_NS0_19TensorListAddressesEi
    .private_segment_fixed_size: 0
    .sgpr_count:     14
    .sgpr_spill_count: 0
    .symbol:         _ZN2at6native14lpnorm_cleanupIN3c108BFloat16ELNS0_8NormTypeE2EfLb0EfEEvPKT3_NS0_19TensorListAddressesEi.kd
    .uniform_work_group_size: 1
    .uses_dynamic_stack: false
    .vgpr_count:     9
    .vgpr_spill_count: 0
    .wavefront_size: 32
  - .args:
      - .address_space:  global
        .offset:         0
        .size:           8
        .value_kind:     global_buffer
      - .offset:         8
        .size:           3200
        .value_kind:     by_value
      - .offset:         3208
        .size:           4
        .value_kind:     by_value
      - .offset:         3216
        .size:           4
        .value_kind:     hidden_block_count_x
      - .offset:         3220
        .size:           4
        .value_kind:     hidden_block_count_y
      - .offset:         3224
        .size:           4
        .value_kind:     hidden_block_count_z
      - .offset:         3228
        .size:           2
        .value_kind:     hidden_group_size_x
      - .offset:         3230
        .size:           2
        .value_kind:     hidden_group_size_y
      - .offset:         3232
        .size:           2
        .value_kind:     hidden_group_size_z
      - .offset:         3234
        .size:           2
        .value_kind:     hidden_remainder_x
      - .offset:         3236
        .size:           2
        .value_kind:     hidden_remainder_y
      - .offset:         3238
        .size:           2
        .value_kind:     hidden_remainder_z
      - .offset:         3256
        .size:           8
        .value_kind:     hidden_global_offset_x
      - .offset:         3264
        .size:           8
        .value_kind:     hidden_global_offset_y
      - .offset:         3272
        .size:           8
        .value_kind:     hidden_global_offset_z
      - .offset:         3280
        .size:           2
        .value_kind:     hidden_grid_dims
    .group_segment_fixed_size: 2048
    .kernarg_segment_align: 8
    .kernarg_segment_size: 3472
    .language:       OpenCL C
    .language_version:
      - 2
      - 0
    .max_flat_workgroup_size: 1024
    .name:           _ZN2at6native14lpnorm_cleanupIN3c108BFloat16ELNS0_8NormTypeE0ENS2_4HalfELb0EfEEvPKT3_NS0_19TensorListAddressesEi
    .private_segment_fixed_size: 0
    .sgpr_count:     14
    .sgpr_spill_count: 0
    .symbol:         _ZN2at6native14lpnorm_cleanupIN3c108BFloat16ELNS0_8NormTypeE0ENS2_4HalfELb0EfEEvPKT3_NS0_19TensorListAddressesEi.kd
    .uniform_work_group_size: 1
    .uses_dynamic_stack: false
    .vgpr_count:     9
    .vgpr_spill_count: 0
    .wavefront_size: 32
  - .args:
      - .address_space:  global
        .offset:         0
        .size:           8
        .value_kind:     global_buffer
      - .offset:         8
        .size:           3200
        .value_kind:     by_value
      - .offset:         3208
        .size:           4
        .value_kind:     by_value
      - .offset:         3216
        .size:           4
        .value_kind:     hidden_block_count_x
      - .offset:         3220
        .size:           4
        .value_kind:     hidden_block_count_y
      - .offset:         3224
        .size:           4
        .value_kind:     hidden_block_count_z
      - .offset:         3228
        .size:           2
        .value_kind:     hidden_group_size_x
      - .offset:         3230
        .size:           2
        .value_kind:     hidden_group_size_y
      - .offset:         3232
        .size:           2
        .value_kind:     hidden_group_size_z
      - .offset:         3234
        .size:           2
        .value_kind:     hidden_remainder_x
      - .offset:         3236
        .size:           2
        .value_kind:     hidden_remainder_y
      - .offset:         3238
        .size:           2
        .value_kind:     hidden_remainder_z
      - .offset:         3256
        .size:           8
        .value_kind:     hidden_global_offset_x
      - .offset:         3264
        .size:           8
        .value_kind:     hidden_global_offset_y
      - .offset:         3272
        .size:           8
        .value_kind:     hidden_global_offset_z
      - .offset:         3280
        .size:           2
        .value_kind:     hidden_grid_dims
    .group_segment_fixed_size: 2048
    .kernarg_segment_align: 8
    .kernarg_segment_size: 3472
    .language:       OpenCL C
    .language_version:
      - 2
      - 0
    .max_flat_workgroup_size: 1024
    .name:           _ZN2at6native14lpnorm_cleanupIN3c108BFloat16ELNS0_8NormTypeE1ENS2_4HalfELb0EfEEvPKT3_NS0_19TensorListAddressesEi
    .private_segment_fixed_size: 0
    .sgpr_count:     14
    .sgpr_spill_count: 0
    .symbol:         _ZN2at6native14lpnorm_cleanupIN3c108BFloat16ELNS0_8NormTypeE1ENS2_4HalfELb0EfEEvPKT3_NS0_19TensorListAddressesEi.kd
    .uniform_work_group_size: 1
    .uses_dynamic_stack: false
    .vgpr_count:     9
    .vgpr_spill_count: 0
    .wavefront_size: 32
  - .args:
      - .address_space:  global
        .offset:         0
        .size:           8
        .value_kind:     global_buffer
      - .offset:         8
        .size:           3200
        .value_kind:     by_value
      - .offset:         3208
        .size:           4
        .value_kind:     by_value
      - .offset:         3216
        .size:           4
        .value_kind:     hidden_block_count_x
      - .offset:         3220
        .size:           4
        .value_kind:     hidden_block_count_y
      - .offset:         3224
        .size:           4
        .value_kind:     hidden_block_count_z
      - .offset:         3228
        .size:           2
        .value_kind:     hidden_group_size_x
      - .offset:         3230
        .size:           2
        .value_kind:     hidden_group_size_y
      - .offset:         3232
        .size:           2
        .value_kind:     hidden_group_size_z
      - .offset:         3234
        .size:           2
        .value_kind:     hidden_remainder_x
      - .offset:         3236
        .size:           2
        .value_kind:     hidden_remainder_y
      - .offset:         3238
        .size:           2
        .value_kind:     hidden_remainder_z
      - .offset:         3256
        .size:           8
        .value_kind:     hidden_global_offset_x
      - .offset:         3264
        .size:           8
        .value_kind:     hidden_global_offset_y
      - .offset:         3272
        .size:           8
        .value_kind:     hidden_global_offset_z
      - .offset:         3280
        .size:           2
        .value_kind:     hidden_grid_dims
    .group_segment_fixed_size: 2048
    .kernarg_segment_align: 8
    .kernarg_segment_size: 3472
    .language:       OpenCL C
    .language_version:
      - 2
      - 0
    .max_flat_workgroup_size: 1024
    .name:           _ZN2at6native14lpnorm_cleanupIN3c108BFloat16ELNS0_8NormTypeE2ENS2_4HalfELb0EfEEvPKT3_NS0_19TensorListAddressesEi
    .private_segment_fixed_size: 0
    .sgpr_count:     14
    .sgpr_spill_count: 0
    .symbol:         _ZN2at6native14lpnorm_cleanupIN3c108BFloat16ELNS0_8NormTypeE2ENS2_4HalfELb0EfEEvPKT3_NS0_19TensorListAddressesEi.kd
    .uniform_work_group_size: 1
    .uses_dynamic_stack: false
    .vgpr_count:     9
    .vgpr_spill_count: 0
    .wavefront_size: 32
  - .args:
      - .address_space:  global
        .offset:         0
        .size:           8
        .value_kind:     global_buffer
      - .offset:         8
        .size:           3200
        .value_kind:     by_value
      - .offset:         3208
        .size:           4
        .value_kind:     by_value
      - .offset:         3216
        .size:           4
        .value_kind:     hidden_block_count_x
      - .offset:         3220
        .size:           4
        .value_kind:     hidden_block_count_y
      - .offset:         3224
        .size:           4
        .value_kind:     hidden_block_count_z
      - .offset:         3228
        .size:           2
        .value_kind:     hidden_group_size_x
      - .offset:         3230
        .size:           2
        .value_kind:     hidden_group_size_y
      - .offset:         3232
        .size:           2
        .value_kind:     hidden_group_size_z
      - .offset:         3234
        .size:           2
        .value_kind:     hidden_remainder_x
      - .offset:         3236
        .size:           2
        .value_kind:     hidden_remainder_y
      - .offset:         3238
        .size:           2
        .value_kind:     hidden_remainder_z
      - .offset:         3256
        .size:           8
        .value_kind:     hidden_global_offset_x
      - .offset:         3264
        .size:           8
        .value_kind:     hidden_global_offset_y
      - .offset:         3272
        .size:           8
        .value_kind:     hidden_global_offset_z
      - .offset:         3280
        .size:           2
        .value_kind:     hidden_grid_dims
    .group_segment_fixed_size: 2048
    .kernarg_segment_align: 8
    .kernarg_segment_size: 3472
    .language:       OpenCL C
    .language_version:
      - 2
      - 0
    .max_flat_workgroup_size: 1024
    .name:           _ZN2at6native14lpnorm_cleanupIN3c108BFloat16ELNS0_8NormTypeE0ES3_Lb0EfEEvPKT3_NS0_19TensorListAddressesEi
    .private_segment_fixed_size: 0
    .sgpr_count:     14
    .sgpr_spill_count: 0
    .symbol:         _ZN2at6native14lpnorm_cleanupIN3c108BFloat16ELNS0_8NormTypeE0ES3_Lb0EfEEvPKT3_NS0_19TensorListAddressesEi.kd
    .uniform_work_group_size: 1
    .uses_dynamic_stack: false
    .vgpr_count:     9
    .vgpr_spill_count: 0
    .wavefront_size: 32
  - .args:
      - .address_space:  global
        .offset:         0
        .size:           8
        .value_kind:     global_buffer
      - .offset:         8
        .size:           3200
        .value_kind:     by_value
      - .offset:         3208
        .size:           4
        .value_kind:     by_value
      - .offset:         3216
        .size:           4
        .value_kind:     hidden_block_count_x
      - .offset:         3220
        .size:           4
        .value_kind:     hidden_block_count_y
      - .offset:         3224
        .size:           4
        .value_kind:     hidden_block_count_z
      - .offset:         3228
        .size:           2
        .value_kind:     hidden_group_size_x
      - .offset:         3230
        .size:           2
        .value_kind:     hidden_group_size_y
      - .offset:         3232
        .size:           2
        .value_kind:     hidden_group_size_z
      - .offset:         3234
        .size:           2
        .value_kind:     hidden_remainder_x
      - .offset:         3236
        .size:           2
        .value_kind:     hidden_remainder_y
      - .offset:         3238
        .size:           2
        .value_kind:     hidden_remainder_z
      - .offset:         3256
        .size:           8
        .value_kind:     hidden_global_offset_x
      - .offset:         3264
        .size:           8
        .value_kind:     hidden_global_offset_y
      - .offset:         3272
        .size:           8
        .value_kind:     hidden_global_offset_z
      - .offset:         3280
        .size:           2
        .value_kind:     hidden_grid_dims
    .group_segment_fixed_size: 2048
    .kernarg_segment_align: 8
    .kernarg_segment_size: 3472
    .language:       OpenCL C
    .language_version:
      - 2
      - 0
    .max_flat_workgroup_size: 1024
    .name:           _ZN2at6native14lpnorm_cleanupIN3c108BFloat16ELNS0_8NormTypeE1ES3_Lb0EfEEvPKT3_NS0_19TensorListAddressesEi
    .private_segment_fixed_size: 0
    .sgpr_count:     14
    .sgpr_spill_count: 0
    .symbol:         _ZN2at6native14lpnorm_cleanupIN3c108BFloat16ELNS0_8NormTypeE1ES3_Lb0EfEEvPKT3_NS0_19TensorListAddressesEi.kd
    .uniform_work_group_size: 1
    .uses_dynamic_stack: false
    .vgpr_count:     9
    .vgpr_spill_count: 0
    .wavefront_size: 32
  - .args:
      - .address_space:  global
        .offset:         0
        .size:           8
        .value_kind:     global_buffer
      - .offset:         8
        .size:           3200
        .value_kind:     by_value
      - .offset:         3208
        .size:           4
        .value_kind:     by_value
      - .offset:         3216
        .size:           4
        .value_kind:     hidden_block_count_x
      - .offset:         3220
        .size:           4
        .value_kind:     hidden_block_count_y
      - .offset:         3224
        .size:           4
        .value_kind:     hidden_block_count_z
      - .offset:         3228
        .size:           2
        .value_kind:     hidden_group_size_x
      - .offset:         3230
        .size:           2
        .value_kind:     hidden_group_size_y
      - .offset:         3232
        .size:           2
        .value_kind:     hidden_group_size_z
      - .offset:         3234
        .size:           2
        .value_kind:     hidden_remainder_x
      - .offset:         3236
        .size:           2
        .value_kind:     hidden_remainder_y
      - .offset:         3238
        .size:           2
        .value_kind:     hidden_remainder_z
      - .offset:         3256
        .size:           8
        .value_kind:     hidden_global_offset_x
      - .offset:         3264
        .size:           8
        .value_kind:     hidden_global_offset_y
      - .offset:         3272
        .size:           8
        .value_kind:     hidden_global_offset_z
      - .offset:         3280
        .size:           2
        .value_kind:     hidden_grid_dims
    .group_segment_fixed_size: 2048
    .kernarg_segment_align: 8
    .kernarg_segment_size: 3472
    .language:       OpenCL C
    .language_version:
      - 2
      - 0
    .max_flat_workgroup_size: 1024
    .name:           _ZN2at6native14lpnorm_cleanupIN3c108BFloat16ELNS0_8NormTypeE2ES3_Lb0EfEEvPKT3_NS0_19TensorListAddressesEi
    .private_segment_fixed_size: 0
    .sgpr_count:     14
    .sgpr_spill_count: 0
    .symbol:         _ZN2at6native14lpnorm_cleanupIN3c108BFloat16ELNS0_8NormTypeE2ES3_Lb0EfEEvPKT3_NS0_19TensorListAddressesEi.kd
    .uniform_work_group_size: 1
    .uses_dynamic_stack: false
    .vgpr_count:     9
    .vgpr_spill_count: 0
    .wavefront_size: 32
amdhsa.target:   amdgcn-amd-amdhsa--gfx1250
amdhsa.version:
  - 1
  - 2
...

	.end_amdgpu_metadata
